;; amdgpu-corpus repo=ROCm/rocSPARSE kind=compiled arch=gfx906 opt=O3
	.amdgcn_target "amdgcn-amd-amdhsa--gfx906"
	.amdhsa_code_object_version 6
	.section	.text._ZN9rocsparseL23bsric0_binsearch_kernelILj32ELj32ELb0EfEEv20rocsparse_direction_iiPKiS3_PT2_S3_PiS3_S6_21rocsparse_index_base_,"axG",@progbits,_ZN9rocsparseL23bsric0_binsearch_kernelILj32ELj32ELb0EfEEv20rocsparse_direction_iiPKiS3_PT2_S3_PiS3_S6_21rocsparse_index_base_,comdat
	.globl	_ZN9rocsparseL23bsric0_binsearch_kernelILj32ELj32ELb0EfEEv20rocsparse_direction_iiPKiS3_PT2_S3_PiS3_S6_21rocsparse_index_base_ ; -- Begin function _ZN9rocsparseL23bsric0_binsearch_kernelILj32ELj32ELb0EfEEv20rocsparse_direction_iiPKiS3_PT2_S3_PiS3_S6_21rocsparse_index_base_
	.p2align	8
	.type	_ZN9rocsparseL23bsric0_binsearch_kernelILj32ELj32ELb0EfEEv20rocsparse_direction_iiPKiS3_PT2_S3_PiS3_S6_21rocsparse_index_base_,@function
_ZN9rocsparseL23bsric0_binsearch_kernelILj32ELj32ELb0EfEEv20rocsparse_direction_iiPKiS3_PT2_S3_PiS3_S6_21rocsparse_index_base_: ; @_ZN9rocsparseL23bsric0_binsearch_kernelILj32ELj32ELb0EfEEv20rocsparse_direction_iiPKiS3_PT2_S3_PiS3_S6_21rocsparse_index_base_
; %bb.0:
	s_load_dwordx8 s[16:23], s[4:5], 0x28
	s_ashr_i32 s7, s6, 31
	s_lshl_b64 s[0:1], s[6:7], 2
	v_mov_b32_e32 v1, 0
	s_load_dword s33, s[4:5], 0x48
	s_waitcnt lgkmcnt(0)
	s_add_u32 s0, s20, s0
	s_addc_u32 s1, s21, s1
	global_load_dword v3, v1, s[0:1]
	v_mov_b32_e32 v5, s17
	s_waitcnt vmcnt(0)
	v_ashrrev_i32_e32 v4, 31, v3
	v_lshlrev_b64 v[1:2], 2, v[3:4]
	v_add_co_u32_e32 v4, vcc, s16, v1
	v_addc_co_u32_e32 v5, vcc, v5, v2, vcc
	global_load_dword v13, v[4:5], off
	s_waitcnt vmcnt(0)
	v_readfirstlane_b32 s0, v13
	s_cmp_lg_u32 s0, -1
	s_cselect_b64 s[0:1], -1, 0
	s_and_saveexec_b64 s[2:3], s[0:1]
	s_xor_b64 s[14:15], exec, s[2:3]
	s_cbranch_execz .LBB0_69
; %bb.1:
	s_load_dword s50, s[4:5], 0x8
	s_waitcnt lgkmcnt(0)
	v_cmp_gt_i32_e32 vcc, s50, v0
	s_and_saveexec_b64 s[20:21], vcc
	s_cbranch_execz .LBB0_66
; %bb.2:
	s_load_dwordx4 s[24:27], s[4:5], 0x10
	s_load_dword s6, s[4:5], 0x0
	v_add_u32_e32 v14, s33, v3
	s_mul_i32 s51, s50, s50
	s_load_dwordx2 s[28:29], s[4:5], 0x20
	s_waitcnt lgkmcnt(0)
	v_mov_b32_e32 v5, s25
	v_add_co_u32_e32 v4, vcc, s24, v1
	v_addc_co_u32_e32 v5, vcc, v5, v2, vcc
	global_load_dwordx2 v[4:5], v[4:5], off
	v_mul_lo_u32 v17, v13, s51
	s_cmp_eq_u32 s6, 0
	v_mov_b32_e32 v6, s27
	s_cselect_b64 s[2:3], -1, 0
	s_cmp_lg_u32 s6, 0
	v_cmp_ne_u32_e64 s[0:1], 0, v0
	s_mov_b64 s[30:31], 0
	v_mov_b32_e32 v15, 0
	s_mov_b32 s52, 0xf800000
	v_mov_b32_e32 v16, 0x260
	s_cselect_b64 s[34:35], -1, 0
	v_mov_b32_e32 v22, v0
	s_waitcnt vmcnt(0)
	v_subrev_u32_e32 v18, s33, v4
	v_xad_u32 v19, s33, -1, v5
	v_add_u32_e32 v3, v19, v18
	v_ashrrev_i32_e32 v3, 1, v3
	v_mul_lo_u32 v20, s51, v18
	v_ashrrev_i32_e32 v4, 31, v3
	v_lshlrev_b64 v[4:5], 2, v[3:4]
	v_cmp_lt_i32_e64 s[4:5], v18, v13
	v_add_co_u32_e32 v4, vcc, s26, v4
	v_cmp_ge_i32_e64 s[6:7], v18, v13
	v_cmp_lt_i32_e64 s[8:9], v18, v19
	v_add_u32_e32 v21, v20, v0
	v_addc_co_u32_e32 v5, vcc, v6, v5, vcc
	s_branch .LBB0_4
.LBB0_3:                                ;   in Loop: Header=BB0_4 Depth=1
	v_add_u32_e32 v22, 32, v22
	v_cmp_le_i32_e32 vcc, s50, v22
	s_or_b64 s[30:31], vcc, s[30:31]
	v_add_u32_e32 v21, 32, v21
	s_andn2_b64 exec, exec, s[30:31]
	s_cbranch_execz .LBB0_66
.LBB0_4:                                ; =>This Loop Header: Depth=1
                                        ;     Child Loop BB0_9 Depth 2
                                        ;       Child Loop BB0_12 Depth 3
                                        ;       Child Loop BB0_16 Depth 3
                                        ;         Child Loop BB0_18 Depth 4
                                        ;         Child Loop BB0_25 Depth 4
                                        ;           Child Loop BB0_27 Depth 5
                                        ;           Child Loop BB0_33 Depth 5
                                        ;     Child Loop BB0_40 Depth 2
                                        ;       Child Loop BB0_44 Depth 3
                                        ;       Child Loop BB0_52 Depth 3
                                        ;         Child Loop BB0_54 Depth 4
                                        ;       Child Loop BB0_62 Depth 3
	v_mul_lo_u32 v23, v22, s50
	s_and_saveexec_b64 s[10:11], s[6:7]
	s_xor_b64 s[10:11], exec, s[10:11]
; %bb.5:                                ;   in Loop: Header=BB0_4 Depth=1
	v_mul_lo_u32 v23, v22, s50
; %bb.6:                                ;   in Loop: Header=BB0_4 Depth=1
	s_or_saveexec_b64 s[36:37], s[10:11]
	v_mov_b32_e32 v24, 0
	s_xor_b64 exec, exec, s[36:37]
	s_cbranch_execz .LBB0_37
; %bb.7:                                ;   in Loop: Header=BB0_4 Depth=1
	v_mov_b32_e32 v24, 0
	s_mov_b64 s[38:39], 0
	v_mov_b32_e32 v6, v18
	s_branch .LBB0_9
.LBB0_8:                                ;   in Loop: Header=BB0_9 Depth=2
	s_or_b64 exec, exec, s[40:41]
	v_add_u32_e32 v6, 1, v6
	v_cmp_ge_i32_e32 vcc, v6, v13
	s_xor_b64 s[10:11], s[10:11], -1
	s_or_b64 s[10:11], s[10:11], vcc
	s_and_b64 s[10:11], exec, s[10:11]
	s_or_b64 s[38:39], s[10:11], s[38:39]
	s_andn2_b64 exec, exec, s[38:39]
	s_cbranch_execz .LBB0_36
.LBB0_9:                                ;   Parent Loop BB0_4 Depth=1
                                        ; =>  This Loop Header: Depth=2
                                        ;       Child Loop BB0_12 Depth 3
                                        ;       Child Loop BB0_16 Depth 3
                                        ;         Child Loop BB0_18 Depth 4
                                        ;         Child Loop BB0_25 Depth 4
                                        ;           Child Loop BB0_27 Depth 5
                                        ;           Child Loop BB0_33 Depth 5
	v_ashrrev_i32_e32 v7, 31, v6
	v_lshlrev_b64 v[7:8], 2, v[6:7]
	v_mov_b32_e32 v9, s27
	v_add_co_u32_e32 v7, vcc, s26, v7
	v_addc_co_u32_e32 v8, vcc, v9, v8, vcc
	global_load_dword v25, v[7:8], off
	v_mov_b32_e32 v11, s17
	s_waitcnt vmcnt(0)
	v_subrev_u32_e32 v7, s33, v25
	v_ashrrev_i32_e32 v8, 31, v7
	v_lshlrev_b64 v[8:9], 2, v[7:8]
	v_add_co_u32_e32 v10, vcc, s16, v8
	v_addc_co_u32_e32 v11, vcc, v11, v9, vcc
	global_load_dword v26, v[10:11], off
	s_waitcnt vmcnt(0)
	v_cmp_ne_u32_e64 s[10:11], -1, v26
	s_and_saveexec_b64 s[40:41], s[10:11]
	s_cbranch_execz .LBB0_8
; %bb.10:                               ;   in Loop: Header=BB0_9 Depth=2
	v_mov_b32_e32 v11, s25
	v_add_co_u32_e32 v10, vcc, s24, v8
	v_addc_co_u32_e32 v11, vcc, v11, v9, vcc
	global_load_dword v10, v[10:11], off
	v_mov_b32_e32 v11, s19
	v_add_co_u32_e32 v8, vcc, s18, v8
	v_addc_co_u32_e32 v9, vcc, v11, v9, vcc
	global_load_dword v11, v[8:9], off glc
	s_waitcnt vmcnt(0)
	v_cmp_eq_u32_e32 vcc, 0, v11
	s_and_saveexec_b64 s[12:13], vcc
	s_cbranch_execz .LBB0_13
; %bb.11:                               ;   in Loop: Header=BB0_9 Depth=2
	s_mov_b64 s[42:43], 0
.LBB0_12:                               ;   Parent Loop BB0_4 Depth=1
                                        ;     Parent Loop BB0_9 Depth=2
                                        ; =>    This Inner Loop Header: Depth=3
	global_load_dword v11, v[8:9], off glc
	s_waitcnt vmcnt(0)
	v_cmp_ne_u32_e32 vcc, 0, v11
	s_or_b64 s[42:43], vcc, s[42:43]
	s_andn2_b64 exec, exec, s[42:43]
	s_cbranch_execnz .LBB0_12
.LBB0_13:                               ;   in Loop: Header=BB0_9 Depth=2
	s_or_b64 exec, exec, s[12:13]
	v_subrev_u32_e32 v27, s33, v10
	v_mul_lo_u32 v8, v6, s51
	v_mul_lo_u32 v28, v7, s50
	;; [unrolled: 1-line block ×4, first 2 shown]
	v_add_u32_e32 v30, v8, v22
	v_add_u32_e32 v32, v8, v23
	v_cmp_le_i32_e64 s[12:13], v27, v26
	s_mov_b32 s53, 0
	buffer_wbinvl1_vol
	s_branch .LBB0_16
.LBB0_14:                               ;   in Loop: Header=BB0_16 Depth=3
	s_or_b64 exec, exec, s[44:45]
.LBB0_15:                               ;   in Loop: Header=BB0_16 Depth=3
	s_or_b64 exec, exec, s[42:43]
	s_waitcnt vmcnt(0)
	v_sub_f32_e32 v9, v34, v35
	v_div_scale_f32 v10, s[42:43], v33, v33, v9
	v_div_scale_f32 v11, vcc, v9, v33, v9
	s_add_i32 s53, s53, 1
	s_cmp_eq_u32 s53, s50
	v_add_u32_e32 v31, 1, v31
	v_rcp_f32_e32 v12, v10
	v_fma_f32 v34, -v10, v12, 1.0
	v_fmac_f32_e32 v12, v34, v12
	v_mul_f32_e32 v34, v11, v12
	v_fma_f32 v35, -v10, v34, v11
	v_fmac_f32_e32 v34, v35, v12
	v_fma_f32 v10, -v10, v34, v11
	v_div_fmas_f32 v10, v10, v12, v34
	v_div_fixup_f32 v9, v10, v33, v9
	v_fmac_f32_e32 v24, v9, v9
	global_store_dword v[7:8], v9, off
	s_cbranch_scc1 .LBB0_8
.LBB0_16:                               ;   Parent Loop BB0_4 Depth=1
                                        ;     Parent Loop BB0_9 Depth=2
                                        ; =>    This Loop Header: Depth=3
                                        ;         Child Loop BB0_18 Depth 4
                                        ;         Child Loop BB0_25 Depth 4
                                        ;           Child Loop BB0_27 Depth 5
                                        ;           Child Loop BB0_33 Depth 5
	s_mul_i32 s54, s53, s50
	s_add_i32 s42, s54, s53
	v_add_u32_e32 v7, s42, v29
	v_ashrrev_i32_e32 v8, 31, v7
	v_lshlrev_b64 v[7:8], 2, v[7:8]
	v_mov_b32_e32 v9, s29
	v_add_co_u32_e32 v7, vcc, s28, v7
	v_addc_co_u32_e32 v8, vcc, v9, v8, vcc
	global_load_dword v7, v[7:8], off
	s_waitcnt vmcnt(0)
	v_cmp_neq_f32_e32 vcc, 0, v7
	v_cndmask_b32_e32 v33, 1.0, v7, vcc
	s_nor_b64 s[44:45], vcc, s[0:1]
	s_and_saveexec_b64 s[42:43], s[44:45]
	s_cbranch_execz .LBB0_22
; %bb.17:                               ;   in Loop: Header=BB0_16 Depth=3
	s_mov_b64 s[44:45], exec
	s_brev_b32 s46, -2
.LBB0_18:                               ;   Parent Loop BB0_4 Depth=1
                                        ;     Parent Loop BB0_9 Depth=2
                                        ;       Parent Loop BB0_16 Depth=3
                                        ; =>      This Inner Loop Header: Depth=4
	s_ff1_i32_b64 s47, s[44:45]
	v_readlane_b32 s55, v25, s47
	s_lshl_b64 s[48:49], 1, s47
	s_min_i32 s46, s46, s55
	s_andn2_b64 s[44:45], s[44:45], s[48:49]
	s_cmp_lg_u64 s[44:45], 0
	s_cbranch_scc1 .LBB0_18
; %bb.19:                               ;   in Loop: Header=BB0_16 Depth=3
	v_mbcnt_lo_u32_b32 v7, exec_lo, 0
	v_mbcnt_hi_u32_b32 v7, exec_hi, v7
	v_cmp_eq_u32_e32 vcc, 0, v7
	s_and_saveexec_b64 s[44:45], vcc
	s_xor_b64 s[44:45], exec, s[44:45]
	s_cbranch_execz .LBB0_21
; %bb.20:                               ;   in Loop: Header=BB0_16 Depth=3
	v_mov_b32_e32 v7, s46
	global_atomic_smin v15, v7, s[22:23]
.LBB0_21:                               ;   in Loop: Header=BB0_16 Depth=3
	s_or_b64 exec, exec, s[44:45]
	v_mov_b32_e32 v33, 1.0
.LBB0_22:                               ;   in Loop: Header=BB0_16 Depth=3
	s_or_b64 exec, exec, s[42:43]
	v_add_u32_e32 v7, s54, v30
	v_add_u32_e32 v8, s53, v32
	v_cndmask_b32_e64 v7, v7, v8, s[2:3]
	v_ashrrev_i32_e32 v8, 31, v7
	v_lshlrev_b64 v[7:8], 2, v[7:8]
	v_mov_b32_e32 v9, s29
	v_add_co_u32_e32 v7, vcc, s28, v7
	v_addc_co_u32_e32 v8, vcc, v9, v8, vcc
	global_load_dword v34, v[7:8], off
	v_mov_b32_e32 v35, 0
	s_and_saveexec_b64 s[42:43], s[12:13]
	s_cbranch_execz .LBB0_15
; %bb.23:                               ;   in Loop: Header=BB0_16 Depth=3
	global_load_dword v36, v[4:5], off
	v_add_u32_e32 v37, s53, v28
	v_mov_b32_e32 v35, 0
	s_mov_b64 s[44:45], 0
	v_mov_b32_e32 v38, v31
	v_mov_b32_e32 v9, v27
	s_branch .LBB0_25
.LBB0_24:                               ;   in Loop: Header=BB0_25 Depth=4
	s_or_b64 exec, exec, s[46:47]
	v_add_u32_e32 v10, 1, v9
	v_cmp_ge_i32_e32 vcc, v9, v26
	v_add_u32_e32 v38, s51, v38
	s_or_b64 s[44:45], vcc, s[44:45]
	v_mov_b32_e32 v9, v10
	s_andn2_b64 exec, exec, s[44:45]
	s_cbranch_execz .LBB0_14
.LBB0_25:                               ;   Parent Loop BB0_4 Depth=1
                                        ;     Parent Loop BB0_9 Depth=2
                                        ;       Parent Loop BB0_16 Depth=3
                                        ; =>      This Loop Header: Depth=4
                                        ;           Child Loop BB0_27 Depth 5
                                        ;           Child Loop BB0_33 Depth 5
	v_ashrrev_i32_e32 v10, 31, v9
	v_lshlrev_b64 v[10:11], 2, v[9:10]
	v_mov_b32_e32 v12, s27
	v_add_co_u32_e32 v10, vcc, s26, v10
	v_addc_co_u32_e32 v11, vcc, v12, v11, vcc
	global_load_dword v12, v[10:11], off
	s_waitcnt vmcnt(1)
	v_mov_b32_e32 v11, v36
	v_mov_b32_e32 v10, v3
	s_and_saveexec_b64 s[46:47], s[8:9]
	s_cbranch_execz .LBB0_29
; %bb.26:                               ;   in Loop: Header=BB0_25 Depth=4
	s_mov_b64 s[48:49], 0
	v_mov_b32_e32 v11, v36
	v_mov_b32_e32 v10, v3
	;; [unrolled: 1-line block ×4, first 2 shown]
.LBB0_27:                               ;   Parent Loop BB0_4 Depth=1
                                        ;     Parent Loop BB0_9 Depth=2
                                        ;       Parent Loop BB0_16 Depth=3
                                        ;         Parent Loop BB0_25 Depth=4
                                        ; =>        This Inner Loop Header: Depth=5
	v_add_u32_e32 v41, 1, v10
	s_waitcnt vmcnt(0)
	v_cmp_lt_i32_e32 vcc, v11, v12
	v_cndmask_b32_e32 v40, v40, v41, vcc
	v_cndmask_b32_e32 v39, v10, v39, vcc
	v_add_u32_e32 v10, v39, v40
	v_ashrrev_i32_e32 v10, 1, v10
	v_ashrrev_i32_e32 v11, 31, v10
	v_lshlrev_b64 v[41:42], 2, v[10:11]
	v_mov_b32_e32 v11, s27
	v_add_co_u32_e32 v41, vcc, s26, v41
	v_addc_co_u32_e32 v42, vcc, v11, v42, vcc
	global_load_dword v11, v[41:42], off
	v_cmp_ge_i32_e32 vcc, v40, v39
	s_or_b64 s[48:49], vcc, s[48:49]
	s_andn2_b64 exec, exec, s[48:49]
	s_cbranch_execnz .LBB0_27
; %bb.28:                               ;   in Loop: Header=BB0_25 Depth=4
	s_or_b64 exec, exec, s[48:49]
.LBB0_29:                               ;   in Loop: Header=BB0_25 Depth=4
	s_or_b64 exec, exec, s[46:47]
	s_waitcnt vmcnt(0)
	v_cmp_eq_u32_e32 vcc, v11, v12
	s_and_saveexec_b64 s[46:47], vcc
	s_cbranch_execz .LBB0_24
; %bb.30:                               ;   in Loop: Header=BB0_25 Depth=4
	v_mul_lo_u32 v11, v9, s51
	v_mul_lo_u32 v10, v10, s51
	v_subrev_u32_e32 v12, s33, v12
	v_mul_lo_u32 v39, v12, s50
	v_add_u32_e32 v40, s54, v11
	v_add_u32_e32 v41, v10, v23
	;; [unrolled: 1-line block ×3, first 2 shown]
	s_mov_b32 s55, 0
	v_mov_b32_e32 v43, v38
	s_branch .LBB0_33
.LBB0_31:                               ;   in Loop: Header=BB0_33 Depth=5
	v_ashrrev_i32_e32 v12, 31, v11
	v_lshlrev_b64 v[11:12], 2, v[11:12]
	v_mov_b32_e32 v45, s29
	v_add_co_u32_e32 v44, vcc, s28, v11
	v_ashrrev_i32_e32 v11, 31, v10
	v_lshlrev_b64 v[10:11], 2, v[10:11]
	v_addc_co_u32_e32 v45, vcc, v45, v12, vcc
	v_mov_b32_e32 v12, s29
	v_add_co_u32_e32 v10, vcc, s28, v10
	v_addc_co_u32_e32 v11, vcc, v12, v11, vcc
	global_load_dword v12, v[44:45], off
	s_nop 0
	global_load_dword v10, v[10:11], off
	s_waitcnt vmcnt(0)
	v_fmac_f32_e32 v35, v12, v10
.LBB0_32:                               ;   in Loop: Header=BB0_33 Depth=5
	s_or_b64 exec, exec, s[48:49]
	s_add_i32 s55, s55, 1
	v_add_u32_e32 v42, s50, v42
	s_cmp_lg_u32 s50, s55
	v_add_u32_e32 v43, s50, v43
	s_cbranch_scc0 .LBB0_24
.LBB0_33:                               ;   Parent Loop BB0_4 Depth=1
                                        ;     Parent Loop BB0_9 Depth=2
                                        ;       Parent Loop BB0_16 Depth=3
                                        ;         Parent Loop BB0_25 Depth=4
                                        ; =>        This Inner Loop Header: Depth=5
	v_add_u32_e32 v10, s55, v39
	v_cmp_lt_i32_e32 vcc, v10, v37
	s_and_saveexec_b64 s[48:49], vcc
	s_cbranch_execz .LBB0_32
; %bb.34:                               ;   in Loop: Header=BB0_33 Depth=5
	s_andn2_b64 vcc, exec, s[2:3]
	v_mov_b32_e32 v10, v42
	v_mov_b32_e32 v11, v43
	s_cbranch_vccnz .LBB0_31
; %bb.35:                               ;   in Loop: Header=BB0_33 Depth=5
	v_add_u32_e32 v11, s55, v40
	v_add_u32_e32 v10, s55, v41
	s_branch .LBB0_31
.LBB0_36:                               ;   in Loop: Header=BB0_4 Depth=1
	s_or_b64 exec, exec, s[38:39]
.LBB0_37:                               ;   in Loop: Header=BB0_4 Depth=1
	s_or_b64 exec, exec, s[36:37]
	v_add_u32_e32 v11, v23, v17
	s_mov_b32 s40, 0
	v_mov_b32_e32 v12, v20
	s_branch .LBB0_40
.LBB0_38:                               ;   in Loop: Header=BB0_40 Depth=2
	s_waitcnt vmcnt(0)
	v_sub_f32_e32 v8, v27, v28
	v_div_scale_f32 v9, s[12:13], v26, v26, v8
	v_div_scale_f32 v10, vcc, v8, v26, v8
	v_rcp_f32_e32 v25, v9
	v_fma_f32 v27, -v9, v25, 1.0
	v_fmac_f32_e32 v25, v27, v25
	v_mul_f32_e32 v27, v10, v25
	v_fma_f32 v28, -v9, v27, v10
	v_fmac_f32_e32 v27, v28, v25
	v_fma_f32 v9, -v9, v27, v10
	v_div_fmas_f32 v9, v9, v25, v27
	v_div_fixup_f32 v8, v9, v26, v8
	v_fmac_f32_e32 v24, v8, v8
	global_store_dword v[6:7], v8, off
.LBB0_39:                               ;   in Loop: Header=BB0_40 Depth=2
	s_or_b64 exec, exec, s[10:11]
	s_add_i32 s40, s40, 1
	s_cmp_eq_u32 s40, s50
	v_add_u32_e32 v12, 1, v12
	s_waitcnt vmcnt(0)
	buffer_wbinvl1_vol
	s_cbranch_scc1 .LBB0_3
.LBB0_40:                               ;   Parent Loop BB0_4 Depth=1
                                        ; =>  This Loop Header: Depth=2
                                        ;       Child Loop BB0_44 Depth 3
                                        ;       Child Loop BB0_52 Depth 3
                                        ;         Child Loop BB0_54 Depth 4
                                        ;       Child Loop BB0_62 Depth 3
	s_mul_i32 s41, s40, s50
	v_add_u32_e32 v25, s41, v17
	v_add_u32_e32 v6, s40, v25
	v_ashrrev_i32_e32 v7, 31, v6
	v_lshlrev_b64 v[6:7], 2, v[6:7]
	v_cmp_eq_u32_e32 vcc, s40, v22
	s_and_saveexec_b64 s[12:13], vcc
	s_cbranch_execz .LBB0_42
; %bb.41:                               ;   in Loop: Header=BB0_40 Depth=2
	v_mov_b32_e32 v9, s29
	v_add_co_u32_e32 v8, vcc, s28, v6
	v_addc_co_u32_e32 v9, vcc, v9, v7, vcc
	global_load_dword v10, v[8:9], off
	s_waitcnt vmcnt(0)
	v_sub_f32_e32 v10, v10, v24
	v_cmp_gt_f32_e32 vcc, 0, v10
	v_cndmask_b32_e64 v10, v10, -v10, vcc
	v_mul_f32_e32 v26, 0x4f800000, v10
	v_cmp_gt_f32_e32 vcc, s52, v10
	v_cndmask_b32_e32 v10, v10, v26, vcc
	v_sqrt_f32_e32 v26, v10
	v_add_u32_e32 v27, -1, v26
	v_add_u32_e32 v28, 1, v26
	v_fma_f32 v29, -v27, v26, v10
	v_fma_f32 v30, -v28, v26, v10
	v_cmp_ge_f32_e64 s[10:11], 0, v29
	v_cndmask_b32_e64 v26, v26, v27, s[10:11]
	v_cmp_lt_f32_e64 s[10:11], 0, v30
	v_cndmask_b32_e64 v26, v26, v28, s[10:11]
	v_mul_f32_e32 v27, 0x37800000, v26
	v_cndmask_b32_e32 v26, v26, v27, vcc
	v_cmp_class_f32_e32 vcc, v10, v16
	v_cndmask_b32_e32 v10, v26, v10, vcc
	global_store_dword v[8:9], v10, off
.LBB0_42:                               ;   in Loop: Header=BB0_40 Depth=2
	s_or_b64 exec, exec, s[12:13]
	v_mov_b32_e32 v8, s29
	v_add_co_u32_e32 v6, vcc, s28, v6
	v_addc_co_u32_e32 v7, vcc, v8, v7, vcc
	s_waitcnt vmcnt(0)
	buffer_wbinvl1_vol
	global_load_dword v6, v[6:7], off
	s_waitcnt vmcnt(0)
	v_cmp_neq_f32_e32 vcc, 0, v6
	v_cndmask_b32_e32 v26, 1.0, v6, vcc
	s_nor_b64 s[12:13], vcc, s[0:1]
	s_and_saveexec_b64 s[10:11], s[12:13]
	s_cbranch_execz .LBB0_48
; %bb.43:                               ;   in Loop: Header=BB0_40 Depth=2
	s_mov_b64 s[12:13], exec
	s_brev_b32 s36, -2
.LBB0_44:                               ;   Parent Loop BB0_4 Depth=1
                                        ;     Parent Loop BB0_40 Depth=2
                                        ; =>    This Inner Loop Header: Depth=3
	s_ff1_i32_b64 s37, s[12:13]
	v_readlane_b32 s42, v14, s37
	s_lshl_b64 s[38:39], 1, s37
	s_min_i32 s36, s36, s42
	s_andn2_b64 s[12:13], s[12:13], s[38:39]
	s_cmp_lg_u64 s[12:13], 0
	s_cbranch_scc1 .LBB0_44
; %bb.45:                               ;   in Loop: Header=BB0_40 Depth=2
	v_mbcnt_lo_u32_b32 v6, exec_lo, 0
	v_mbcnt_hi_u32_b32 v6, exec_hi, v6
	v_cmp_eq_u32_e32 vcc, 0, v6
	s_and_saveexec_b64 s[12:13], vcc
	s_xor_b64 s[12:13], exec, s[12:13]
	s_cbranch_execz .LBB0_47
; %bb.46:                               ;   in Loop: Header=BB0_40 Depth=2
	v_mov_b32_e32 v6, s36
	global_atomic_smin v15, v6, s[22:23]
.LBB0_47:                               ;   in Loop: Header=BB0_40 Depth=2
	s_or_b64 exec, exec, s[12:13]
	v_mov_b32_e32 v26, 1.0
.LBB0_48:                               ;   in Loop: Header=BB0_40 Depth=2
	s_or_b64 exec, exec, s[10:11]
	v_cmp_lt_i32_e32 vcc, s40, v22
	s_and_saveexec_b64 s[10:11], vcc
	s_cbranch_execz .LBB0_39
; %bb.49:                               ;   in Loop: Header=BB0_40 Depth=2
	v_add_u32_e32 v6, v25, v22
	v_add_u32_e32 v7, s40, v11
	v_cndmask_b32_e64 v6, v6, v7, s[2:3]
	v_ashrrev_i32_e32 v7, 31, v6
	v_lshlrev_b64 v[6:7], 2, v[6:7]
	v_mov_b32_e32 v8, s29
	v_add_co_u32_e32 v6, vcc, s28, v6
	v_addc_co_u32_e32 v7, vcc, v8, v7, vcc
	global_load_dword v27, v[6:7], off
	v_mov_b32_e32 v28, 0
	s_and_saveexec_b64 s[12:13], s[4:5]
	s_cbranch_execz .LBB0_59
; %bb.50:                               ;   in Loop: Header=BB0_40 Depth=2
	v_mov_b32_e32 v28, 0
	s_mov_b64 s[36:37], 0
	v_mov_b32_e32 v29, v12
	v_mov_b32_e32 v30, v21
	;; [unrolled: 1-line block ×3, first 2 shown]
	s_branch .LBB0_52
.LBB0_51:                               ;   in Loop: Header=BB0_52 Depth=3
	v_add_u32_e32 v31, 1, v31
	v_cmp_ge_i32_e32 vcc, v31, v13
	v_add_u32_e32 v30, s51, v30
	s_or_b64 s[36:37], vcc, s[36:37]
	v_add_u32_e32 v29, s51, v29
	s_andn2_b64 exec, exec, s[36:37]
	s_cbranch_execz .LBB0_58
.LBB0_52:                               ;   Parent Loop BB0_4 Depth=1
                                        ;     Parent Loop BB0_40 Depth=2
                                        ; =>    This Loop Header: Depth=3
                                        ;         Child Loop BB0_54 Depth 4
	v_mul_lo_u32 v8, v31, s51
	s_mov_b32 s42, 0
	s_mov_b32 s43, s50
	;; [unrolled: 1-line block ×3, first 2 shown]
	v_add_u32_e32 v32, s41, v8
	v_add_u32_e32 v33, v8, v23
	s_branch .LBB0_54
.LBB0_53:                               ;   in Loop: Header=BB0_54 Depth=4
	v_ashrrev_i32_e32 v10, 31, v9
	v_lshlrev_b64 v[9:10], 2, v[9:10]
	v_mov_b32_e32 v36, s29
	v_add_co_u32_e32 v34, vcc, s28, v9
	v_ashrrev_i32_e32 v9, 31, v8
	v_lshlrev_b64 v[8:9], 2, v[8:9]
	v_addc_co_u32_e32 v35, vcc, v36, v10, vcc
	v_add_co_u32_e32 v8, vcc, s28, v8
	v_addc_co_u32_e32 v9, vcc, v36, v9, vcc
	global_load_dword v10, v[34:35], off
	global_load_dword v36, v[8:9], off
	s_add_i32 s44, s44, 1
	s_add_i32 s42, s42, s50
	s_add_i32 s43, s43, -1
	s_cmp_eq_u32 s43, 0
	s_waitcnt vmcnt(0)
	v_fmac_f32_e32 v28, v10, v36
	s_cbranch_scc1 .LBB0_51
.LBB0_54:                               ;   Parent Loop BB0_4 Depth=1
                                        ;     Parent Loop BB0_40 Depth=2
                                        ;       Parent Loop BB0_52 Depth=3
                                        ; =>      This Inner Loop Header: Depth=4
	s_mov_b64 s[38:39], -1
	s_and_b64 vcc, exec, s[34:35]
                                        ; implicit-def: $vgpr9
                                        ; implicit-def: $vgpr8
	s_cbranch_vccz .LBB0_56
; %bb.55:                               ;   in Loop: Header=BB0_54 Depth=4
	v_add_u32_e32 v9, s42, v29
	v_add_u32_e32 v8, s42, v30
	s_mov_b64 s[38:39], 0
.LBB0_56:                               ;   in Loop: Header=BB0_54 Depth=4
	s_andn2_b64 vcc, exec, s[38:39]
	s_cbranch_vccnz .LBB0_53
; %bb.57:                               ;   in Loop: Header=BB0_54 Depth=4
	v_add_u32_e32 v9, s44, v32
	v_add_u32_e32 v8, s44, v33
	s_branch .LBB0_53
.LBB0_58:                               ;   in Loop: Header=BB0_40 Depth=2
	s_or_b64 exec, exec, s[36:37]
.LBB0_59:                               ;   in Loop: Header=BB0_40 Depth=2
	s_or_b64 exec, exec, s[12:13]
	s_cmp_eq_u32 s40, 0
	s_cbranch_scc1 .LBB0_38
; %bb.60:                               ;   in Loop: Header=BB0_40 Depth=2
	s_mov_b32 s36, 0
	v_mov_b32_e32 v29, v17
	s_branch .LBB0_62
.LBB0_61:                               ;   in Loop: Header=BB0_62 Depth=3
	v_ashrrev_i32_e32 v10, 31, v9
	v_lshlrev_b64 v[9:10], 2, v[9:10]
	v_mov_b32_e32 v32, s29
	v_add_co_u32_e32 v30, vcc, s28, v9
	v_ashrrev_i32_e32 v9, 31, v8
	v_lshlrev_b64 v[8:9], 2, v[8:9]
	v_addc_co_u32_e32 v31, vcc, v32, v10, vcc
	v_add_co_u32_e32 v8, vcc, s28, v8
	v_addc_co_u32_e32 v9, vcc, v32, v9, vcc
	global_load_dword v10, v[30:31], off
	global_load_dword v32, v[8:9], off
	s_add_i32 s36, s36, 1
	s_cmp_eq_u32 s40, s36
	v_add_u32_e32 v29, s50, v29
	s_waitcnt vmcnt(0)
	v_fmac_f32_e32 v28, v10, v32
	s_cbranch_scc1 .LBB0_38
.LBB0_62:                               ;   Parent Loop BB0_4 Depth=1
                                        ;     Parent Loop BB0_40 Depth=2
                                        ; =>    This Inner Loop Header: Depth=3
	s_mov_b64 s[12:13], -1
	s_and_b64 vcc, exec, s[34:35]
                                        ; implicit-def: $vgpr9
                                        ; implicit-def: $vgpr8
	s_cbranch_vccz .LBB0_64
; %bb.63:                               ;   in Loop: Header=BB0_62 Depth=3
	v_add_u32_e32 v9, s40, v29
	v_add_u32_e32 v8, v22, v29
	s_mov_b64 s[12:13], 0
.LBB0_64:                               ;   in Loop: Header=BB0_62 Depth=3
	s_andn2_b64 vcc, exec, s[12:13]
	s_cbranch_vccnz .LBB0_61
; %bb.65:                               ;   in Loop: Header=BB0_62 Depth=3
	v_add_u32_e32 v9, s36, v25
	v_add_u32_e32 v8, s36, v11
	s_branch .LBB0_61
.LBB0_66:
	s_or_b64 exec, exec, s[20:21]
	v_cmp_eq_u32_e32 vcc, 31, v0
	s_and_saveexec_b64 s[0:1], vcc
	s_cbranch_execz .LBB0_68
; %bb.67:
	v_mov_b32_e32 v3, s19
	v_add_co_u32_e32 v0, vcc, s18, v1
	v_addc_co_u32_e32 v1, vcc, v3, v2, vcc
	v_mov_b32_e32 v2, 1
	global_store_dword v[0:1], v2, off
.LBB0_68:
	s_or_b64 exec, exec, s[0:1]
                                        ; implicit-def: $vgpr0
                                        ; implicit-def: $vgpr1_vgpr2
                                        ; implicit-def: $vgpr3_vgpr4
.LBB0_69:
	s_andn2_saveexec_b64 s[0:1], s[14:15]
	s_cbranch_execz .LBB0_76
; %bb.70:
	v_cmp_eq_u32_e32 vcc, 31, v0
	s_and_saveexec_b64 s[0:1], vcc
	s_cbranch_execz .LBB0_76
; %bb.71:
	s_mov_b64 s[0:1], exec
	v_add_u32_e32 v0, s33, v3
	s_brev_b32 s2, -2
.LBB0_72:                               ; =>This Inner Loop Header: Depth=1
	s_ff1_i32_b64 s3, s[0:1]
	v_readlane_b32 s6, v0, s3
	s_lshl_b64 s[4:5], 1, s3
	s_min_i32 s2, s2, s6
	s_andn2_b64 s[0:1], s[0:1], s[4:5]
	s_cmp_lg_u64 s[0:1], 0
	s_cbranch_scc1 .LBB0_72
; %bb.73:
	v_mbcnt_lo_u32_b32 v0, exec_lo, 0
	v_mbcnt_hi_u32_b32 v0, exec_hi, v0
	v_cmp_eq_u32_e32 vcc, 0, v0
	s_and_saveexec_b64 s[0:1], vcc
	s_xor_b64 s[0:1], exec, s[0:1]
	s_cbranch_execz .LBB0_75
; %bb.74:
	v_mov_b32_e32 v0, 0
	v_mov_b32_e32 v3, s2
	global_atomic_smin v0, v3, s[22:23]
.LBB0_75:
	s_or_b64 exec, exec, s[0:1]
	v_mov_b32_e32 v3, s19
	v_add_co_u32_e32 v0, vcc, s18, v1
	v_addc_co_u32_e32 v1, vcc, v3, v2, vcc
	v_mov_b32_e32 v2, 1
	s_waitcnt vmcnt(0)
	global_store_dword v[0:1], v2, off
.LBB0_76:
	s_endpgm
	.section	.rodata,"a",@progbits
	.p2align	6, 0x0
	.amdhsa_kernel _ZN9rocsparseL23bsric0_binsearch_kernelILj32ELj32ELb0EfEEv20rocsparse_direction_iiPKiS3_PT2_S3_PiS3_S6_21rocsparse_index_base_
		.amdhsa_group_segment_fixed_size 0
		.amdhsa_private_segment_fixed_size 0
		.amdhsa_kernarg_size 76
		.amdhsa_user_sgpr_count 6
		.amdhsa_user_sgpr_private_segment_buffer 1
		.amdhsa_user_sgpr_dispatch_ptr 0
		.amdhsa_user_sgpr_queue_ptr 0
		.amdhsa_user_sgpr_kernarg_segment_ptr 1
		.amdhsa_user_sgpr_dispatch_id 0
		.amdhsa_user_sgpr_flat_scratch_init 0
		.amdhsa_user_sgpr_private_segment_size 0
		.amdhsa_uses_dynamic_stack 0
		.amdhsa_system_sgpr_private_segment_wavefront_offset 0
		.amdhsa_system_sgpr_workgroup_id_x 1
		.amdhsa_system_sgpr_workgroup_id_y 0
		.amdhsa_system_sgpr_workgroup_id_z 0
		.amdhsa_system_sgpr_workgroup_info 0
		.amdhsa_system_vgpr_workitem_id 0
		.amdhsa_next_free_vgpr 46
		.amdhsa_next_free_sgpr 56
		.amdhsa_reserve_vcc 1
		.amdhsa_reserve_flat_scratch 0
		.amdhsa_float_round_mode_32 0
		.amdhsa_float_round_mode_16_64 0
		.amdhsa_float_denorm_mode_32 3
		.amdhsa_float_denorm_mode_16_64 3
		.amdhsa_dx10_clamp 1
		.amdhsa_ieee_mode 1
		.amdhsa_fp16_overflow 0
		.amdhsa_exception_fp_ieee_invalid_op 0
		.amdhsa_exception_fp_denorm_src 0
		.amdhsa_exception_fp_ieee_div_zero 0
		.amdhsa_exception_fp_ieee_overflow 0
		.amdhsa_exception_fp_ieee_underflow 0
		.amdhsa_exception_fp_ieee_inexact 0
		.amdhsa_exception_int_div_zero 0
	.end_amdhsa_kernel
	.section	.text._ZN9rocsparseL23bsric0_binsearch_kernelILj32ELj32ELb0EfEEv20rocsparse_direction_iiPKiS3_PT2_S3_PiS3_S6_21rocsparse_index_base_,"axG",@progbits,_ZN9rocsparseL23bsric0_binsearch_kernelILj32ELj32ELb0EfEEv20rocsparse_direction_iiPKiS3_PT2_S3_PiS3_S6_21rocsparse_index_base_,comdat
.Lfunc_end0:
	.size	_ZN9rocsparseL23bsric0_binsearch_kernelILj32ELj32ELb0EfEEv20rocsparse_direction_iiPKiS3_PT2_S3_PiS3_S6_21rocsparse_index_base_, .Lfunc_end0-_ZN9rocsparseL23bsric0_binsearch_kernelILj32ELj32ELb0EfEEv20rocsparse_direction_iiPKiS3_PT2_S3_PiS3_S6_21rocsparse_index_base_
                                        ; -- End function
	.set _ZN9rocsparseL23bsric0_binsearch_kernelILj32ELj32ELb0EfEEv20rocsparse_direction_iiPKiS3_PT2_S3_PiS3_S6_21rocsparse_index_base_.num_vgpr, 46
	.set _ZN9rocsparseL23bsric0_binsearch_kernelILj32ELj32ELb0EfEEv20rocsparse_direction_iiPKiS3_PT2_S3_PiS3_S6_21rocsparse_index_base_.num_agpr, 0
	.set _ZN9rocsparseL23bsric0_binsearch_kernelILj32ELj32ELb0EfEEv20rocsparse_direction_iiPKiS3_PT2_S3_PiS3_S6_21rocsparse_index_base_.numbered_sgpr, 56
	.set _ZN9rocsparseL23bsric0_binsearch_kernelILj32ELj32ELb0EfEEv20rocsparse_direction_iiPKiS3_PT2_S3_PiS3_S6_21rocsparse_index_base_.num_named_barrier, 0
	.set _ZN9rocsparseL23bsric0_binsearch_kernelILj32ELj32ELb0EfEEv20rocsparse_direction_iiPKiS3_PT2_S3_PiS3_S6_21rocsparse_index_base_.private_seg_size, 0
	.set _ZN9rocsparseL23bsric0_binsearch_kernelILj32ELj32ELb0EfEEv20rocsparse_direction_iiPKiS3_PT2_S3_PiS3_S6_21rocsparse_index_base_.uses_vcc, 1
	.set _ZN9rocsparseL23bsric0_binsearch_kernelILj32ELj32ELb0EfEEv20rocsparse_direction_iiPKiS3_PT2_S3_PiS3_S6_21rocsparse_index_base_.uses_flat_scratch, 0
	.set _ZN9rocsparseL23bsric0_binsearch_kernelILj32ELj32ELb0EfEEv20rocsparse_direction_iiPKiS3_PT2_S3_PiS3_S6_21rocsparse_index_base_.has_dyn_sized_stack, 0
	.set _ZN9rocsparseL23bsric0_binsearch_kernelILj32ELj32ELb0EfEEv20rocsparse_direction_iiPKiS3_PT2_S3_PiS3_S6_21rocsparse_index_base_.has_recursion, 0
	.set _ZN9rocsparseL23bsric0_binsearch_kernelILj32ELj32ELb0EfEEv20rocsparse_direction_iiPKiS3_PT2_S3_PiS3_S6_21rocsparse_index_base_.has_indirect_call, 0
	.section	.AMDGPU.csdata,"",@progbits
; Kernel info:
; codeLenInByte = 2600
; TotalNumSgprs: 60
; NumVgprs: 46
; ScratchSize: 0
; MemoryBound: 0
; FloatMode: 240
; IeeeMode: 1
; LDSByteSize: 0 bytes/workgroup (compile time only)
; SGPRBlocks: 7
; VGPRBlocks: 11
; NumSGPRsForWavesPerEU: 60
; NumVGPRsForWavesPerEU: 46
; Occupancy: 5
; WaveLimiterHint : 1
; COMPUTE_PGM_RSRC2:SCRATCH_EN: 0
; COMPUTE_PGM_RSRC2:USER_SGPR: 6
; COMPUTE_PGM_RSRC2:TRAP_HANDLER: 0
; COMPUTE_PGM_RSRC2:TGID_X_EN: 1
; COMPUTE_PGM_RSRC2:TGID_Y_EN: 0
; COMPUTE_PGM_RSRC2:TGID_Z_EN: 0
; COMPUTE_PGM_RSRC2:TIDIG_COMP_CNT: 0
	.section	.text._ZN9rocsparseL23bsric0_binsearch_kernelILj64ELj64ELb1EfEEv20rocsparse_direction_iiPKiS3_PT2_S3_PiS3_S6_21rocsparse_index_base_,"axG",@progbits,_ZN9rocsparseL23bsric0_binsearch_kernelILj64ELj64ELb1EfEEv20rocsparse_direction_iiPKiS3_PT2_S3_PiS3_S6_21rocsparse_index_base_,comdat
	.globl	_ZN9rocsparseL23bsric0_binsearch_kernelILj64ELj64ELb1EfEEv20rocsparse_direction_iiPKiS3_PT2_S3_PiS3_S6_21rocsparse_index_base_ ; -- Begin function _ZN9rocsparseL23bsric0_binsearch_kernelILj64ELj64ELb1EfEEv20rocsparse_direction_iiPKiS3_PT2_S3_PiS3_S6_21rocsparse_index_base_
	.p2align	8
	.type	_ZN9rocsparseL23bsric0_binsearch_kernelILj64ELj64ELb1EfEEv20rocsparse_direction_iiPKiS3_PT2_S3_PiS3_S6_21rocsparse_index_base_,@function
_ZN9rocsparseL23bsric0_binsearch_kernelILj64ELj64ELb1EfEEv20rocsparse_direction_iiPKiS3_PT2_S3_PiS3_S6_21rocsparse_index_base_: ; @_ZN9rocsparseL23bsric0_binsearch_kernelILj64ELj64ELb1EfEEv20rocsparse_direction_iiPKiS3_PT2_S3_PiS3_S6_21rocsparse_index_base_
; %bb.0:
	s_load_dwordx8 s[16:23], s[4:5], 0x28
	s_ashr_i32 s7, s6, 31
	s_lshl_b64 s[0:1], s[6:7], 2
	v_mov_b32_e32 v1, 0
	s_load_dword s33, s[4:5], 0x48
	s_waitcnt lgkmcnt(0)
	s_add_u32 s0, s20, s0
	s_addc_u32 s1, s21, s1
	global_load_dword v3, v1, s[0:1]
	v_mov_b32_e32 v5, s17
	s_waitcnt vmcnt(0)
	v_ashrrev_i32_e32 v4, 31, v3
	v_lshlrev_b64 v[1:2], 2, v[3:4]
	v_add_co_u32_e32 v4, vcc, s16, v1
	v_addc_co_u32_e32 v5, vcc, v5, v2, vcc
	global_load_dword v13, v[4:5], off
	s_waitcnt vmcnt(0)
	v_readfirstlane_b32 s0, v13
	s_cmp_lg_u32 s0, -1
	s_cselect_b64 s[0:1], -1, 0
	s_and_saveexec_b64 s[2:3], s[0:1]
	s_xor_b64 s[14:15], exec, s[2:3]
	s_cbranch_execz .LBB1_71
; %bb.1:
	s_load_dword s50, s[4:5], 0x8
	s_waitcnt lgkmcnt(0)
	v_cmp_gt_i32_e32 vcc, s50, v0
	s_and_saveexec_b64 s[20:21], vcc
	s_cbranch_execz .LBB1_68
; %bb.2:
	s_load_dwordx4 s[24:27], s[4:5], 0x10
	s_load_dword s6, s[4:5], 0x0
	v_add_u32_e32 v14, s33, v3
	s_mul_i32 s51, s50, s50
	s_load_dwordx2 s[28:29], s[4:5], 0x20
	s_waitcnt lgkmcnt(0)
	v_mov_b32_e32 v5, s25
	v_add_co_u32_e32 v4, vcc, s24, v1
	v_addc_co_u32_e32 v5, vcc, v5, v2, vcc
	global_load_dwordx2 v[4:5], v[4:5], off
	v_mul_lo_u32 v17, v13, s51
	s_cmp_eq_u32 s6, 0
	v_mov_b32_e32 v6, s27
	s_cselect_b64 s[2:3], -1, 0
	s_cmp_lg_u32 s6, 0
	v_cmp_ne_u32_e64 s[0:1], 0, v0
	s_mov_b64 s[30:31], 0
	v_mov_b32_e32 v15, 0
	s_mov_b32 s52, 0xf800000
	v_mov_b32_e32 v16, 0x260
	s_cselect_b64 s[34:35], -1, 0
	v_mov_b32_e32 v22, v0
	s_waitcnt vmcnt(0)
	v_subrev_u32_e32 v18, s33, v4
	v_xad_u32 v19, s33, -1, v5
	v_add_u32_e32 v3, v19, v18
	v_ashrrev_i32_e32 v3, 1, v3
	v_mul_lo_u32 v20, s51, v18
	v_ashrrev_i32_e32 v4, 31, v3
	v_lshlrev_b64 v[4:5], 2, v[3:4]
	v_cmp_lt_i32_e64 s[4:5], v18, v13
	v_add_co_u32_e32 v4, vcc, s26, v4
	v_cmp_ge_i32_e64 s[6:7], v18, v13
	v_cmp_lt_i32_e64 s[8:9], v18, v19
	v_add_u32_e32 v21, v20, v0
	v_addc_co_u32_e32 v5, vcc, v6, v5, vcc
	s_branch .LBB1_4
.LBB1_3:                                ;   in Loop: Header=BB1_4 Depth=1
	v_add_u32_e32 v22, 64, v22
	v_cmp_le_i32_e32 vcc, s50, v22
	s_or_b64 s[30:31], vcc, s[30:31]
	v_add_u32_e32 v21, 64, v21
	s_andn2_b64 exec, exec, s[30:31]
	s_cbranch_execz .LBB1_68
.LBB1_4:                                ; =>This Loop Header: Depth=1
                                        ;     Child Loop BB1_9 Depth 2
                                        ;       Child Loop BB1_13 Depth 3
                                        ;         Child Loop BB1_14 Depth 4
                                        ;       Child Loop BB1_18 Depth 3
                                        ;         Child Loop BB1_20 Depth 4
                                        ;         Child Loop BB1_27 Depth 4
                                        ;           Child Loop BB1_29 Depth 5
                                        ;           Child Loop BB1_35 Depth 5
                                        ;     Child Loop BB1_42 Depth 2
                                        ;       Child Loop BB1_46 Depth 3
                                        ;       Child Loop BB1_54 Depth 3
                                        ;         Child Loop BB1_56 Depth 4
                                        ;       Child Loop BB1_64 Depth 3
	v_mul_lo_u32 v23, v22, s50
	s_and_saveexec_b64 s[10:11], s[6:7]
	s_xor_b64 s[10:11], exec, s[10:11]
; %bb.5:                                ;   in Loop: Header=BB1_4 Depth=1
	v_mul_lo_u32 v23, v22, s50
; %bb.6:                                ;   in Loop: Header=BB1_4 Depth=1
	s_or_saveexec_b64 s[36:37], s[10:11]
	v_mov_b32_e32 v24, 0
	s_xor_b64 exec, exec, s[36:37]
	s_cbranch_execz .LBB1_39
; %bb.7:                                ;   in Loop: Header=BB1_4 Depth=1
	v_mov_b32_e32 v24, 0
	s_mov_b64 s[38:39], 0
	v_mov_b32_e32 v6, v18
	s_branch .LBB1_9
.LBB1_8:                                ;   in Loop: Header=BB1_9 Depth=2
	s_or_b64 exec, exec, s[40:41]
	v_add_u32_e32 v6, 1, v6
	v_cmp_ge_i32_e32 vcc, v6, v13
	s_xor_b64 s[10:11], s[10:11], -1
	s_or_b64 s[10:11], s[10:11], vcc
	s_and_b64 s[10:11], exec, s[10:11]
	s_or_b64 s[38:39], s[10:11], s[38:39]
	s_andn2_b64 exec, exec, s[38:39]
	s_cbranch_execz .LBB1_38
.LBB1_9:                                ;   Parent Loop BB1_4 Depth=1
                                        ; =>  This Loop Header: Depth=2
                                        ;       Child Loop BB1_13 Depth 3
                                        ;         Child Loop BB1_14 Depth 4
                                        ;       Child Loop BB1_18 Depth 3
                                        ;         Child Loop BB1_20 Depth 4
                                        ;         Child Loop BB1_27 Depth 4
                                        ;           Child Loop BB1_29 Depth 5
                                        ;           Child Loop BB1_35 Depth 5
	v_ashrrev_i32_e32 v7, 31, v6
	v_lshlrev_b64 v[7:8], 2, v[6:7]
	v_mov_b32_e32 v9, s27
	v_add_co_u32_e32 v7, vcc, s26, v7
	v_addc_co_u32_e32 v8, vcc, v9, v8, vcc
	global_load_dword v25, v[7:8], off
	v_mov_b32_e32 v11, s17
	s_waitcnt vmcnt(0)
	v_subrev_u32_e32 v7, s33, v25
	v_ashrrev_i32_e32 v8, 31, v7
	v_lshlrev_b64 v[8:9], 2, v[7:8]
	v_add_co_u32_e32 v10, vcc, s16, v8
	v_addc_co_u32_e32 v11, vcc, v11, v9, vcc
	global_load_dword v26, v[10:11], off
	s_waitcnt vmcnt(0)
	v_cmp_ne_u32_e64 s[10:11], -1, v26
	s_and_saveexec_b64 s[40:41], s[10:11]
	s_cbranch_execz .LBB1_8
; %bb.10:                               ;   in Loop: Header=BB1_9 Depth=2
	v_mov_b32_e32 v11, s25
	v_add_co_u32_e32 v10, vcc, s24, v8
	v_addc_co_u32_e32 v11, vcc, v11, v9, vcc
	global_load_dword v10, v[10:11], off
	v_mov_b32_e32 v11, s19
	v_add_co_u32_e32 v8, vcc, s18, v8
	v_addc_co_u32_e32 v9, vcc, v11, v9, vcc
	global_load_dword v11, v[8:9], off glc
	s_waitcnt vmcnt(0)
	v_cmp_eq_u32_e32 vcc, 0, v11
	s_and_saveexec_b64 s[12:13], vcc
	s_cbranch_execz .LBB1_15
; %bb.11:                               ;   in Loop: Header=BB1_9 Depth=2
	s_mov_b32 s44, 0
	s_mov_b64 s[42:43], 0
	s_branch .LBB1_13
.LBB1_12:                               ;   in Loop: Header=BB1_13 Depth=3
	global_load_dword v11, v[8:9], off glc
	s_cmpk_lt_u32 s44, 0xf43
	s_cselect_b64 s[46:47], -1, 0
	s_cmp_lg_u64 s[46:47], 0
	s_addc_u32 s44, s44, 0
	s_waitcnt vmcnt(0)
	v_cmp_ne_u32_e32 vcc, 0, v11
	s_or_b64 s[42:43], vcc, s[42:43]
	s_andn2_b64 exec, exec, s[42:43]
	s_cbranch_execz .LBB1_15
.LBB1_13:                               ;   Parent Loop BB1_4 Depth=1
                                        ;     Parent Loop BB1_9 Depth=2
                                        ; =>    This Loop Header: Depth=3
                                        ;         Child Loop BB1_14 Depth 4
	s_cmp_eq_u32 s44, 0
	s_mov_b32 s45, s44
	s_cbranch_scc1 .LBB1_12
.LBB1_14:                               ;   Parent Loop BB1_4 Depth=1
                                        ;     Parent Loop BB1_9 Depth=2
                                        ;       Parent Loop BB1_13 Depth=3
                                        ; =>      This Inner Loop Header: Depth=4
	s_add_i32 s45, s45, -1
	s_cmp_eq_u32 s45, 0
	s_sleep 1
	s_cbranch_scc0 .LBB1_14
	s_branch .LBB1_12
.LBB1_15:                               ;   in Loop: Header=BB1_9 Depth=2
	s_or_b64 exec, exec, s[12:13]
	v_subrev_u32_e32 v27, s33, v10
	v_mul_lo_u32 v8, v6, s51
	v_mul_lo_u32 v28, v7, s50
	;; [unrolled: 1-line block ×4, first 2 shown]
	v_add_u32_e32 v30, v8, v22
	v_add_u32_e32 v32, v8, v23
	v_cmp_le_i32_e64 s[12:13], v27, v26
	s_mov_b32 s53, 0
	buffer_wbinvl1_vol
	s_branch .LBB1_18
.LBB1_16:                               ;   in Loop: Header=BB1_18 Depth=3
	s_or_b64 exec, exec, s[44:45]
.LBB1_17:                               ;   in Loop: Header=BB1_18 Depth=3
	s_or_b64 exec, exec, s[42:43]
	s_waitcnt vmcnt(0)
	v_sub_f32_e32 v9, v34, v35
	v_div_scale_f32 v10, s[42:43], v33, v33, v9
	v_div_scale_f32 v11, vcc, v9, v33, v9
	s_add_i32 s53, s53, 1
	s_cmp_eq_u32 s53, s50
	v_add_u32_e32 v31, 1, v31
	v_rcp_f32_e32 v12, v10
	v_fma_f32 v34, -v10, v12, 1.0
	v_fmac_f32_e32 v12, v34, v12
	v_mul_f32_e32 v34, v11, v12
	v_fma_f32 v35, -v10, v34, v11
	v_fmac_f32_e32 v34, v35, v12
	v_fma_f32 v10, -v10, v34, v11
	v_div_fmas_f32 v10, v10, v12, v34
	v_div_fixup_f32 v9, v10, v33, v9
	v_fmac_f32_e32 v24, v9, v9
	global_store_dword v[7:8], v9, off
	s_cbranch_scc1 .LBB1_8
.LBB1_18:                               ;   Parent Loop BB1_4 Depth=1
                                        ;     Parent Loop BB1_9 Depth=2
                                        ; =>    This Loop Header: Depth=3
                                        ;         Child Loop BB1_20 Depth 4
                                        ;         Child Loop BB1_27 Depth 4
                                        ;           Child Loop BB1_29 Depth 5
                                        ;           Child Loop BB1_35 Depth 5
	s_mul_i32 s54, s53, s50
	s_add_i32 s42, s54, s53
	v_add_u32_e32 v7, s42, v29
	v_ashrrev_i32_e32 v8, 31, v7
	v_lshlrev_b64 v[7:8], 2, v[7:8]
	v_mov_b32_e32 v9, s29
	v_add_co_u32_e32 v7, vcc, s28, v7
	v_addc_co_u32_e32 v8, vcc, v9, v8, vcc
	global_load_dword v7, v[7:8], off
	s_waitcnt vmcnt(0)
	v_cmp_neq_f32_e32 vcc, 0, v7
	v_cndmask_b32_e32 v33, 1.0, v7, vcc
	s_nor_b64 s[44:45], vcc, s[0:1]
	s_and_saveexec_b64 s[42:43], s[44:45]
	s_cbranch_execz .LBB1_24
; %bb.19:                               ;   in Loop: Header=BB1_18 Depth=3
	s_mov_b64 s[44:45], exec
	s_brev_b32 s46, -2
.LBB1_20:                               ;   Parent Loop BB1_4 Depth=1
                                        ;     Parent Loop BB1_9 Depth=2
                                        ;       Parent Loop BB1_18 Depth=3
                                        ; =>      This Inner Loop Header: Depth=4
	s_ff1_i32_b64 s47, s[44:45]
	v_readlane_b32 s55, v25, s47
	s_lshl_b64 s[48:49], 1, s47
	s_min_i32 s46, s46, s55
	s_andn2_b64 s[44:45], s[44:45], s[48:49]
	s_cmp_lg_u64 s[44:45], 0
	s_cbranch_scc1 .LBB1_20
; %bb.21:                               ;   in Loop: Header=BB1_18 Depth=3
	v_mbcnt_lo_u32_b32 v7, exec_lo, 0
	v_mbcnt_hi_u32_b32 v7, exec_hi, v7
	v_cmp_eq_u32_e32 vcc, 0, v7
	s_and_saveexec_b64 s[44:45], vcc
	s_xor_b64 s[44:45], exec, s[44:45]
	s_cbranch_execz .LBB1_23
; %bb.22:                               ;   in Loop: Header=BB1_18 Depth=3
	v_mov_b32_e32 v7, s46
	global_atomic_smin v15, v7, s[22:23]
.LBB1_23:                               ;   in Loop: Header=BB1_18 Depth=3
	s_or_b64 exec, exec, s[44:45]
	v_mov_b32_e32 v33, 1.0
.LBB1_24:                               ;   in Loop: Header=BB1_18 Depth=3
	s_or_b64 exec, exec, s[42:43]
	v_add_u32_e32 v7, s54, v30
	v_add_u32_e32 v8, s53, v32
	v_cndmask_b32_e64 v7, v7, v8, s[2:3]
	v_ashrrev_i32_e32 v8, 31, v7
	v_lshlrev_b64 v[7:8], 2, v[7:8]
	v_mov_b32_e32 v9, s29
	v_add_co_u32_e32 v7, vcc, s28, v7
	v_addc_co_u32_e32 v8, vcc, v9, v8, vcc
	global_load_dword v34, v[7:8], off
	v_mov_b32_e32 v35, 0
	s_and_saveexec_b64 s[42:43], s[12:13]
	s_cbranch_execz .LBB1_17
; %bb.25:                               ;   in Loop: Header=BB1_18 Depth=3
	global_load_dword v36, v[4:5], off
	v_add_u32_e32 v37, s53, v28
	v_mov_b32_e32 v35, 0
	s_mov_b64 s[44:45], 0
	v_mov_b32_e32 v38, v31
	v_mov_b32_e32 v9, v27
	s_branch .LBB1_27
.LBB1_26:                               ;   in Loop: Header=BB1_27 Depth=4
	s_or_b64 exec, exec, s[46:47]
	v_add_u32_e32 v10, 1, v9
	v_cmp_ge_i32_e32 vcc, v9, v26
	v_add_u32_e32 v38, s51, v38
	s_or_b64 s[44:45], vcc, s[44:45]
	v_mov_b32_e32 v9, v10
	s_andn2_b64 exec, exec, s[44:45]
	s_cbranch_execz .LBB1_16
.LBB1_27:                               ;   Parent Loop BB1_4 Depth=1
                                        ;     Parent Loop BB1_9 Depth=2
                                        ;       Parent Loop BB1_18 Depth=3
                                        ; =>      This Loop Header: Depth=4
                                        ;           Child Loop BB1_29 Depth 5
                                        ;           Child Loop BB1_35 Depth 5
	v_ashrrev_i32_e32 v10, 31, v9
	v_lshlrev_b64 v[10:11], 2, v[9:10]
	v_mov_b32_e32 v12, s27
	v_add_co_u32_e32 v10, vcc, s26, v10
	v_addc_co_u32_e32 v11, vcc, v12, v11, vcc
	global_load_dword v12, v[10:11], off
	s_waitcnt vmcnt(1)
	v_mov_b32_e32 v11, v36
	v_mov_b32_e32 v10, v3
	s_and_saveexec_b64 s[46:47], s[8:9]
	s_cbranch_execz .LBB1_31
; %bb.28:                               ;   in Loop: Header=BB1_27 Depth=4
	s_mov_b64 s[48:49], 0
	v_mov_b32_e32 v11, v36
	v_mov_b32_e32 v10, v3
	;; [unrolled: 1-line block ×4, first 2 shown]
.LBB1_29:                               ;   Parent Loop BB1_4 Depth=1
                                        ;     Parent Loop BB1_9 Depth=2
                                        ;       Parent Loop BB1_18 Depth=3
                                        ;         Parent Loop BB1_27 Depth=4
                                        ; =>        This Inner Loop Header: Depth=5
	v_add_u32_e32 v41, 1, v10
	s_waitcnt vmcnt(0)
	v_cmp_lt_i32_e32 vcc, v11, v12
	v_cndmask_b32_e32 v40, v40, v41, vcc
	v_cndmask_b32_e32 v39, v10, v39, vcc
	v_add_u32_e32 v10, v39, v40
	v_ashrrev_i32_e32 v10, 1, v10
	v_ashrrev_i32_e32 v11, 31, v10
	v_lshlrev_b64 v[41:42], 2, v[10:11]
	v_mov_b32_e32 v11, s27
	v_add_co_u32_e32 v41, vcc, s26, v41
	v_addc_co_u32_e32 v42, vcc, v11, v42, vcc
	global_load_dword v11, v[41:42], off
	v_cmp_ge_i32_e32 vcc, v40, v39
	s_or_b64 s[48:49], vcc, s[48:49]
	s_andn2_b64 exec, exec, s[48:49]
	s_cbranch_execnz .LBB1_29
; %bb.30:                               ;   in Loop: Header=BB1_27 Depth=4
	s_or_b64 exec, exec, s[48:49]
.LBB1_31:                               ;   in Loop: Header=BB1_27 Depth=4
	s_or_b64 exec, exec, s[46:47]
	s_waitcnt vmcnt(0)
	v_cmp_eq_u32_e32 vcc, v11, v12
	s_and_saveexec_b64 s[46:47], vcc
	s_cbranch_execz .LBB1_26
; %bb.32:                               ;   in Loop: Header=BB1_27 Depth=4
	v_mul_lo_u32 v11, v9, s51
	v_mul_lo_u32 v10, v10, s51
	v_subrev_u32_e32 v12, s33, v12
	v_mul_lo_u32 v39, v12, s50
	v_add_u32_e32 v40, s54, v11
	v_add_u32_e32 v41, v10, v23
	;; [unrolled: 1-line block ×3, first 2 shown]
	s_mov_b32 s55, 0
	v_mov_b32_e32 v43, v38
	s_branch .LBB1_35
.LBB1_33:                               ;   in Loop: Header=BB1_35 Depth=5
	v_ashrrev_i32_e32 v12, 31, v11
	v_lshlrev_b64 v[11:12], 2, v[11:12]
	v_mov_b32_e32 v45, s29
	v_add_co_u32_e32 v44, vcc, s28, v11
	v_ashrrev_i32_e32 v11, 31, v10
	v_lshlrev_b64 v[10:11], 2, v[10:11]
	v_addc_co_u32_e32 v45, vcc, v45, v12, vcc
	v_mov_b32_e32 v12, s29
	v_add_co_u32_e32 v10, vcc, s28, v10
	v_addc_co_u32_e32 v11, vcc, v12, v11, vcc
	global_load_dword v12, v[44:45], off
	s_nop 0
	global_load_dword v10, v[10:11], off
	s_waitcnt vmcnt(0)
	v_fmac_f32_e32 v35, v12, v10
.LBB1_34:                               ;   in Loop: Header=BB1_35 Depth=5
	s_or_b64 exec, exec, s[48:49]
	s_add_i32 s55, s55, 1
	v_add_u32_e32 v42, s50, v42
	s_cmp_lg_u32 s50, s55
	v_add_u32_e32 v43, s50, v43
	s_cbranch_scc0 .LBB1_26
.LBB1_35:                               ;   Parent Loop BB1_4 Depth=1
                                        ;     Parent Loop BB1_9 Depth=2
                                        ;       Parent Loop BB1_18 Depth=3
                                        ;         Parent Loop BB1_27 Depth=4
                                        ; =>        This Inner Loop Header: Depth=5
	v_add_u32_e32 v10, s55, v39
	v_cmp_lt_i32_e32 vcc, v10, v37
	s_and_saveexec_b64 s[48:49], vcc
	s_cbranch_execz .LBB1_34
; %bb.36:                               ;   in Loop: Header=BB1_35 Depth=5
	s_andn2_b64 vcc, exec, s[2:3]
	v_mov_b32_e32 v10, v42
	v_mov_b32_e32 v11, v43
	s_cbranch_vccnz .LBB1_33
; %bb.37:                               ;   in Loop: Header=BB1_35 Depth=5
	v_add_u32_e32 v11, s55, v40
	v_add_u32_e32 v10, s55, v41
	s_branch .LBB1_33
.LBB1_38:                               ;   in Loop: Header=BB1_4 Depth=1
	s_or_b64 exec, exec, s[38:39]
.LBB1_39:                               ;   in Loop: Header=BB1_4 Depth=1
	s_or_b64 exec, exec, s[36:37]
	v_add_u32_e32 v11, v23, v17
	s_mov_b32 s40, 0
	v_mov_b32_e32 v12, v20
	s_branch .LBB1_42
.LBB1_40:                               ;   in Loop: Header=BB1_42 Depth=2
	s_waitcnt vmcnt(0)
	v_sub_f32_e32 v8, v27, v28
	v_div_scale_f32 v9, s[12:13], v26, v26, v8
	v_div_scale_f32 v10, vcc, v8, v26, v8
	v_rcp_f32_e32 v25, v9
	v_fma_f32 v27, -v9, v25, 1.0
	v_fmac_f32_e32 v25, v27, v25
	v_mul_f32_e32 v27, v10, v25
	v_fma_f32 v28, -v9, v27, v10
	v_fmac_f32_e32 v27, v28, v25
	v_fma_f32 v9, -v9, v27, v10
	v_div_fmas_f32 v9, v9, v25, v27
	v_div_fixup_f32 v8, v9, v26, v8
	v_fmac_f32_e32 v24, v8, v8
	global_store_dword v[6:7], v8, off
.LBB1_41:                               ;   in Loop: Header=BB1_42 Depth=2
	s_or_b64 exec, exec, s[10:11]
	s_add_i32 s40, s40, 1
	s_cmp_eq_u32 s40, s50
	v_add_u32_e32 v12, 1, v12
	s_waitcnt vmcnt(0)
	buffer_wbinvl1_vol
	s_cbranch_scc1 .LBB1_3
.LBB1_42:                               ;   Parent Loop BB1_4 Depth=1
                                        ; =>  This Loop Header: Depth=2
                                        ;       Child Loop BB1_46 Depth 3
                                        ;       Child Loop BB1_54 Depth 3
                                        ;         Child Loop BB1_56 Depth 4
                                        ;       Child Loop BB1_64 Depth 3
	s_mul_i32 s41, s40, s50
	v_add_u32_e32 v25, s41, v17
	v_add_u32_e32 v6, s40, v25
	v_ashrrev_i32_e32 v7, 31, v6
	v_lshlrev_b64 v[6:7], 2, v[6:7]
	v_cmp_eq_u32_e32 vcc, s40, v22
	s_and_saveexec_b64 s[12:13], vcc
	s_cbranch_execz .LBB1_44
; %bb.43:                               ;   in Loop: Header=BB1_42 Depth=2
	v_mov_b32_e32 v9, s29
	v_add_co_u32_e32 v8, vcc, s28, v6
	v_addc_co_u32_e32 v9, vcc, v9, v7, vcc
	global_load_dword v10, v[8:9], off
	s_waitcnt vmcnt(0)
	v_sub_f32_e32 v10, v10, v24
	v_cmp_gt_f32_e32 vcc, 0, v10
	v_cndmask_b32_e64 v10, v10, -v10, vcc
	v_mul_f32_e32 v26, 0x4f800000, v10
	v_cmp_gt_f32_e32 vcc, s52, v10
	v_cndmask_b32_e32 v10, v10, v26, vcc
	v_sqrt_f32_e32 v26, v10
	v_add_u32_e32 v27, -1, v26
	v_add_u32_e32 v28, 1, v26
	v_fma_f32 v29, -v27, v26, v10
	v_fma_f32 v30, -v28, v26, v10
	v_cmp_ge_f32_e64 s[10:11], 0, v29
	v_cndmask_b32_e64 v26, v26, v27, s[10:11]
	v_cmp_lt_f32_e64 s[10:11], 0, v30
	v_cndmask_b32_e64 v26, v26, v28, s[10:11]
	v_mul_f32_e32 v27, 0x37800000, v26
	v_cndmask_b32_e32 v26, v26, v27, vcc
	v_cmp_class_f32_e32 vcc, v10, v16
	v_cndmask_b32_e32 v10, v26, v10, vcc
	global_store_dword v[8:9], v10, off
.LBB1_44:                               ;   in Loop: Header=BB1_42 Depth=2
	s_or_b64 exec, exec, s[12:13]
	v_mov_b32_e32 v8, s29
	v_add_co_u32_e32 v6, vcc, s28, v6
	v_addc_co_u32_e32 v7, vcc, v8, v7, vcc
	s_waitcnt vmcnt(0)
	buffer_wbinvl1_vol
	global_load_dword v6, v[6:7], off
	s_waitcnt vmcnt(0)
	v_cmp_neq_f32_e32 vcc, 0, v6
	v_cndmask_b32_e32 v26, 1.0, v6, vcc
	s_nor_b64 s[12:13], vcc, s[0:1]
	s_and_saveexec_b64 s[10:11], s[12:13]
	s_cbranch_execz .LBB1_50
; %bb.45:                               ;   in Loop: Header=BB1_42 Depth=2
	s_mov_b64 s[12:13], exec
	s_brev_b32 s36, -2
.LBB1_46:                               ;   Parent Loop BB1_4 Depth=1
                                        ;     Parent Loop BB1_42 Depth=2
                                        ; =>    This Inner Loop Header: Depth=3
	s_ff1_i32_b64 s37, s[12:13]
	v_readlane_b32 s42, v14, s37
	s_lshl_b64 s[38:39], 1, s37
	s_min_i32 s36, s36, s42
	s_andn2_b64 s[12:13], s[12:13], s[38:39]
	s_cmp_lg_u64 s[12:13], 0
	s_cbranch_scc1 .LBB1_46
; %bb.47:                               ;   in Loop: Header=BB1_42 Depth=2
	v_mbcnt_lo_u32_b32 v6, exec_lo, 0
	v_mbcnt_hi_u32_b32 v6, exec_hi, v6
	v_cmp_eq_u32_e32 vcc, 0, v6
	s_and_saveexec_b64 s[12:13], vcc
	s_xor_b64 s[12:13], exec, s[12:13]
	s_cbranch_execz .LBB1_49
; %bb.48:                               ;   in Loop: Header=BB1_42 Depth=2
	v_mov_b32_e32 v6, s36
	global_atomic_smin v15, v6, s[22:23]
.LBB1_49:                               ;   in Loop: Header=BB1_42 Depth=2
	s_or_b64 exec, exec, s[12:13]
	v_mov_b32_e32 v26, 1.0
.LBB1_50:                               ;   in Loop: Header=BB1_42 Depth=2
	s_or_b64 exec, exec, s[10:11]
	v_cmp_lt_i32_e32 vcc, s40, v22
	s_and_saveexec_b64 s[10:11], vcc
	s_cbranch_execz .LBB1_41
; %bb.51:                               ;   in Loop: Header=BB1_42 Depth=2
	v_add_u32_e32 v6, v25, v22
	v_add_u32_e32 v7, s40, v11
	v_cndmask_b32_e64 v6, v6, v7, s[2:3]
	v_ashrrev_i32_e32 v7, 31, v6
	v_lshlrev_b64 v[6:7], 2, v[6:7]
	v_mov_b32_e32 v8, s29
	v_add_co_u32_e32 v6, vcc, s28, v6
	v_addc_co_u32_e32 v7, vcc, v8, v7, vcc
	global_load_dword v27, v[6:7], off
	v_mov_b32_e32 v28, 0
	s_and_saveexec_b64 s[12:13], s[4:5]
	s_cbranch_execz .LBB1_61
; %bb.52:                               ;   in Loop: Header=BB1_42 Depth=2
	v_mov_b32_e32 v28, 0
	s_mov_b64 s[36:37], 0
	v_mov_b32_e32 v29, v12
	v_mov_b32_e32 v30, v21
	;; [unrolled: 1-line block ×3, first 2 shown]
	s_branch .LBB1_54
.LBB1_53:                               ;   in Loop: Header=BB1_54 Depth=3
	v_add_u32_e32 v31, 1, v31
	v_cmp_ge_i32_e32 vcc, v31, v13
	v_add_u32_e32 v30, s51, v30
	s_or_b64 s[36:37], vcc, s[36:37]
	v_add_u32_e32 v29, s51, v29
	s_andn2_b64 exec, exec, s[36:37]
	s_cbranch_execz .LBB1_60
.LBB1_54:                               ;   Parent Loop BB1_4 Depth=1
                                        ;     Parent Loop BB1_42 Depth=2
                                        ; =>    This Loop Header: Depth=3
                                        ;         Child Loop BB1_56 Depth 4
	v_mul_lo_u32 v8, v31, s51
	s_mov_b32 s42, 0
	s_mov_b32 s43, s50
	;; [unrolled: 1-line block ×3, first 2 shown]
	v_add_u32_e32 v32, s41, v8
	v_add_u32_e32 v33, v8, v23
	s_branch .LBB1_56
.LBB1_55:                               ;   in Loop: Header=BB1_56 Depth=4
	v_ashrrev_i32_e32 v10, 31, v9
	v_lshlrev_b64 v[9:10], 2, v[9:10]
	v_mov_b32_e32 v36, s29
	v_add_co_u32_e32 v34, vcc, s28, v9
	v_ashrrev_i32_e32 v9, 31, v8
	v_lshlrev_b64 v[8:9], 2, v[8:9]
	v_addc_co_u32_e32 v35, vcc, v36, v10, vcc
	v_add_co_u32_e32 v8, vcc, s28, v8
	v_addc_co_u32_e32 v9, vcc, v36, v9, vcc
	global_load_dword v10, v[34:35], off
	global_load_dword v36, v[8:9], off
	s_add_i32 s44, s44, 1
	s_add_i32 s42, s42, s50
	s_add_i32 s43, s43, -1
	s_cmp_eq_u32 s43, 0
	s_waitcnt vmcnt(0)
	v_fmac_f32_e32 v28, v10, v36
	s_cbranch_scc1 .LBB1_53
.LBB1_56:                               ;   Parent Loop BB1_4 Depth=1
                                        ;     Parent Loop BB1_42 Depth=2
                                        ;       Parent Loop BB1_54 Depth=3
                                        ; =>      This Inner Loop Header: Depth=4
	s_mov_b64 s[38:39], -1
	s_and_b64 vcc, exec, s[34:35]
                                        ; implicit-def: $vgpr9
                                        ; implicit-def: $vgpr8
	s_cbranch_vccz .LBB1_58
; %bb.57:                               ;   in Loop: Header=BB1_56 Depth=4
	v_add_u32_e32 v9, s42, v29
	v_add_u32_e32 v8, s42, v30
	s_mov_b64 s[38:39], 0
.LBB1_58:                               ;   in Loop: Header=BB1_56 Depth=4
	s_andn2_b64 vcc, exec, s[38:39]
	s_cbranch_vccnz .LBB1_55
; %bb.59:                               ;   in Loop: Header=BB1_56 Depth=4
	v_add_u32_e32 v9, s44, v32
	v_add_u32_e32 v8, s44, v33
	s_branch .LBB1_55
.LBB1_60:                               ;   in Loop: Header=BB1_42 Depth=2
	s_or_b64 exec, exec, s[36:37]
.LBB1_61:                               ;   in Loop: Header=BB1_42 Depth=2
	s_or_b64 exec, exec, s[12:13]
	s_cmp_eq_u32 s40, 0
	s_cbranch_scc1 .LBB1_40
; %bb.62:                               ;   in Loop: Header=BB1_42 Depth=2
	s_mov_b32 s36, 0
	v_mov_b32_e32 v29, v17
	s_branch .LBB1_64
.LBB1_63:                               ;   in Loop: Header=BB1_64 Depth=3
	v_ashrrev_i32_e32 v10, 31, v9
	v_lshlrev_b64 v[9:10], 2, v[9:10]
	v_mov_b32_e32 v32, s29
	v_add_co_u32_e32 v30, vcc, s28, v9
	v_ashrrev_i32_e32 v9, 31, v8
	v_lshlrev_b64 v[8:9], 2, v[8:9]
	v_addc_co_u32_e32 v31, vcc, v32, v10, vcc
	v_add_co_u32_e32 v8, vcc, s28, v8
	v_addc_co_u32_e32 v9, vcc, v32, v9, vcc
	global_load_dword v10, v[30:31], off
	global_load_dword v32, v[8:9], off
	s_add_i32 s36, s36, 1
	s_cmp_eq_u32 s40, s36
	v_add_u32_e32 v29, s50, v29
	s_waitcnt vmcnt(0)
	v_fmac_f32_e32 v28, v10, v32
	s_cbranch_scc1 .LBB1_40
.LBB1_64:                               ;   Parent Loop BB1_4 Depth=1
                                        ;     Parent Loop BB1_42 Depth=2
                                        ; =>    This Inner Loop Header: Depth=3
	s_mov_b64 s[12:13], -1
	s_and_b64 vcc, exec, s[34:35]
                                        ; implicit-def: $vgpr9
                                        ; implicit-def: $vgpr8
	s_cbranch_vccz .LBB1_66
; %bb.65:                               ;   in Loop: Header=BB1_64 Depth=3
	v_add_u32_e32 v9, s40, v29
	v_add_u32_e32 v8, v22, v29
	s_mov_b64 s[12:13], 0
.LBB1_66:                               ;   in Loop: Header=BB1_64 Depth=3
	s_andn2_b64 vcc, exec, s[12:13]
	s_cbranch_vccnz .LBB1_63
; %bb.67:                               ;   in Loop: Header=BB1_64 Depth=3
	v_add_u32_e32 v9, s36, v25
	v_add_u32_e32 v8, s36, v11
	s_branch .LBB1_63
.LBB1_68:
	s_or_b64 exec, exec, s[20:21]
	v_cmp_eq_u32_e32 vcc, 63, v0
	s_and_saveexec_b64 s[0:1], vcc
	s_cbranch_execz .LBB1_70
; %bb.69:
	v_mov_b32_e32 v3, s19
	v_add_co_u32_e32 v0, vcc, s18, v1
	v_addc_co_u32_e32 v1, vcc, v3, v2, vcc
	v_mov_b32_e32 v2, 1
	global_store_dword v[0:1], v2, off
.LBB1_70:
	s_or_b64 exec, exec, s[0:1]
                                        ; implicit-def: $vgpr0
                                        ; implicit-def: $vgpr1_vgpr2
                                        ; implicit-def: $vgpr3_vgpr4
.LBB1_71:
	s_andn2_saveexec_b64 s[0:1], s[14:15]
	s_cbranch_execz .LBB1_78
; %bb.72:
	v_cmp_eq_u32_e32 vcc, 63, v0
	s_and_saveexec_b64 s[0:1], vcc
	s_cbranch_execz .LBB1_78
; %bb.73:
	s_mov_b64 s[0:1], exec
	v_add_u32_e32 v0, s33, v3
	s_brev_b32 s2, -2
.LBB1_74:                               ; =>This Inner Loop Header: Depth=1
	s_ff1_i32_b64 s3, s[0:1]
	v_readlane_b32 s6, v0, s3
	s_lshl_b64 s[4:5], 1, s3
	s_min_i32 s2, s2, s6
	s_andn2_b64 s[0:1], s[0:1], s[4:5]
	s_cmp_lg_u64 s[0:1], 0
	s_cbranch_scc1 .LBB1_74
; %bb.75:
	v_mbcnt_lo_u32_b32 v0, exec_lo, 0
	v_mbcnt_hi_u32_b32 v0, exec_hi, v0
	v_cmp_eq_u32_e32 vcc, 0, v0
	s_and_saveexec_b64 s[0:1], vcc
	s_xor_b64 s[0:1], exec, s[0:1]
	s_cbranch_execz .LBB1_77
; %bb.76:
	v_mov_b32_e32 v0, 0
	v_mov_b32_e32 v3, s2
	global_atomic_smin v0, v3, s[22:23]
.LBB1_77:
	s_or_b64 exec, exec, s[0:1]
	v_mov_b32_e32 v3, s19
	v_add_co_u32_e32 v0, vcc, s18, v1
	v_addc_co_u32_e32 v1, vcc, v3, v2, vcc
	v_mov_b32_e32 v2, 1
	s_waitcnt vmcnt(0)
	global_store_dword v[0:1], v2, off
.LBB1_78:
	s_endpgm
	.section	.rodata,"a",@progbits
	.p2align	6, 0x0
	.amdhsa_kernel _ZN9rocsparseL23bsric0_binsearch_kernelILj64ELj64ELb1EfEEv20rocsparse_direction_iiPKiS3_PT2_S3_PiS3_S6_21rocsparse_index_base_
		.amdhsa_group_segment_fixed_size 0
		.amdhsa_private_segment_fixed_size 0
		.amdhsa_kernarg_size 76
		.amdhsa_user_sgpr_count 6
		.amdhsa_user_sgpr_private_segment_buffer 1
		.amdhsa_user_sgpr_dispatch_ptr 0
		.amdhsa_user_sgpr_queue_ptr 0
		.amdhsa_user_sgpr_kernarg_segment_ptr 1
		.amdhsa_user_sgpr_dispatch_id 0
		.amdhsa_user_sgpr_flat_scratch_init 0
		.amdhsa_user_sgpr_private_segment_size 0
		.amdhsa_uses_dynamic_stack 0
		.amdhsa_system_sgpr_private_segment_wavefront_offset 0
		.amdhsa_system_sgpr_workgroup_id_x 1
		.amdhsa_system_sgpr_workgroup_id_y 0
		.amdhsa_system_sgpr_workgroup_id_z 0
		.amdhsa_system_sgpr_workgroup_info 0
		.amdhsa_system_vgpr_workitem_id 0
		.amdhsa_next_free_vgpr 46
		.amdhsa_next_free_sgpr 56
		.amdhsa_reserve_vcc 1
		.amdhsa_reserve_flat_scratch 0
		.amdhsa_float_round_mode_32 0
		.amdhsa_float_round_mode_16_64 0
		.amdhsa_float_denorm_mode_32 3
		.amdhsa_float_denorm_mode_16_64 3
		.amdhsa_dx10_clamp 1
		.amdhsa_ieee_mode 1
		.amdhsa_fp16_overflow 0
		.amdhsa_exception_fp_ieee_invalid_op 0
		.amdhsa_exception_fp_denorm_src 0
		.amdhsa_exception_fp_ieee_div_zero 0
		.amdhsa_exception_fp_ieee_overflow 0
		.amdhsa_exception_fp_ieee_underflow 0
		.amdhsa_exception_fp_ieee_inexact 0
		.amdhsa_exception_int_div_zero 0
	.end_amdhsa_kernel
	.section	.text._ZN9rocsparseL23bsric0_binsearch_kernelILj64ELj64ELb1EfEEv20rocsparse_direction_iiPKiS3_PT2_S3_PiS3_S6_21rocsparse_index_base_,"axG",@progbits,_ZN9rocsparseL23bsric0_binsearch_kernelILj64ELj64ELb1EfEEv20rocsparse_direction_iiPKiS3_PT2_S3_PiS3_S6_21rocsparse_index_base_,comdat
.Lfunc_end1:
	.size	_ZN9rocsparseL23bsric0_binsearch_kernelILj64ELj64ELb1EfEEv20rocsparse_direction_iiPKiS3_PT2_S3_PiS3_S6_21rocsparse_index_base_, .Lfunc_end1-_ZN9rocsparseL23bsric0_binsearch_kernelILj64ELj64ELb1EfEEv20rocsparse_direction_iiPKiS3_PT2_S3_PiS3_S6_21rocsparse_index_base_
                                        ; -- End function
	.set _ZN9rocsparseL23bsric0_binsearch_kernelILj64ELj64ELb1EfEEv20rocsparse_direction_iiPKiS3_PT2_S3_PiS3_S6_21rocsparse_index_base_.num_vgpr, 46
	.set _ZN9rocsparseL23bsric0_binsearch_kernelILj64ELj64ELb1EfEEv20rocsparse_direction_iiPKiS3_PT2_S3_PiS3_S6_21rocsparse_index_base_.num_agpr, 0
	.set _ZN9rocsparseL23bsric0_binsearch_kernelILj64ELj64ELb1EfEEv20rocsparse_direction_iiPKiS3_PT2_S3_PiS3_S6_21rocsparse_index_base_.numbered_sgpr, 56
	.set _ZN9rocsparseL23bsric0_binsearch_kernelILj64ELj64ELb1EfEEv20rocsparse_direction_iiPKiS3_PT2_S3_PiS3_S6_21rocsparse_index_base_.num_named_barrier, 0
	.set _ZN9rocsparseL23bsric0_binsearch_kernelILj64ELj64ELb1EfEEv20rocsparse_direction_iiPKiS3_PT2_S3_PiS3_S6_21rocsparse_index_base_.private_seg_size, 0
	.set _ZN9rocsparseL23bsric0_binsearch_kernelILj64ELj64ELb1EfEEv20rocsparse_direction_iiPKiS3_PT2_S3_PiS3_S6_21rocsparse_index_base_.uses_vcc, 1
	.set _ZN9rocsparseL23bsric0_binsearch_kernelILj64ELj64ELb1EfEEv20rocsparse_direction_iiPKiS3_PT2_S3_PiS3_S6_21rocsparse_index_base_.uses_flat_scratch, 0
	.set _ZN9rocsparseL23bsric0_binsearch_kernelILj64ELj64ELb1EfEEv20rocsparse_direction_iiPKiS3_PT2_S3_PiS3_S6_21rocsparse_index_base_.has_dyn_sized_stack, 0
	.set _ZN9rocsparseL23bsric0_binsearch_kernelILj64ELj64ELb1EfEEv20rocsparse_direction_iiPKiS3_PT2_S3_PiS3_S6_21rocsparse_index_base_.has_recursion, 0
	.set _ZN9rocsparseL23bsric0_binsearch_kernelILj64ELj64ELb1EfEEv20rocsparse_direction_iiPKiS3_PT2_S3_PiS3_S6_21rocsparse_index_base_.has_indirect_call, 0
	.section	.AMDGPU.csdata,"",@progbits
; Kernel info:
; codeLenInByte = 2656
; TotalNumSgprs: 60
; NumVgprs: 46
; ScratchSize: 0
; MemoryBound: 0
; FloatMode: 240
; IeeeMode: 1
; LDSByteSize: 0 bytes/workgroup (compile time only)
; SGPRBlocks: 7
; VGPRBlocks: 11
; NumSGPRsForWavesPerEU: 60
; NumVGPRsForWavesPerEU: 46
; Occupancy: 5
; WaveLimiterHint : 1
; COMPUTE_PGM_RSRC2:SCRATCH_EN: 0
; COMPUTE_PGM_RSRC2:USER_SGPR: 6
; COMPUTE_PGM_RSRC2:TRAP_HANDLER: 0
; COMPUTE_PGM_RSRC2:TGID_X_EN: 1
; COMPUTE_PGM_RSRC2:TGID_Y_EN: 0
; COMPUTE_PGM_RSRC2:TGID_Z_EN: 0
; COMPUTE_PGM_RSRC2:TIDIG_COMP_CNT: 0
	.section	.text._ZN9rocsparseL26bsric0_2_8_unrolled_kernelILi1ELi32ELi1EfEEv20rocsparse_direction_iiPKiS3_PT2_S3_PiS3_S6_21rocsparse_index_base_,"axG",@progbits,_ZN9rocsparseL26bsric0_2_8_unrolled_kernelILi1ELi32ELi1EfEEv20rocsparse_direction_iiPKiS3_PT2_S3_PiS3_S6_21rocsparse_index_base_,comdat
	.globl	_ZN9rocsparseL26bsric0_2_8_unrolled_kernelILi1ELi32ELi1EfEEv20rocsparse_direction_iiPKiS3_PT2_S3_PiS3_S6_21rocsparse_index_base_ ; -- Begin function _ZN9rocsparseL26bsric0_2_8_unrolled_kernelILi1ELi32ELi1EfEEv20rocsparse_direction_iiPKiS3_PT2_S3_PiS3_S6_21rocsparse_index_base_
	.p2align	8
	.type	_ZN9rocsparseL26bsric0_2_8_unrolled_kernelILi1ELi32ELi1EfEEv20rocsparse_direction_iiPKiS3_PT2_S3_PiS3_S6_21rocsparse_index_base_,@function
_ZN9rocsparseL26bsric0_2_8_unrolled_kernelILi1ELi32ELi1EfEEv20rocsparse_direction_iiPKiS3_PT2_S3_PiS3_S6_21rocsparse_index_base_: ; @_ZN9rocsparseL26bsric0_2_8_unrolled_kernelILi1ELi32ELi1EfEEv20rocsparse_direction_iiPKiS3_PT2_S3_PiS3_S6_21rocsparse_index_base_
; %bb.0:
	s_load_dwordx8 s[8:15], s[4:5], 0x28
	s_mov_b32 s7, 0
	s_lshl_b64 s[0:1], s[6:7], 2
	s_waitcnt lgkmcnt(0)
	s_add_u32 s0, s12, s0
	s_addc_u32 s1, s13, s1
	s_load_dword s12, s[0:1], 0x0
	s_waitcnt lgkmcnt(0)
	s_ashr_i32 s13, s12, 31
	s_lshl_b64 s[6:7], s[12:13], 2
	s_add_u32 s0, s8, s6
	s_addc_u32 s1, s9, s7
	s_load_dword s16, s[0:1], 0x0
	s_load_dword s13, s[4:5], 0x48
	s_waitcnt lgkmcnt(0)
	s_cmp_lg_u32 s16, -1
	s_cbranch_scc0 .LBB2_6
; %bb.1:
	s_load_dwordx4 s[0:3], s[4:5], 0x10
	s_waitcnt lgkmcnt(0)
	s_add_u32 s18, s0, s6
	s_addc_u32 s19, s1, s7
	s_load_dword s17, s[18:19], 0x0
	s_waitcnt lgkmcnt(0)
	s_sub_i32 s18, s17, s13
	s_cmp_gt_i32 s18, s16
	s_cbranch_scc1 .LBB2_4
; %bb.2:
	s_not_b32 s19, s13
	s_add_i32 s17, s19, s17
	s_ashr_i32 s19, s18, 31
	s_lshl_b64 s[20:21], s[18:19], 2
	s_add_u32 s20, s2, s20
	s_movk_i32 s22, 0x100
	s_addc_u32 s21, s3, s21
.LBB2_3:                                ; =>This Inner Loop Header: Depth=1
	s_load_dword s19, s[20:21], 0x0
	v_mov_b32_e32 v0, s22
	s_add_i32 s17, s17, 1
	s_add_i32 s22, s22, 4
	s_waitcnt lgkmcnt(0)
	s_sub_i32 s19, s19, s13
	s_add_u32 s20, s20, 4
	s_addc_u32 s21, s21, 0
	v_mov_b32_e32 v1, s19
	s_cmp_ge_i32 s17, s16
	ds_write_b32 v0, v1
	s_cbranch_scc0 .LBB2_3
.LBB2_4:
	s_load_dwordx2 s[4:5], s[4:5], 0x20
	v_mov_b32_e32 v0, 0
	s_cmp_lt_i32 s18, s16
	ds_write_b32 v0, v0 offset:408
	s_waitcnt lgkmcnt(0)
	s_cbranch_scc1 .LBB2_7
; %bb.5:
	s_mov_b32 s19, 0
	s_cbranch_execz .LBB2_8
	s_branch .LBB2_39
.LBB2_6:
	s_mov_b64 s[0:1], 0
	s_cbranch_execnz .LBB2_51
	s_branch .LBB2_52
.LBB2_7:
                                        ; implicit-def: $sgpr19
.LBB2_8:
	s_mov_b32 s19, 0
	v_mov_b32_e32 v0, 0
	v_mov_b32_e32 v1, s5
	;; [unrolled: 1-line block ×5, first 2 shown]
	s_mov_b32 s20, s18
	s_branch .LBB2_10
.LBB2_9:                                ;   in Loop: Header=BB2_10 Depth=1
                                        ; implicit-def: $sgpr20
	s_cbranch_execnz .LBB2_39
.LBB2_10:                               ; =>This Loop Header: Depth=1
                                        ;     Child Loop BB2_13 Depth 2
                                        ;     Child Loop BB2_24 Depth 2
	;; [unrolled: 1-line block ×4, first 2 shown]
	s_ashr_i32 s21, s20, 31
	s_lshl_b64 s[22:23], s[20:21], 2
	s_add_u32 s24, s2, s22
	s_addc_u32 s25, s3, s23
	s_load_dword s17, s[24:25], 0x0
	s_waitcnt lgkmcnt(0)
	s_sub_i32 s28, s17, s13
	s_ashr_i32 s29, s28, 31
	s_lshl_b64 s[26:27], s[28:29], 2
	s_add_u32 s24, s8, s26
	s_addc_u32 s25, s9, s27
	s_load_dword s24, s[24:25], 0x0
	s_waitcnt lgkmcnt(0)
	s_cmp_eq_u32 s24, -1
	s_cbranch_scc1 .LBB2_9
; %bb.11:                               ;   in Loop: Header=BB2_10 Depth=1
	s_add_u32 s30, s0, s26
	s_addc_u32 s31, s1, s27
	s_load_dword s21, s[30:31], 0x0
	ds_read_b32 v6, v0 offset:256
	s_waitcnt lgkmcnt(0)
	s_sub_i32 s30, s21, s13
	s_add_u32 s22, s4, s22
	s_addc_u32 s23, s5, s23
	global_load_dword v5, v0, s[22:23]
	s_cmp_le_i32 s30, s24
	s_cselect_b64 s[34:35], -1, 0
	s_mov_b32 s21, 0
	v_cmp_ge_i32_e32 vcc, s28, v6
	s_and_b64 s[34:35], s[34:35], vcc
	s_andn2_b64 vcc, exec, s[34:35]
	s_waitcnt vmcnt(0)
	ds_write_b32 v2, v5
	s_cbranch_vccnz .LBB2_23
; %bb.12:                               ;   in Loop: Header=BB2_10 Depth=1
	s_mov_b32 s25, 0
	s_mov_b32 s29, 0
.LBB2_13:                               ;   Parent Loop BB2_10 Depth=1
                                        ; =>  This Inner Loop Header: Depth=2
	s_ashr_i32 s31, s30, 31
	s_lshl_b64 s[34:35], s[30:31], 2
	s_add_u32 s34, s2, s34
	s_addc_u32 s35, s3, s35
	s_lshl_b32 s31, s29, 2
	s_load_dword s21, s[34:35], 0x0
	v_mov_b32_e32 v5, s31
	ds_read_b32 v5, v5 offset:256
	s_mov_b64 s[34:35], -1
                                        ; implicit-def: $sgpr36
                                        ; implicit-def: $sgpr33
	s_waitcnt lgkmcnt(0)
	s_sub_i32 s37, s21, s13
                                        ; implicit-def: $sgpr21
	v_cmp_ge_i32_e32 vcc, s37, v5
	v_readfirstlane_b32 s31, v5
	s_cbranch_vccz .LBB2_19
; %bb.14:                               ;   in Loop: Header=BB2_13 Depth=2
	s_cmp_le_i32 s37, s31
                                        ; implicit-def: $sgpr21
                                        ; implicit-def: $sgpr36
                                        ; implicit-def: $sgpr33
	s_cbranch_scc0 .LBB2_16
; %bb.15:                               ;   in Loop: Header=BB2_13 Depth=2
	s_add_i32 s21, s29, s18
	s_lshl_b32 s33, s25, 2
	v_mov_b32_e32 v5, s33
	v_mov_b32_e32 v6, s21
	;; [unrolled: 1-line block ×3, first 2 shown]
	ds_write2_b32 v5, v7, v6 offset1:32
	s_add_i32 s33, s29, 1
	s_add_i32 s36, s30, 1
	;; [unrolled: 1-line block ×3, first 2 shown]
	s_mov_b64 s[34:35], 0
.LBB2_16:                               ;   in Loop: Header=BB2_13 Depth=2
	s_andn2_b64 vcc, exec, s[34:35]
	s_cbranch_vccnz .LBB2_18
; %bb.17:                               ;   in Loop: Header=BB2_13 Depth=2
	s_add_i32 s33, s29, 1
	s_mov_b32 s21, s25
	s_mov_b32 s36, s30
.LBB2_18:                               ;   in Loop: Header=BB2_13 Depth=2
	s_mov_b64 s[34:35], 0
.LBB2_19:                               ;   in Loop: Header=BB2_13 Depth=2
	s_andn2_b64 vcc, exec, s[34:35]
	s_cbranch_vccnz .LBB2_21
; %bb.20:                               ;   in Loop: Header=BB2_13 Depth=2
	s_add_i32 s36, s30, 1
	s_mov_b32 s33, s29
	s_mov_b32 s21, s25
.LBB2_21:                               ;   in Loop: Header=BB2_13 Depth=2
	s_cmp_le_i32 s36, s24
	s_cselect_b64 s[34:35], -1, 0
	s_cmp_le_i32 s31, s28
	s_cselect_b64 s[30:31], -1, 0
	s_and_b64 s[30:31], s[34:35], s[30:31]
	s_and_b64 vcc, exec, s[30:31]
	s_cbranch_vccz .LBB2_23
; %bb.22:                               ;   in Loop: Header=BB2_13 Depth=2
	s_mov_b32 s25, s21
	s_mov_b32 s30, s36
	;; [unrolled: 1-line block ×3, first 2 shown]
	s_branch .LBB2_13
.LBB2_23:                               ;   in Loop: Header=BB2_10 Depth=1
	s_add_u32 s26, s10, s26
	s_addc_u32 s27, s11, s27
	s_waitcnt lgkmcnt(0)
.LBB2_24:                               ;   Parent Loop BB2_10 Depth=1
                                        ; =>  This Inner Loop Header: Depth=2
	global_load_dword v5, v0, s[26:27] glc
	s_waitcnt vmcnt(0)
	v_cmp_eq_u32_e32 vcc, 0, v5
	s_cbranch_vccnz .LBB2_24
; %bb.25:                               ;   in Loop: Header=BB2_10 Depth=1
	s_ashr_i32 s25, s24, 31
	s_lshl_b64 s[24:25], s[24:25], 2
	s_add_u32 s24, s4, s24
	s_addc_u32 s25, s5, s25
	buffer_wbinvl1_vol
	global_load_dword v5, v0, s[24:25]
	v_mov_b32_e32 v6, 0x180
	s_cmp_lt_i32 s21, 2
	s_waitcnt vmcnt(0)
	ds_write_b32 v6, v5
	v_mov_b32_e32 v5, 0
	s_waitcnt lgkmcnt(0)
	s_cbranch_scc1 .LBB2_33
; %bb.26:                               ;   in Loop: Header=BB2_10 Depth=1
	s_add_i32 s25, s21, -2
	s_add_i32 s24, s21, -1
	s_cmp_lt_u32 s25, 7
	s_cbranch_scc1 .LBB2_30
; %bb.27:                               ;   in Loop: Header=BB2_10 Depth=1
	s_and_b32 s21, s24, -8
	s_mov_b32 s25, 0
	v_mov_b32_e32 v5, 0
	s_mov_b32 s26, 0
.LBB2_28:                               ;   Parent Loop BB2_10 Depth=1
                                        ; =>  This Inner Loop Header: Depth=2
	v_mov_b32_e32 v14, s25
	ds_read_b128 v[6:9], v14
	ds_read_b128 v[10:13], v14 offset:16
	s_add_i32 s26, s26, 8
	s_add_i32 s25, s25, 32
	s_cmp_eq_u32 s21, s26
	s_waitcnt lgkmcnt(1)
	v_ashrrev_i32_e32 v19, 31, v6
	v_mov_b32_e32 v18, v6
	v_ashrrev_i32_e32 v21, 31, v7
	v_mov_b32_e32 v20, v7
	;; [unrolled: 2-line block ×4, first 2 shown]
	ds_read_b128 v[6:9], v14 offset:128
	ds_read_b128 v[14:17], v14 offset:144
	s_waitcnt lgkmcnt(2)
	v_ashrrev_i32_e32 v33, 31, v11
	v_mov_b32_e32 v32, v11
	v_ashrrev_i32_e32 v11, 31, v12
	s_waitcnt lgkmcnt(1)
	v_ashrrev_i32_e32 v27, 31, v6
	v_mov_b32_e32 v26, v6
	v_ashrrev_i32_e32 v29, 31, v7
	v_mov_b32_e32 v28, v7
	;; [unrolled: 2-line block ×5, first 2 shown]
	v_mov_b32_e32 v10, v12
	v_ashrrev_i32_e32 v35, 31, v13
	v_mov_b32_e32 v34, v13
	s_waitcnt lgkmcnt(0)
	v_ashrrev_i32_e32 v13, 31, v14
	v_mov_b32_e32 v12, v14
	v_ashrrev_i32_e32 v37, 31, v15
	v_mov_b32_e32 v36, v15
	;; [unrolled: 2-line block ×4, first 2 shown]
	v_lshlrev_b64 v[16:17], 2, v[18:19]
	v_lshlrev_b64 v[18:19], 2, v[26:27]
	v_add_co_u32_e32 v16, vcc, s4, v16
	v_addc_co_u32_e32 v17, vcc, v1, v17, vcc
	v_add_co_u32_e32 v18, vcc, s4, v18
	v_lshlrev_b64 v[20:21], 2, v[20:21]
	v_addc_co_u32_e32 v19, vcc, v1, v19, vcc
	v_add_co_u32_e32 v20, vcc, s4, v20
	v_lshlrev_b64 v[26:27], 2, v[28:29]
	v_addc_co_u32_e32 v21, vcc, v1, v21, vcc
	v_add_co_u32_e32 v26, vcc, s4, v26
	v_lshlrev_b64 v[22:23], 2, v[22:23]
	v_addc_co_u32_e32 v27, vcc, v1, v27, vcc
	v_add_co_u32_e32 v22, vcc, s4, v22
	v_lshlrev_b64 v[6:7], 2, v[6:7]
	v_addc_co_u32_e32 v23, vcc, v1, v23, vcc
	v_add_co_u32_e32 v6, vcc, s4, v6
	v_lshlrev_b64 v[24:25], 2, v[24:25]
	v_addc_co_u32_e32 v7, vcc, v1, v7, vcc
	v_add_co_u32_e32 v24, vcc, s4, v24
	v_lshlrev_b64 v[28:29], 2, v[30:31]
	v_addc_co_u32_e32 v25, vcc, v1, v25, vcc
	v_add_co_u32_e32 v28, vcc, s4, v28
	v_lshlrev_b64 v[8:9], 2, v[8:9]
	v_addc_co_u32_e32 v29, vcc, v1, v29, vcc
	v_add_co_u32_e32 v8, vcc, s4, v8
	v_lshlrev_b64 v[12:13], 2, v[12:13]
	v_addc_co_u32_e32 v9, vcc, v1, v9, vcc
	v_add_co_u32_e32 v12, vcc, s4, v12
	v_lshlrev_b64 v[30:31], 2, v[32:33]
	v_addc_co_u32_e32 v13, vcc, v1, v13, vcc
	v_add_co_u32_e32 v30, vcc, s4, v30
	v_lshlrev_b64 v[32:33], 2, v[36:37]
	v_addc_co_u32_e32 v31, vcc, v1, v31, vcc
	v_add_co_u32_e32 v32, vcc, s4, v32
	v_lshlrev_b64 v[10:11], 2, v[10:11]
	v_addc_co_u32_e32 v33, vcc, v1, v33, vcc
	v_add_co_u32_e32 v10, vcc, s4, v10
	v_lshlrev_b64 v[14:15], 2, v[14:15]
	v_addc_co_u32_e32 v11, vcc, v1, v11, vcc
	v_add_co_u32_e32 v14, vcc, s4, v14
	v_lshlrev_b64 v[34:35], 2, v[34:35]
	v_addc_co_u32_e32 v15, vcc, v1, v15, vcc
	v_add_co_u32_e32 v34, vcc, s4, v34
	v_lshlrev_b64 v[36:37], 2, v[38:39]
	v_addc_co_u32_e32 v35, vcc, v1, v35, vcc
	v_add_co_u32_e32 v36, vcc, s4, v36
	v_addc_co_u32_e32 v37, vcc, v1, v37, vcc
	global_load_dword v38, v[16:17], off
	global_load_dword v39, v[18:19], off
	;; [unrolled: 1-line block ×15, first 2 shown]
                                        ; kill: killed $vgpr34 killed $vgpr35
                                        ; kill: killed $vgpr6 killed $vgpr7
                                        ; kill: killed $vgpr32 killed $vgpr33
                                        ; kill: killed $vgpr20 killed $vgpr21
                                        ; kill: killed $vgpr8 killed $vgpr9
                                        ; kill: killed $vgpr24 killed $vgpr25
                                        ; kill: killed $vgpr10 killed $vgpr11
                                        ; kill: killed $vgpr26 killed $vgpr27
                                        ; kill: killed $vgpr12 killed $vgpr13
                                        ; kill: killed $vgpr16 killed $vgpr17
                                        ; kill: killed $vgpr28 killed $vgpr29
                                        ; kill: killed $vgpr14 killed $vgpr15
                                        ; kill: killed $vgpr22 killed $vgpr23
                                        ; kill: killed $vgpr30 killed $vgpr31
                                        ; kill: killed $vgpr18 killed $vgpr19
	global_load_dword v6, v[36:37], off
	s_waitcnt vmcnt(14)
	v_fmac_f32_e32 v5, v38, v39
	s_waitcnt vmcnt(10)
	v_fmac_f32_e32 v5, v40, v43
	;; [unrolled: 2-line block ×8, first 2 shown]
	s_cbranch_scc0 .LBB2_28
; %bb.29:                               ;   in Loop: Header=BB2_10 Depth=1
	s_and_b32 s24, s24, 7
	s_cmp_eq_u32 s24, 0
	s_cbranch_scc0 .LBB2_31
	s_branch .LBB2_33
.LBB2_30:                               ;   in Loop: Header=BB2_10 Depth=1
	s_mov_b32 s21, 0
	v_mov_b32_e32 v5, 0
	s_and_b32 s24, s24, 7
	s_cmp_eq_u32 s24, 0
	s_cbranch_scc1 .LBB2_33
.LBB2_31:                               ;   in Loop: Header=BB2_10 Depth=1
	s_lshl_b32 s21, s21, 2
.LBB2_32:                               ;   Parent Loop BB2_10 Depth=1
                                        ; =>  This Inner Loop Header: Depth=2
	v_mov_b32_e32 v6, s21
	ds_read2_b32 v[6:7], v6 offset1:32
	v_mov_b32_e32 v12, s5
	s_add_i32 s21, s21, 4
	s_add_i32 s24, s24, -1
	s_cmp_lg_u32 s24, 0
	s_waitcnt lgkmcnt(0)
	v_ashrrev_i32_e32 v9, 31, v6
	v_mov_b32_e32 v8, v6
	v_ashrrev_i32_e32 v11, 31, v7
	v_mov_b32_e32 v10, v7
	v_lshlrev_b64 v[6:7], 2, v[8:9]
	v_lshlrev_b64 v[8:9], 2, v[10:11]
	v_add_co_u32_e32 v6, vcc, s4, v6
	v_addc_co_u32_e32 v7, vcc, v12, v7, vcc
	v_add_co_u32_e32 v8, vcc, s4, v8
	v_addc_co_u32_e32 v9, vcc, v12, v9, vcc
	global_load_dword v10, v[6:7], off
	global_load_dword v11, v[8:9], off
	s_waitcnt vmcnt(0)
	v_fmac_f32_e32 v5, v10, v11
	s_cbranch_scc1 .LBB2_32
.LBB2_33:                               ;   in Loop: Header=BB2_10 Depth=1
	ds_write_b32 v3, v5
	s_waitcnt lgkmcnt(0)
	ds_read_b32 v6, v0 offset:384
	ds_read_b32 v5, v2
	s_waitcnt lgkmcnt(1)
	v_cmp_eq_f32_e32 vcc, 0, v6
	s_cbranch_vccz .LBB2_37
; %bb.34:                               ;   in Loop: Header=BB2_10 Depth=1
	v_mbcnt_lo_u32_b32 v6, exec_lo, 0
	v_mbcnt_hi_u32_b32 v6, exec_hi, v6
	v_cmp_ne_u32_e32 vcc, 0, v6
	s_and_b64 s[24:25], vcc, exec
	s_cbranch_scc1 .LBB2_36
; %bb.35:                               ;   in Loop: Header=BB2_10 Depth=1
	v_mov_b32_e32 v6, s17
	global_atomic_smin v0, v6, s[14:15]
.LBB2_36:                               ;   in Loop: Header=BB2_10 Depth=1
	v_mov_b32_e32 v6, 1.0
	s_branch .LBB2_38
.LBB2_37:                               ;   in Loop: Header=BB2_10 Depth=1
	v_cmp_neq_f32_e32 vcc, 0, v6
	v_cndmask_b32_e32 v6, 1.0, v6, vcc
.LBB2_38:                               ;   in Loop: Header=BB2_10 Depth=1
	ds_read_b32 v7, v3
	s_add_i32 s20, s20, 1
	s_cmp_ge_i32 s20, s16
	s_waitcnt lgkmcnt(0)
	v_sub_f32_e32 v5, v5, v7
	v_div_scale_f32 v7, s[24:25], v6, v6, v5
	v_div_scale_f32 v8, vcc, v5, v6, v5
	v_rcp_f32_e32 v9, v7
	v_fma_f32 v10, -v7, v9, 1.0
	v_fmac_f32_e32 v9, v10, v9
	v_mul_f32_e32 v10, v8, v9
	v_fma_f32 v11, -v7, v10, v8
	v_fmac_f32_e32 v10, v11, v9
	v_fma_f32 v7, -v7, v10, v8
	v_div_fmas_f32 v7, v7, v9, v10
	v_div_fixup_f32 v5, v7, v6, v5
	ds_write_b32 v2, v5
	s_waitcnt lgkmcnt(0)
	ds_read_b32 v6, v2
	ds_read_b32 v7, v4
	s_waitcnt lgkmcnt(0)
	v_fmac_f32_e32 v7, v5, v6
	ds_write_b32 v4, v7
	s_waitcnt lgkmcnt(0)
	ds_read_b32 v5, v2
	s_waitcnt lgkmcnt(0)
	global_store_dword v0, v5, s[22:23]
	s_waitcnt vmcnt(0)
	buffer_wbinvl1_vol
	s_cselect_b64 s[22:23], -1, 0
	s_and_b64 vcc, exec, s[22:23]
	s_cbranch_vccz .LBB2_10
.LBB2_39:
	s_ashr_i32 s17, s16, 31
	s_lshl_b64 s[0:1], s[16:17], 2
	s_add_u32 s2, s4, s0
	s_addc_u32 s3, s5, s1
	v_mov_b32_e32 v0, 0
	global_load_dword v1, v0, s[2:3]
	s_cmp_lg_u32 s19, 0
	s_cselect_b64 s[4:5], -1, 0
	s_add_i32 s8, s12, s13
	s_waitcnt vmcnt(0)
	ds_write_b32 v0, v1 offset:400
	s_waitcnt lgkmcnt(0)
	s_branch .LBB2_44
; %bb.40:
	ds_read_b32 v0, v0 offset:400
	s_waitcnt lgkmcnt(0)
	v_cmp_neq_f32_e64 s[0:1], 0, v0
	s_or_b64 s[16:17], s[0:1], s[4:5]
	s_and_b64 vcc, exec, s[16:17]
	s_cbranch_vccnz .LBB2_45
; %bb.41:
	v_mbcnt_lo_u32_b32 v0, exec_lo, 0
	v_mbcnt_hi_u32_b32 v0, exec_hi, v0
	v_cmp_ne_u32_e32 vcc, 0, v0
	s_and_b64 s[0:1], vcc, exec
	s_cbranch_scc1 .LBB2_43
; %bb.42:
	v_mov_b32_e32 v0, 0
	v_mov_b32_e32 v1, s8
	global_atomic_smin v0, v1, s[14:15]
.LBB2_43:
	v_mov_b32_e32 v0, 1.0
	s_branch .LBB2_46
.LBB2_44:
	s_cbranch_execnz .LBB2_47
	s_branch .LBB2_50
.LBB2_45:
	v_cndmask_b32_e64 v0, 1.0, v0, s[0:1]
.LBB2_46:
	v_mov_b32_e32 v1, 0x190
	v_mov_b32_e32 v2, 0x198
	ds_read_b32 v3, v1
	ds_read_b32 v4, v2
	s_waitcnt lgkmcnt(0)
	v_sub_f32_e32 v3, v3, v4
	v_div_scale_f32 v4, s[0:1], v0, v0, v3
	v_div_scale_f32 v5, vcc, v3, v0, v3
	v_rcp_f32_e32 v6, v4
	v_fma_f32 v7, -v4, v6, 1.0
	v_fmac_f32_e32 v6, v7, v6
	v_mul_f32_e32 v7, v5, v6
	v_fma_f32 v8, -v4, v7, v5
	v_fmac_f32_e32 v7, v8, v6
	v_fma_f32 v4, -v4, v7, v5
	v_div_fmas_f32 v4, v4, v6, v7
	v_mov_b32_e32 v5, 0
	v_div_fixup_f32 v0, v4, v0, v3
	ds_write_b32 v1, v0
	s_waitcnt lgkmcnt(0)
	ds_read_b32 v1, v5 offset:400
	ds_read_b32 v3, v2
	s_waitcnt lgkmcnt(0)
	v_fmac_f32_e32 v3, v0, v1
	ds_write_b32 v2, v3
	s_branch .LBB2_50
.LBB2_47:
	v_mov_b32_e32 v2, 0
	ds_read2_b32 v[0:1], v2 offset0:100 offset1:102
	s_mov_b32 s0, 0xf800000
	s_waitcnt lgkmcnt(0)
	v_sub_f32_e32 v0, v0, v1
	v_cmp_gt_f32_e32 vcc, 0, v0
	v_cndmask_b32_e64 v0, v0, -v0, vcc
	v_mul_f32_e32 v1, 0x4f800000, v0
	v_cmp_gt_f32_e32 vcc, s0, v0
	v_cndmask_b32_e32 v0, v0, v1, vcc
	v_sqrt_f32_e32 v1, v0
	v_add_u32_e32 v3, -1, v1
	v_add_u32_e32 v4, 1, v1
	v_fma_f32 v5, -v3, v1, v0
	v_fma_f32 v6, -v4, v1, v0
	v_cmp_ge_f32_e64 s[0:1], 0, v5
	v_cndmask_b32_e64 v1, v1, v3, s[0:1]
	v_cmp_lt_f32_e64 s[0:1], 0, v6
	v_cndmask_b32_e64 v1, v1, v4, s[0:1]
	v_mul_f32_e32 v3, 0x37800000, v1
	v_cndmask_b32_e32 v1, v1, v3, vcc
	v_mov_b32_e32 v3, 0x260
	v_cmp_class_f32_e32 vcc, v0, v3
	v_cndmask_b32_e32 v0, v1, v0, vcc
	ds_write_b32 v2, v0 offset:400
	s_waitcnt lgkmcnt(0)
	ds_read_b32 v0, v2 offset:400
	s_waitcnt lgkmcnt(0)
	v_cmp_neq_f32_e32 vcc, 0, v0
	s_or_b64 s[0:1], vcc, s[4:5]
	s_and_b64 vcc, exec, s[0:1]
	s_cbranch_vccnz .LBB2_50
; %bb.48:
	v_mbcnt_lo_u32_b32 v0, exec_lo, 0
	v_mbcnt_hi_u32_b32 v0, exec_hi, v0
	v_cmp_ne_u32_e32 vcc, 0, v0
	s_and_b64 s[0:1], vcc, exec
	s_cbranch_scc1 .LBB2_50
; %bb.49:
	v_mov_b32_e32 v0, 0
	v_mov_b32_e32 v1, s8
	global_atomic_smin v0, v1, s[14:15]
.LBB2_50:
	v_mov_b32_e32 v0, 0x190
	s_waitcnt lgkmcnt(0)
	ds_read_b32 v0, v0
	v_mov_b32_e32 v1, 0
	s_cmp_eq_u32 s19, 0
	s_cselect_b64 s[0:1], -1, 0
	s_waitcnt lgkmcnt(0)
	global_store_dword v1, v0, s[2:3]
	s_branch .LBB2_52
.LBB2_51:
	s_cbranch_execnz .LBB2_55
.LBB2_52:
	s_and_b64 vcc, exec, s[0:1]
	s_cbranch_vccz .LBB2_54
.LBB2_53:
	s_add_u32 s0, s10, s6
	s_addc_u32 s1, s11, s7
	v_mov_b32_e32 v0, 0
	v_mov_b32_e32 v1, 1
	s_waitcnt vmcnt(0)
	global_store_dword v0, v1, s[0:1]
.LBB2_54:
	s_endpgm
.LBB2_55:
	v_mbcnt_lo_u32_b32 v0, exec_lo, 0
	v_mbcnt_hi_u32_b32 v0, exec_hi, v0
	v_cmp_ne_u32_e32 vcc, 0, v0
	s_and_b64 s[0:1], vcc, exec
	s_cbranch_scc0 .LBB2_57
; %bb.56:
	s_cbranch_execnz .LBB2_53
	s_branch .LBB2_54
.LBB2_57:
	s_add_i32 s0, s12, s13
	v_mov_b32_e32 v0, 0
	v_mov_b32_e32 v1, s0
	global_atomic_smin v0, v1, s[14:15]
	s_cbranch_execnz .LBB2_53
	s_branch .LBB2_54
	.section	.rodata,"a",@progbits
	.p2align	6, 0x0
	.amdhsa_kernel _ZN9rocsparseL26bsric0_2_8_unrolled_kernelILi1ELi32ELi1EfEEv20rocsparse_direction_iiPKiS3_PT2_S3_PiS3_S6_21rocsparse_index_base_
		.amdhsa_group_segment_fixed_size 416
		.amdhsa_private_segment_fixed_size 0
		.amdhsa_kernarg_size 76
		.amdhsa_user_sgpr_count 6
		.amdhsa_user_sgpr_private_segment_buffer 1
		.amdhsa_user_sgpr_dispatch_ptr 0
		.amdhsa_user_sgpr_queue_ptr 0
		.amdhsa_user_sgpr_kernarg_segment_ptr 1
		.amdhsa_user_sgpr_dispatch_id 0
		.amdhsa_user_sgpr_flat_scratch_init 0
		.amdhsa_user_sgpr_private_segment_size 0
		.amdhsa_uses_dynamic_stack 0
		.amdhsa_system_sgpr_private_segment_wavefront_offset 0
		.amdhsa_system_sgpr_workgroup_id_x 1
		.amdhsa_system_sgpr_workgroup_id_y 0
		.amdhsa_system_sgpr_workgroup_id_z 0
		.amdhsa_system_sgpr_workgroup_info 0
		.amdhsa_system_vgpr_workitem_id 0
		.amdhsa_next_free_vgpr 53
		.amdhsa_next_free_sgpr 38
		.amdhsa_reserve_vcc 1
		.amdhsa_reserve_flat_scratch 0
		.amdhsa_float_round_mode_32 0
		.amdhsa_float_round_mode_16_64 0
		.amdhsa_float_denorm_mode_32 3
		.amdhsa_float_denorm_mode_16_64 3
		.amdhsa_dx10_clamp 1
		.amdhsa_ieee_mode 1
		.amdhsa_fp16_overflow 0
		.amdhsa_exception_fp_ieee_invalid_op 0
		.amdhsa_exception_fp_denorm_src 0
		.amdhsa_exception_fp_ieee_div_zero 0
		.amdhsa_exception_fp_ieee_overflow 0
		.amdhsa_exception_fp_ieee_underflow 0
		.amdhsa_exception_fp_ieee_inexact 0
		.amdhsa_exception_int_div_zero 0
	.end_amdhsa_kernel
	.section	.text._ZN9rocsparseL26bsric0_2_8_unrolled_kernelILi1ELi32ELi1EfEEv20rocsparse_direction_iiPKiS3_PT2_S3_PiS3_S6_21rocsparse_index_base_,"axG",@progbits,_ZN9rocsparseL26bsric0_2_8_unrolled_kernelILi1ELi32ELi1EfEEv20rocsparse_direction_iiPKiS3_PT2_S3_PiS3_S6_21rocsparse_index_base_,comdat
.Lfunc_end2:
	.size	_ZN9rocsparseL26bsric0_2_8_unrolled_kernelILi1ELi32ELi1EfEEv20rocsparse_direction_iiPKiS3_PT2_S3_PiS3_S6_21rocsparse_index_base_, .Lfunc_end2-_ZN9rocsparseL26bsric0_2_8_unrolled_kernelILi1ELi32ELi1EfEEv20rocsparse_direction_iiPKiS3_PT2_S3_PiS3_S6_21rocsparse_index_base_
                                        ; -- End function
	.set _ZN9rocsparseL26bsric0_2_8_unrolled_kernelILi1ELi32ELi1EfEEv20rocsparse_direction_iiPKiS3_PT2_S3_PiS3_S6_21rocsparse_index_base_.num_vgpr, 53
	.set _ZN9rocsparseL26bsric0_2_8_unrolled_kernelILi1ELi32ELi1EfEEv20rocsparse_direction_iiPKiS3_PT2_S3_PiS3_S6_21rocsparse_index_base_.num_agpr, 0
	.set _ZN9rocsparseL26bsric0_2_8_unrolled_kernelILi1ELi32ELi1EfEEv20rocsparse_direction_iiPKiS3_PT2_S3_PiS3_S6_21rocsparse_index_base_.numbered_sgpr, 38
	.set _ZN9rocsparseL26bsric0_2_8_unrolled_kernelILi1ELi32ELi1EfEEv20rocsparse_direction_iiPKiS3_PT2_S3_PiS3_S6_21rocsparse_index_base_.num_named_barrier, 0
	.set _ZN9rocsparseL26bsric0_2_8_unrolled_kernelILi1ELi32ELi1EfEEv20rocsparse_direction_iiPKiS3_PT2_S3_PiS3_S6_21rocsparse_index_base_.private_seg_size, 0
	.set _ZN9rocsparseL26bsric0_2_8_unrolled_kernelILi1ELi32ELi1EfEEv20rocsparse_direction_iiPKiS3_PT2_S3_PiS3_S6_21rocsparse_index_base_.uses_vcc, 1
	.set _ZN9rocsparseL26bsric0_2_8_unrolled_kernelILi1ELi32ELi1EfEEv20rocsparse_direction_iiPKiS3_PT2_S3_PiS3_S6_21rocsparse_index_base_.uses_flat_scratch, 0
	.set _ZN9rocsparseL26bsric0_2_8_unrolled_kernelILi1ELi32ELi1EfEEv20rocsparse_direction_iiPKiS3_PT2_S3_PiS3_S6_21rocsparse_index_base_.has_dyn_sized_stack, 0
	.set _ZN9rocsparseL26bsric0_2_8_unrolled_kernelILi1ELi32ELi1EfEEv20rocsparse_direction_iiPKiS3_PT2_S3_PiS3_S6_21rocsparse_index_base_.has_recursion, 0
	.set _ZN9rocsparseL26bsric0_2_8_unrolled_kernelILi1ELi32ELi1EfEEv20rocsparse_direction_iiPKiS3_PT2_S3_PiS3_S6_21rocsparse_index_base_.has_indirect_call, 0
	.section	.AMDGPU.csdata,"",@progbits
; Kernel info:
; codeLenInByte = 2600
; TotalNumSgprs: 42
; NumVgprs: 53
; ScratchSize: 0
; MemoryBound: 0
; FloatMode: 240
; IeeeMode: 1
; LDSByteSize: 416 bytes/workgroup (compile time only)
; SGPRBlocks: 5
; VGPRBlocks: 13
; NumSGPRsForWavesPerEU: 42
; NumVGPRsForWavesPerEU: 53
; Occupancy: 4
; WaveLimiterHint : 1
; COMPUTE_PGM_RSRC2:SCRATCH_EN: 0
; COMPUTE_PGM_RSRC2:USER_SGPR: 6
; COMPUTE_PGM_RSRC2:TRAP_HANDLER: 0
; COMPUTE_PGM_RSRC2:TGID_X_EN: 1
; COMPUTE_PGM_RSRC2:TGID_Y_EN: 0
; COMPUTE_PGM_RSRC2:TGID_Z_EN: 0
; COMPUTE_PGM_RSRC2:TIDIG_COMP_CNT: 0
	.section	.text._ZN9rocsparseL26bsric0_2_8_unrolled_kernelILi4ELi32ELi2EfEEv20rocsparse_direction_iiPKiS3_PT2_S3_PiS3_S6_21rocsparse_index_base_,"axG",@progbits,_ZN9rocsparseL26bsric0_2_8_unrolled_kernelILi4ELi32ELi2EfEEv20rocsparse_direction_iiPKiS3_PT2_S3_PiS3_S6_21rocsparse_index_base_,comdat
	.globl	_ZN9rocsparseL26bsric0_2_8_unrolled_kernelILi4ELi32ELi2EfEEv20rocsparse_direction_iiPKiS3_PT2_S3_PiS3_S6_21rocsparse_index_base_ ; -- Begin function _ZN9rocsparseL26bsric0_2_8_unrolled_kernelILi4ELi32ELi2EfEEv20rocsparse_direction_iiPKiS3_PT2_S3_PiS3_S6_21rocsparse_index_base_
	.p2align	8
	.type	_ZN9rocsparseL26bsric0_2_8_unrolled_kernelILi4ELi32ELi2EfEEv20rocsparse_direction_iiPKiS3_PT2_S3_PiS3_S6_21rocsparse_index_base_,@function
_ZN9rocsparseL26bsric0_2_8_unrolled_kernelILi4ELi32ELi2EfEEv20rocsparse_direction_iiPKiS3_PT2_S3_PiS3_S6_21rocsparse_index_base_: ; @_ZN9rocsparseL26bsric0_2_8_unrolled_kernelILi4ELi32ELi2EfEEv20rocsparse_direction_iiPKiS3_PT2_S3_PiS3_S6_21rocsparse_index_base_
; %bb.0:
	s_load_dwordx8 s[8:15], s[4:5], 0x28
	s_mov_b32 s7, 0
	s_lshl_b64 s[0:1], s[6:7], 2
	s_waitcnt lgkmcnt(0)
	s_add_u32 s0, s12, s0
	s_addc_u32 s1, s13, s1
	s_load_dword s12, s[0:1], 0x0
	s_waitcnt lgkmcnt(0)
	s_ashr_i32 s13, s12, 31
	s_lshl_b64 s[6:7], s[12:13], 2
	s_add_u32 s0, s8, s6
	s_addc_u32 s1, s9, s7
	s_load_dword s30, s[0:1], 0x0
	s_load_dword s13, s[4:5], 0x48
	s_waitcnt lgkmcnt(0)
	s_cmp_lg_u32 s30, -1
	s_cbranch_scc0 .LBB3_6
; %bb.1:
	s_load_dwordx4 s[16:19], s[4:5], 0x10
	s_load_dwordx2 s[2:3], s[4:5], 0x20
	v_lshlrev_b32_e32 v11, 1, v1
	v_add_u32_e32 v10, v11, v0
	s_waitcnt lgkmcnt(0)
	s_add_u32 s0, s16, s6
	s_addc_u32 s1, s17, s7
	s_load_dword s0, s[0:1], 0x0
	s_waitcnt lgkmcnt(0)
	s_sub_i32 s31, s0, s13
	v_add_u32_e32 v2, s31, v10
	v_cmp_ge_i32_e32 vcc, s30, v2
	s_and_saveexec_b64 s[0:1], vcc
	s_cbranch_execz .LBB3_4
; %bb.2:
	v_lshlrev_b32_e32 v3, 2, v0
	v_lshl_add_u32 v3, v1, 3, v3
	v_or_b32_e32 v5, 0x100, v3
	v_ashrrev_i32_e32 v3, 31, v2
	v_lshlrev_b64 v[3:4], 2, v[2:3]
	v_mov_b32_e32 v6, s19
	v_add_co_u32_e32 v3, vcc, s18, v3
	v_addc_co_u32_e32 v4, vcc, v6, v4, vcc
	s_mov_b64 s[20:21], 0
.LBB3_3:                                ; =>This Inner Loop Header: Depth=1
	global_load_dword v6, v[3:4], off
	v_add_co_u32_e32 v3, vcc, 16, v3
	v_add_u32_e32 v2, 4, v2
	v_addc_co_u32_e32 v4, vcc, 0, v4, vcc
	v_cmp_lt_i32_e32 vcc, s30, v2
	s_or_b64 s[20:21], vcc, s[20:21]
	s_waitcnt vmcnt(0)
	v_subrev_u32_e32 v6, s13, v6
	ds_write_b32 v5, v6
	v_add_u32_e32 v5, 16, v5
	s_andn2_b64 exec, exec, s[20:21]
	s_cbranch_execnz .LBB3_3
.LBB3_4:
	s_or_b64 exec, exec, s[0:1]
	v_mov_b32_e32 v2, 0x1e0
	v_mad_u32_u24 v7, v1, 12, v2
	v_lshl_add_u32 v6, v0, 2, v7
	v_mov_b32_e32 v2, 0
	s_cmp_lt_i32 s31, s30
	ds_write_b32 v6, v2
	s_waitcnt lgkmcnt(0)
	s_cbranch_scc1 .LBB3_8
; %bb.5:
	v_lshl_add_u32 v13, v0, 1, v1
	v_or_b32_e32 v8, v0, v1
	s_mov_b64 s[0:1], 0
	s_branch .LBB3_9
.LBB3_6:
	s_cbranch_execnz .LBB3_74
.LBB3_7:
	s_endpgm
.LBB3_8:
	s_mov_b64 s[0:1], -1
                                        ; implicit-def: $vgpr13
                                        ; implicit-def: $vgpr8
.LBB3_9:
	s_load_dword s33, s[4:5], 0x0
	s_andn2_b64 vcc, exec, s[0:1]
	v_mul_u32_u24_e32 v12, 12, v1
	v_mul_u32_u24_e32 v9, 12, v0
	s_cbranch_vccnz .LBB3_55
; %bb.10:
	v_lshlrev_b32_e32 v2, 2, v0
	s_waitcnt lgkmcnt(0)
	s_cmp_lg_u32 s33, 0
	v_mad_u32_u24 v3, v1, 12, v2
	s_cselect_b64 s[4:5], -1, 0
	s_cmp_eq_u32 s33, 0
	v_lshlrev_b32_e32 v14, 1, v0
	v_or_b32_e32 v17, 0x180, v3
	v_mov_b32_e32 v3, 0x1a0
	v_add_u32_e32 v13, v14, v1
	v_or_b32_e32 v15, 0x1c0, v12
	v_mad_u32_u24 v20, v1, 12, v3
	v_or_b32_e32 v8, v0, v1
	s_cselect_b64 vcc, -1, 0
	v_add_u32_e32 v16, v15, v2
	v_add_u32_e32 v18, 2, v0
	;; [unrolled: 1-line block ×4, first 2 shown]
	v_or_b32_e32 v22, 0x1c0, v9
	v_cmp_ne_u32_e64 s[0:1], 0, v8
	v_cndmask_b32_e32 v23, v13, v10, vcc
	v_mov_b32_e32 v24, 0
	s_mov_b32 s20, s31
	s_branch .LBB3_13
.LBB3_11:                               ;   in Loop: Header=BB3_13 Depth=1
	s_or_b64 exec, exec, s[24:25]
	v_mov_b32_e32 v5, 1.0
.LBB3_12:                               ;   in Loop: Header=BB3_13 Depth=1
	s_or_b64 exec, exec, s[22:23]
	ds_read_b32 v25, v24 offset:396
	ds_read_b32 v26, v15
	ds_read_b32 v27, v20 offset:4
	s_add_i32 s20, s20, 1
	s_cmp_ge_i32 s20, s30
	s_waitcnt lgkmcnt(0)
	v_fmac_f32_e32 v27, v25, v26
	v_sub_f32_e32 v4, v4, v27
	v_div_scale_f32 v25, s[22:23], v5, v5, v4
	v_div_scale_f32 v26, vcc, v4, v5, v4
	s_cselect_b64 s[22:23], -1, 0
	v_rcp_f32_e32 v27, v25
	v_fma_f32 v28, -v25, v27, 1.0
	v_fmac_f32_e32 v27, v28, v27
	v_mul_f32_e32 v28, v26, v27
	v_fma_f32 v29, -v25, v28, v26
	v_fmac_f32_e32 v28, v29, v27
	v_fma_f32 v25, -v25, v28, v26
	v_div_fmas_f32 v25, v25, v27, v28
	v_div_fixup_f32 v4, v25, v5, v4
	ds_write_b32 v15, v4 offset:4
	s_waitcnt lgkmcnt(0)
	ds_read_b32 v5, v22 offset:4
	ds_read_b32 v25, v6
	s_waitcnt lgkmcnt(0)
	v_fmac_f32_e32 v25, v4, v5
	ds_write_b32 v6, v25
	s_waitcnt lgkmcnt(0)
	ds_read_b32 v4, v16
	s_waitcnt lgkmcnt(0)
	global_store_dword v[2:3], v4, off
	s_waitcnt vmcnt(0)
	buffer_wbinvl1_vol
	s_and_b64 vcc, exec, s[22:23]
	s_cbranch_vccnz .LBB3_55
.LBB3_13:                               ; =>This Loop Header: Depth=1
                                        ;     Child Loop BB3_16 Depth 2
                                        ;     Child Loop BB3_27 Depth 2
	;; [unrolled: 1-line block ×3, first 2 shown]
	s_ashr_i32 s21, s20, 31
	s_lshl_b64 s[22:23], s[20:21], 2
	s_add_u32 s22, s18, s22
	s_addc_u32 s23, s19, s23
	s_load_dword s21, s[22:23], 0x0
	s_waitcnt lgkmcnt(0)
	s_sub_i32 s24, s21, s13
	s_ashr_i32 s25, s24, 31
	s_lshl_b64 s[22:23], s[24:25], 2
	s_add_u32 s26, s8, s22
	s_addc_u32 s27, s9, s23
	s_load_dword s25, s[26:27], 0x0
	s_waitcnt lgkmcnt(0)
	s_cmp_eq_u32 s25, -1
	s_cbranch_scc1 .LBB3_40
; %bb.14:                               ;   in Loop: Header=BB3_13 Depth=1
	v_lshl_add_u32 v2, s20, 2, v23
	v_ashrrev_i32_e32 v3, 31, v2
	v_lshlrev_b64 v[2:3], 2, v[2:3]
	v_mov_b32_e32 v4, s3
	v_add_co_u32_e32 v2, vcc, s2, v2
	v_addc_co_u32_e32 v3, vcc, v4, v3, vcc
	global_load_dword v4, v[2:3], off
	s_add_u32 s26, s16, s22
	s_addc_u32 s27, s17, s23
	s_load_dword s26, s[26:27], 0x0
	ds_read_b32 v5, v24 offset:256
	s_mov_b32 s27, 0
	s_waitcnt lgkmcnt(0)
	s_sub_i32 s26, s26, s13
	s_cmp_le_i32 s26, s25
	v_cmp_ge_i32_e32 vcc, s24, v5
	s_cselect_b64 s[28:29], -1, 0
	s_and_b64 s[28:29], s[28:29], vcc
	s_andn2_b64 vcc, exec, s[28:29]
	s_waitcnt vmcnt(0)
	ds_write_b32 v16, v4
	s_cbranch_vccnz .LBB3_26
; %bb.15:                               ;   in Loop: Header=BB3_13 Depth=1
	s_mov_b32 s34, 0
	s_mov_b32 s35, 0
.LBB3_16:                               ;   Parent Loop BB3_13 Depth=1
                                        ; =>  This Inner Loop Header: Depth=2
	s_ashr_i32 s27, s26, 31
	s_lshl_b64 s[28:29], s[26:27], 2
	s_add_u32 s28, s18, s28
	s_addc_u32 s29, s19, s29
	s_load_dword s27, s[28:29], 0x0
	s_lshl_b32 s28, s35, 2
	v_mov_b32_e32 v4, s28
	ds_read_b32 v4, v4 offset:256
	s_mov_b64 s[28:29], -1
	s_waitcnt lgkmcnt(0)
	s_sub_i32 s39, s27, s13
                                        ; implicit-def: $sgpr27
                                        ; implicit-def: $sgpr38
                                        ; implicit-def: $sgpr37
	v_cmp_ge_i32_e32 vcc, s39, v4
	v_readfirstlane_b32 s36, v4
	s_cbranch_vccz .LBB3_22
; %bb.17:                               ;   in Loop: Header=BB3_16 Depth=2
	s_cmp_le_i32 s39, s36
                                        ; implicit-def: $sgpr27
                                        ; implicit-def: $sgpr38
                                        ; implicit-def: $sgpr37
	s_cbranch_scc0 .LBB3_19
; %bb.18:                               ;   in Loop: Header=BB3_16 Depth=2
	s_add_i32 s27, s35, s31
	s_lshl_b32 s27, s27, 2
	s_lshl_b32 s28, s34, 2
	v_mov_b32_e32 v5, s27
	s_lshl_b32 s27, s26, 2
	v_mov_b32_e32 v4, s28
	v_mov_b32_e32 v25, s27
	ds_write2_b32 v4, v25, v5 offset1:32
	s_add_i32 s37, s35, 1
	s_add_i32 s38, s26, 1
	;; [unrolled: 1-line block ×3, first 2 shown]
	s_mov_b64 s[28:29], 0
.LBB3_19:                               ;   in Loop: Header=BB3_16 Depth=2
	s_andn2_b64 vcc, exec, s[28:29]
	s_cbranch_vccnz .LBB3_21
; %bb.20:                               ;   in Loop: Header=BB3_16 Depth=2
	s_add_i32 s37, s35, 1
	s_mov_b32 s27, s34
	s_mov_b32 s38, s26
.LBB3_21:                               ;   in Loop: Header=BB3_16 Depth=2
	s_mov_b64 s[28:29], 0
.LBB3_22:                               ;   in Loop: Header=BB3_16 Depth=2
	s_andn2_b64 vcc, exec, s[28:29]
	s_cbranch_vccnz .LBB3_24
; %bb.23:                               ;   in Loop: Header=BB3_16 Depth=2
	s_add_i32 s38, s26, 1
	s_mov_b32 s37, s35
	s_mov_b32 s27, s34
.LBB3_24:                               ;   in Loop: Header=BB3_16 Depth=2
	s_cmp_le_i32 s38, s25
	s_cselect_b64 s[28:29], -1, 0
	s_cmp_le_i32 s36, s24
	s_cselect_b64 s[34:35], -1, 0
	s_and_b64 s[28:29], s[28:29], s[34:35]
	s_and_b64 vcc, exec, s[28:29]
	s_cbranch_vccz .LBB3_26
; %bb.25:                               ;   in Loop: Header=BB3_16 Depth=2
	s_mov_b32 s34, s27
	s_mov_b32 s26, s38
	;; [unrolled: 1-line block ×3, first 2 shown]
	s_branch .LBB3_16
.LBB3_26:                               ;   in Loop: Header=BB3_13 Depth=1
	s_add_u32 s22, s10, s22
	s_addc_u32 s23, s11, s23
	s_waitcnt lgkmcnt(0)
.LBB3_27:                               ;   Parent Loop BB3_13 Depth=1
                                        ; =>  This Inner Loop Header: Depth=2
	global_load_dword v4, v24, s[22:23] glc
	s_waitcnt vmcnt(0)
	v_cmp_eq_u32_e32 vcc, 0, v4
	s_cbranch_vccnz .LBB3_27
; %bb.28:                               ;   in Loop: Header=BB3_13 Depth=1
	v_lshl_add_u32 v4, s25, 2, v23
	v_ashrrev_i32_e32 v5, 31, v4
	v_lshlrev_b64 v[4:5], 2, v[4:5]
	v_mov_b32_e32 v25, s3
	v_add_co_u32_e32 v4, vcc, s2, v4
	v_addc_co_u32_e32 v5, vcc, v25, v5, vcc
	buffer_wbinvl1_vol
	global_load_dword v4, v[4:5], off
	s_cmp_lt_i32 s27, 2
	v_mov_b32_e32 v25, 0
	s_waitcnt vmcnt(0)
	ds_write_b32 v17, v4
	s_waitcnt lgkmcnt(0)
	s_cbranch_scc1 .LBB3_48
; %bb.29:                               ;   in Loop: Header=BB3_13 Depth=1
	s_add_i32 s24, s27, -1
	s_cmp_eq_u32 s27, 2
	s_cbranch_scc1 .LBB3_41
; %bb.30:                               ;   in Loop: Header=BB3_13 Depth=1
	s_and_b32 s25, s24, -2
	s_mov_b32 s26, 0
	v_mov_b32_e32 v25, 0
	s_mov_b32 s27, 0
	s_branch .LBB3_32
.LBB3_31:                               ;   in Loop: Header=BB3_32 Depth=2
	s_add_i32 s27, s27, 2
	s_add_i32 s26, s26, 8
	s_cmp_eq_u32 s25, s27
	s_cbranch_scc1 .LBB3_42
.LBB3_32:                               ;   Parent Loop BB3_13 Depth=1
                                        ; =>  This Inner Loop Header: Depth=2
	s_waitcnt lgkmcnt(0)
	v_mov_b32_e32 v4, s26
	ds_read2_b32 v[4:5], v4 offset1:32
	s_mov_b64 s[22:23], -1
	s_and_b64 vcc, exec, s[4:5]
                                        ; implicit-def: $vgpr26
	s_cbranch_vccz .LBB3_34
; %bb.33:                               ;   in Loop: Header=BB3_32 Depth=2
	s_waitcnt lgkmcnt(0)
	v_add_u32_e32 v26, v4, v0
	v_ashrrev_i32_e32 v27, 31, v26
	v_lshlrev_b64 v[26:27], 2, v[26:27]
	v_mov_b32_e32 v28, s3
	v_add_co_u32_e32 v26, vcc, s2, v26
	v_addc_co_u32_e32 v27, vcc, v28, v27, vcc
	v_add_u32_e32 v28, v5, v1
	v_ashrrev_i32_e32 v29, 31, v28
	v_lshlrev_b64 v[28:29], 2, v[28:29]
	v_mov_b32_e32 v30, s3
	v_add_co_u32_e32 v28, vcc, s2, v28
	v_addc_co_u32_e32 v29, vcc, v30, v29, vcc
	;; [unrolled: 6-line block ×4, first 2 shown]
	global_load_dword v34, v[26:27], off
	global_load_dword v35, v[28:29], off
	;; [unrolled: 1-line block ×4, first 2 shown]
	s_mov_b64 s[22:23], 0
	s_waitcnt vmcnt(2)
	v_fma_f32 v26, v34, v35, v25
	s_waitcnt vmcnt(0)
	v_fmac_f32_e32 v26, v36, v37
.LBB3_34:                               ;   in Loop: Header=BB3_32 Depth=2
	s_andn2_b64 vcc, exec, s[22:23]
	s_cbranch_vccnz .LBB3_36
; %bb.35:                               ;   in Loop: Header=BB3_32 Depth=2
	s_waitcnt lgkmcnt(0)
	v_add_u32_e32 v26, v4, v14
	v_ashrrev_i32_e32 v27, 31, v26
	v_lshlrev_b64 v[26:27], 2, v[26:27]
	v_mov_b32_e32 v4, s3
	v_add_co_u32_e32 v26, vcc, s2, v26
	v_addc_co_u32_e32 v27, vcc, v4, v27, vcc
	v_add_u32_e32 v4, v5, v11
	v_ashrrev_i32_e32 v5, 31, v4
	v_lshlrev_b64 v[4:5], 2, v[4:5]
	v_mov_b32_e32 v28, s3
	v_add_co_u32_e32 v4, vcc, s2, v4
	v_addc_co_u32_e32 v5, vcc, v28, v5, vcc
	global_load_dwordx2 v[28:29], v[26:27], off
	global_load_dwordx2 v[30:31], v[4:5], off
	s_waitcnt vmcnt(0)
	v_fmac_f32_e32 v25, v28, v30
	v_fmac_f32_e32 v25, v29, v31
	v_mov_b32_e32 v26, v25
.LBB3_36:                               ;   in Loop: Header=BB3_32 Depth=2
	s_waitcnt lgkmcnt(0)
	v_mov_b32_e32 v4, s26
	ds_read2_b32 v[4:5], v4 offset0:1 offset1:33
	s_andn2_b64 vcc, exec, s[4:5]
	s_mov_b64 s[22:23], -1
                                        ; implicit-def: $vgpr25
	s_cbranch_vccnz .LBB3_38
; %bb.37:                               ;   in Loop: Header=BB3_32 Depth=2
	s_waitcnt lgkmcnt(0)
	v_add_u32_e32 v27, v4, v0
	v_ashrrev_i32_e32 v28, 31, v27
	v_lshlrev_b64 v[27:28], 2, v[27:28]
	v_add_u32_e32 v29, v5, v1
	v_ashrrev_i32_e32 v30, 31, v29
	v_mov_b32_e32 v25, s3
	v_add_co_u32_e32 v27, vcc, s2, v27
	v_lshlrev_b64 v[29:30], 2, v[29:30]
	v_add_u32_e32 v31, v18, v4
	v_addc_co_u32_e32 v28, vcc, v25, v28, vcc
	v_ashrrev_i32_e32 v32, 31, v31
	v_add_co_u32_e32 v29, vcc, s2, v29
	v_lshlrev_b64 v[31:32], 2, v[31:32]
	v_add_u32_e32 v33, v19, v5
	v_addc_co_u32_e32 v30, vcc, v25, v30, vcc
	v_ashrrev_i32_e32 v34, 31, v33
	v_add_co_u32_e32 v31, vcc, s2, v31
	v_lshlrev_b64 v[33:34], 2, v[33:34]
	v_addc_co_u32_e32 v32, vcc, v25, v32, vcc
	v_add_co_u32_e32 v33, vcc, s2, v33
	v_addc_co_u32_e32 v34, vcc, v25, v34, vcc
	global_load_dword v25, v[27:28], off
	global_load_dword v35, v[29:30], off
	;; [unrolled: 1-line block ×4, first 2 shown]
	s_mov_b64 s[22:23], 0
	s_waitcnt vmcnt(2)
	v_fma_f32 v25, v25, v35, v26
	s_waitcnt vmcnt(0)
	v_fmac_f32_e32 v25, v36, v37
.LBB3_38:                               ;   in Loop: Header=BB3_32 Depth=2
	s_andn2_b64 vcc, exec, s[22:23]
	s_cbranch_vccnz .LBB3_31
; %bb.39:                               ;   in Loop: Header=BB3_32 Depth=2
	s_waitcnt lgkmcnt(0)
	v_add_u32_e32 v27, v4, v14
	v_ashrrev_i32_e32 v28, 31, v27
	v_lshlrev_b64 v[27:28], 2, v[27:28]
	v_mov_b32_e32 v4, s3
	v_add_co_u32_e32 v27, vcc, s2, v27
	v_addc_co_u32_e32 v28, vcc, v4, v28, vcc
	v_add_u32_e32 v4, v5, v11
	v_ashrrev_i32_e32 v5, 31, v4
	v_lshlrev_b64 v[4:5], 2, v[4:5]
	v_mov_b32_e32 v25, s3
	v_add_co_u32_e32 v4, vcc, s2, v4
	v_addc_co_u32_e32 v5, vcc, v25, v5, vcc
	global_load_dwordx2 v[29:30], v[27:28], off
	global_load_dwordx2 v[31:32], v[4:5], off
	s_waitcnt vmcnt(0)
	v_fmac_f32_e32 v26, v29, v31
	v_fmac_f32_e32 v26, v30, v32
	v_mov_b32_e32 v25, v26
	s_branch .LBB3_31
.LBB3_40:                               ;   in Loop: Header=BB3_13 Depth=1
                                        ; implicit-def: $sgpr20
	s_cbranch_execz .LBB3_13
	s_branch .LBB3_55
.LBB3_41:                               ;   in Loop: Header=BB3_13 Depth=1
	v_mov_b32_e32 v25, 0
	s_mov_b32 s25, 0
.LBB3_42:                               ;   in Loop: Header=BB3_13 Depth=1
	s_bitcmp0_b32 s24, 0
	s_cbranch_scc1 .LBB3_48
; %bb.43:                               ;   in Loop: Header=BB3_13 Depth=1
	s_lshl_b32 s22, s25, 2
	s_waitcnt lgkmcnt(0)
	v_mov_b32_e32 v4, s22
	ds_read2_b32 v[4:5], v4 offset1:32
	s_andn2_b64 vcc, exec, s[4:5]
	s_mov_b64 s[22:23], -1
                                        ; implicit-def: $vgpr26
	s_cbranch_vccnz .LBB3_45
; %bb.44:                               ;   in Loop: Header=BB3_13 Depth=1
	s_waitcnt lgkmcnt(0)
	v_add_u32_e32 v26, v4, v0
	v_ashrrev_i32_e32 v27, 31, v26
	v_lshlrev_b64 v[26:27], 2, v[26:27]
	v_mov_b32_e32 v28, s3
	v_add_co_u32_e32 v26, vcc, s2, v26
	v_addc_co_u32_e32 v27, vcc, v28, v27, vcc
	v_add_u32_e32 v28, v5, v1
	v_ashrrev_i32_e32 v29, 31, v28
	v_lshlrev_b64 v[28:29], 2, v[28:29]
	v_mov_b32_e32 v30, s3
	v_add_co_u32_e32 v28, vcc, s2, v28
	v_addc_co_u32_e32 v29, vcc, v30, v29, vcc
	;; [unrolled: 6-line block ×4, first 2 shown]
	global_load_dword v34, v[26:27], off
	global_load_dword v35, v[28:29], off
	;; [unrolled: 1-line block ×4, first 2 shown]
	s_mov_b64 s[22:23], 0
	s_waitcnt vmcnt(2)
	v_fma_f32 v26, v34, v35, v25
	s_waitcnt vmcnt(0)
	v_fmac_f32_e32 v26, v36, v37
.LBB3_45:                               ;   in Loop: Header=BB3_13 Depth=1
	s_andn2_b64 vcc, exec, s[22:23]
	s_cbranch_vccnz .LBB3_47
; %bb.46:                               ;   in Loop: Header=BB3_13 Depth=1
	s_waitcnt lgkmcnt(0)
	v_add_u32_e32 v26, v4, v14
	v_ashrrev_i32_e32 v27, 31, v26
	v_lshlrev_b64 v[26:27], 2, v[26:27]
	v_mov_b32_e32 v4, s3
	v_add_co_u32_e32 v26, vcc, s2, v26
	v_addc_co_u32_e32 v27, vcc, v4, v27, vcc
	v_add_u32_e32 v4, v5, v11
	v_ashrrev_i32_e32 v5, 31, v4
	v_lshlrev_b64 v[4:5], 2, v[4:5]
	v_mov_b32_e32 v28, s3
	v_add_co_u32_e32 v4, vcc, s2, v4
	v_addc_co_u32_e32 v5, vcc, v28, v5, vcc
	global_load_dwordx2 v[28:29], v[26:27], off
	global_load_dwordx2 v[30:31], v[4:5], off
	s_waitcnt vmcnt(0)
	v_fmac_f32_e32 v25, v28, v30
	v_fmac_f32_e32 v25, v29, v31
	v_mov_b32_e32 v26, v25
.LBB3_47:                               ;   in Loop: Header=BB3_13 Depth=1
	v_mov_b32_e32 v25, v26
.LBB3_48:                               ;   in Loop: Header=BB3_13 Depth=1
	ds_write_b32 v21, v25
	s_waitcnt lgkmcnt(0)
	ds_read_b32 v5, v24 offset:384
	ds_read_b32 v4, v15
	s_waitcnt lgkmcnt(1)
	v_cmp_neq_f32_e32 vcc, 0, v5
	v_cndmask_b32_e32 v5, 1.0, v5, vcc
	s_nor_b64 s[24:25], vcc, s[0:1]
	s_and_saveexec_b64 s[22:23], s[24:25]
	s_cbranch_execz .LBB3_52
; %bb.49:                               ;   in Loop: Header=BB3_13 Depth=1
	v_mbcnt_lo_u32_b32 v5, exec_lo, 0
	v_mbcnt_hi_u32_b32 v5, exec_hi, v5
	v_cmp_eq_u32_e32 vcc, 0, v5
	s_and_saveexec_b64 s[24:25], vcc
	s_cbranch_execz .LBB3_51
; %bb.50:                               ;   in Loop: Header=BB3_13 Depth=1
	v_mov_b32_e32 v5, s21
	global_atomic_smin v24, v5, s[14:15]
.LBB3_51:                               ;   in Loop: Header=BB3_13 Depth=1
	s_or_b64 exec, exec, s[24:25]
	v_mov_b32_e32 v5, 1.0
.LBB3_52:                               ;   in Loop: Header=BB3_13 Depth=1
	s_or_b64 exec, exec, s[22:23]
	ds_read_b32 v25, v20
	s_waitcnt lgkmcnt(0)
	v_sub_f32_e32 v4, v4, v25
	v_div_scale_f32 v25, s[22:23], v5, v5, v4
	v_div_scale_f32 v26, vcc, v4, v5, v4
	v_rcp_f32_e32 v27, v25
	v_fma_f32 v28, -v25, v27, 1.0
	v_fmac_f32_e32 v27, v28, v27
	v_mul_f32_e32 v28, v26, v27
	v_fma_f32 v29, -v25, v28, v26
	v_fmac_f32_e32 v28, v29, v27
	v_fma_f32 v25, -v25, v28, v26
	v_div_fmas_f32 v25, v25, v27, v28
	v_div_fixup_f32 v4, v25, v5, v4
	ds_write_b32 v15, v4
	s_waitcnt lgkmcnt(0)
	ds_read_b32 v5, v22
	ds_read_b32 v25, v6
	s_waitcnt lgkmcnt(0)
	v_fmac_f32_e32 v25, v4, v5
	ds_write_b32 v6, v25
	s_waitcnt lgkmcnt(0)
	ds_read_b32 v5, v24 offset:400
	ds_read_b32 v4, v15 offset:4
	s_waitcnt lgkmcnt(1)
	v_cmp_neq_f32_e32 vcc, 0, v5
	v_cndmask_b32_e32 v5, 1.0, v5, vcc
	s_nor_b64 s[24:25], vcc, s[0:1]
	s_and_saveexec_b64 s[22:23], s[24:25]
	s_cbranch_execz .LBB3_12
; %bb.53:                               ;   in Loop: Header=BB3_13 Depth=1
	v_mbcnt_lo_u32_b32 v5, exec_lo, 0
	v_mbcnt_hi_u32_b32 v5, exec_hi, v5
	v_cmp_eq_u32_e32 vcc, 0, v5
	s_and_saveexec_b64 s[24:25], vcc
	s_cbranch_execz .LBB3_11
; %bb.54:                               ;   in Loop: Header=BB3_13 Depth=1
	v_mov_b32_e32 v5, s21
	global_atomic_smin v24, v5, s[14:15]
	s_branch .LBB3_11
.LBB3_55:
	s_waitcnt lgkmcnt(0)
	s_cmp_eq_u32 s33, 0
	s_cselect_b64 vcc, -1, 0
	v_cndmask_b32_e32 v2, v13, v10, vcc
	v_lshl_add_u32 v2, s30, 2, v2
	v_ashrrev_i32_e32 v3, 31, v2
	v_lshlrev_b64 v[2:3], 2, v[2:3]
	v_mov_b32_e32 v4, s3
	v_add_co_u32_e32 v2, vcc, s2, v2
	v_addc_co_u32_e32 v3, vcc, v4, v3, vcc
	global_load_dword v10, v[2:3], off
	v_or_b32_e32 v5, 0x1c0, v12
	v_cmp_ne_u32_e32 vcc, 0, v1
	v_lshl_add_u32 v4, v0, 2, v5
	v_cmp_eq_u32_e64 s[0:1], 0, v1
	s_waitcnt vmcnt(0)
	ds_write_b32 v4, v10
	s_waitcnt lgkmcnt(0)
	s_and_saveexec_b64 s[4:5], s[0:1]
	s_cbranch_execz .LBB3_57
; %bb.56:
	v_mov_b32_e32 v12, 0
	ds_read2_b32 v[10:11], v12 offset0:112 offset1:120
	s_mov_b32 s2, 0xf800000
	s_waitcnt lgkmcnt(0)
	v_sub_f32_e32 v10, v10, v11
	v_cmp_gt_f32_e64 s[0:1], 0, v10
	v_cndmask_b32_e64 v10, v10, -v10, s[0:1]
	v_mul_f32_e32 v11, 0x4f800000, v10
	v_cmp_gt_f32_e64 s[0:1], s2, v10
	v_cndmask_b32_e64 v10, v10, v11, s[0:1]
	v_sqrt_f32_e32 v11, v10
	v_add_u32_e32 v13, -1, v11
	v_add_u32_e32 v14, 1, v11
	v_fma_f32 v15, -v13, v11, v10
	v_fma_f32 v16, -v14, v11, v10
	v_cmp_ge_f32_e64 s[2:3], 0, v15
	v_cndmask_b32_e64 v11, v11, v13, s[2:3]
	v_cmp_lt_f32_e64 s[2:3], 0, v16
	v_cndmask_b32_e64 v11, v11, v14, s[2:3]
	v_mul_f32_e32 v13, 0x37800000, v11
	v_cndmask_b32_e64 v11, v11, v13, s[0:1]
	v_mov_b32_e32 v13, 0x260
	v_cmp_class_f32_e64 s[0:1], v10, v13
	v_cndmask_b32_e64 v10, v11, v10, s[0:1]
	ds_write_b32 v12, v10 offset:448
.LBB3_57:
	s_or_b64 exec, exec, s[4:5]
	v_mov_b32_e32 v10, 0
	s_waitcnt lgkmcnt(0)
	ds_read_b32 v10, v10 offset:448
	v_cmp_ne_u32_e64 s[0:1], 0, v8
	s_add_i32 s16, s12, s13
	s_waitcnt lgkmcnt(0)
	v_cmp_neq_f32_e64 s[2:3], 0, v10
	v_cndmask_b32_e64 v10, 1.0, v10, s[2:3]
	s_nor_b64 s[2:3], s[2:3], s[0:1]
	s_and_saveexec_b64 s[4:5], s[2:3]
	s_cbranch_execz .LBB3_61
; %bb.58:
	v_mbcnt_lo_u32_b32 v10, exec_lo, 0
	v_mbcnt_hi_u32_b32 v10, exec_hi, v10
	v_cmp_eq_u32_e64 s[2:3], 0, v10
	s_and_saveexec_b64 s[8:9], s[2:3]
	s_cbranch_execz .LBB3_60
; %bb.59:
	v_mov_b32_e32 v10, 0
	v_mov_b32_e32 v11, s16
	global_atomic_smin v10, v11, s[14:15]
.LBB3_60:
	s_or_b64 exec, exec, s[8:9]
	v_mov_b32_e32 v10, 1.0
.LBB3_61:
	s_or_b64 exec, exec, s[4:5]
	v_or_b32_e32 v9, 0x1c0, v9
	s_and_saveexec_b64 s[2:3], vcc
	s_cbranch_execz .LBB3_63
; %bb.62:
	ds_read_b32 v11, v5
	ds_read_b32 v12, v7
	s_waitcnt lgkmcnt(0)
	v_sub_f32_e32 v11, v11, v12
	v_div_scale_f32 v12, s[4:5], v10, v10, v11
	v_div_scale_f32 v13, vcc, v11, v10, v11
	v_rcp_f32_e32 v14, v12
	v_fma_f32 v15, -v12, v14, 1.0
	v_fmac_f32_e32 v14, v15, v14
	v_mul_f32_e32 v15, v13, v14
	v_fma_f32 v16, -v12, v15, v13
	v_fmac_f32_e32 v15, v16, v14
	v_fma_f32 v12, -v12, v15, v13
	v_div_fmas_f32 v12, v12, v14, v15
	v_div_fixup_f32 v10, v12, v10, v11
	ds_write_b32 v5, v10
	s_waitcnt lgkmcnt(0)
	ds_read_b32 v11, v9
	ds_read_b32 v12, v6
	s_waitcnt lgkmcnt(0)
	v_fmac_f32_e32 v12, v10, v11
	ds_write_b32 v6, v12
.LBB3_63:
	s_or_b64 exec, exec, s[2:3]
	v_cmp_eq_u32_e32 vcc, 1, v1
	s_waitcnt lgkmcnt(0)
	s_and_saveexec_b64 s[4:5], vcc
	s_cbranch_execz .LBB3_65
; %bb.64:
	v_mov_b32_e32 v12, 0
	ds_read2_b32 v[10:11], v12 offset0:116 offset1:124
	s_mov_b32 s2, 0xf800000
	s_waitcnt lgkmcnt(0)
	v_sub_f32_e32 v10, v10, v11
	v_cmp_gt_f32_e32 vcc, 0, v10
	v_cndmask_b32_e64 v10, v10, -v10, vcc
	v_mul_f32_e32 v11, 0x4f800000, v10
	v_cmp_gt_f32_e32 vcc, s2, v10
	v_cndmask_b32_e32 v10, v10, v11, vcc
	v_sqrt_f32_e32 v11, v10
	v_add_u32_e32 v13, -1, v11
	v_add_u32_e32 v14, 1, v11
	v_fma_f32 v15, -v13, v11, v10
	v_fma_f32 v16, -v14, v11, v10
	v_cmp_ge_f32_e64 s[2:3], 0, v15
	v_cndmask_b32_e64 v11, v11, v13, s[2:3]
	v_cmp_lt_f32_e64 s[2:3], 0, v16
	v_cndmask_b32_e64 v11, v11, v14, s[2:3]
	v_mul_f32_e32 v13, 0x37800000, v11
	v_cndmask_b32_e32 v11, v11, v13, vcc
	v_mov_b32_e32 v13, 0x260
	v_cmp_class_f32_e32 vcc, v10, v13
	v_cndmask_b32_e32 v10, v11, v10, vcc
	ds_write_b32 v12, v10 offset:464
.LBB3_65:
	s_or_b64 exec, exec, s[4:5]
	v_mov_b32_e32 v10, 0
	s_waitcnt lgkmcnt(0)
	ds_read_b32 v10, v10 offset:464
	s_waitcnt lgkmcnt(0)
	v_cmp_neq_f32_e32 vcc, 0, v10
	v_cndmask_b32_e32 v10, 1.0, v10, vcc
	s_nor_b64 s[2:3], vcc, s[0:1]
	s_and_saveexec_b64 s[0:1], s[2:3]
	s_cbranch_execz .LBB3_69
; %bb.66:
	v_mbcnt_lo_u32_b32 v10, exec_lo, 0
	v_mbcnt_hi_u32_b32 v10, exec_hi, v10
	v_cmp_eq_u32_e32 vcc, 0, v10
	s_and_saveexec_b64 s[2:3], vcc
	s_cbranch_execz .LBB3_68
; %bb.67:
	v_mov_b32_e32 v10, 0
	v_mov_b32_e32 v11, s16
	global_atomic_smin v10, v11, s[14:15]
.LBB3_68:
	s_or_b64 exec, exec, s[2:3]
	v_mov_b32_e32 v10, 1.0
.LBB3_69:
	s_or_b64 exec, exec, s[0:1]
	v_cmp_lt_u32_e32 vcc, 1, v1
	s_and_saveexec_b64 s[0:1], vcc
	s_cbranch_execz .LBB3_71
; %bb.70:
	ds_read_b32 v11, v5 offset:4
	ds_read_b32 v7, v7 offset:4
	s_waitcnt lgkmcnt(0)
	v_sub_f32_e32 v7, v11, v7
	v_div_scale_f32 v11, s[2:3], v10, v10, v7
	v_div_scale_f32 v12, vcc, v7, v10, v7
	v_rcp_f32_e32 v13, v11
	v_fma_f32 v14, -v11, v13, 1.0
	v_fmac_f32_e32 v13, v14, v13
	v_mul_f32_e32 v14, v12, v13
	v_fma_f32 v15, -v11, v14, v12
	v_fmac_f32_e32 v14, v15, v13
	v_fma_f32 v11, -v11, v14, v12
	v_div_fmas_f32 v11, v11, v13, v14
	v_div_fixup_f32 v7, v11, v10, v7
	ds_write_b32 v5, v7 offset:4
	s_waitcnt lgkmcnt(0)
	ds_read_b32 v5, v9 offset:4
	ds_read_b32 v9, v6
	s_waitcnt lgkmcnt(0)
	v_fmac_f32_e32 v9, v7, v5
	ds_write_b32 v6, v9
.LBB3_71:
	s_or_b64 exec, exec, s[0:1]
	s_waitcnt lgkmcnt(0)
	ds_read_b32 v4, v4
	v_cmp_eq_u32_e32 vcc, 0, v8
	s_waitcnt lgkmcnt(0)
	global_store_dword v[2:3], v4, off
	s_and_saveexec_b64 s[0:1], vcc
	s_cbranch_execz .LBB3_73
; %bb.72:
	s_add_u32 s2, s10, s6
	s_addc_u32 s3, s11, s7
	v_mov_b32_e32 v2, 0
	v_mov_b32_e32 v3, 1
	s_waitcnt vmcnt(0)
	global_store_dword v2, v3, s[2:3]
.LBB3_73:
	s_or_b64 exec, exec, s[0:1]
	s_branch .LBB3_7
.LBB3_74:
	v_or_b32_e32 v0, v0, v1
	v_cmp_eq_u32_e32 vcc, 0, v0
	s_and_saveexec_b64 s[0:1], vcc
	s_cbranch_execz .LBB3_7
; %bb.75:
	v_mbcnt_lo_u32_b32 v0, exec_lo, 0
	v_mbcnt_hi_u32_b32 v0, exec_hi, v0
	v_cmp_eq_u32_e32 vcc, 0, v0
	s_and_saveexec_b64 s[0:1], vcc
	s_cbranch_execz .LBB3_77
; %bb.76:
	s_add_i32 s2, s12, s13
	v_mov_b32_e32 v0, 0
	v_mov_b32_e32 v1, s2
	global_atomic_smin v0, v1, s[14:15]
.LBB3_77:
	s_or_b64 exec, exec, s[0:1]
	s_add_u32 s0, s10, s6
	s_addc_u32 s1, s11, s7
	v_mov_b32_e32 v0, 0
	v_mov_b32_e32 v1, 1
	s_waitcnt vmcnt(0)
	global_store_dword v0, v1, s[0:1]
	s_endpgm
	.section	.rodata,"a",@progbits
	.p2align	6, 0x0
	.amdhsa_kernel _ZN9rocsparseL26bsric0_2_8_unrolled_kernelILi4ELi32ELi2EfEEv20rocsparse_direction_iiPKiS3_PT2_S3_PiS3_S6_21rocsparse_index_base_
		.amdhsa_group_segment_fixed_size 504
		.amdhsa_private_segment_fixed_size 0
		.amdhsa_kernarg_size 76
		.amdhsa_user_sgpr_count 6
		.amdhsa_user_sgpr_private_segment_buffer 1
		.amdhsa_user_sgpr_dispatch_ptr 0
		.amdhsa_user_sgpr_queue_ptr 0
		.amdhsa_user_sgpr_kernarg_segment_ptr 1
		.amdhsa_user_sgpr_dispatch_id 0
		.amdhsa_user_sgpr_flat_scratch_init 0
		.amdhsa_user_sgpr_private_segment_size 0
		.amdhsa_uses_dynamic_stack 0
		.amdhsa_system_sgpr_private_segment_wavefront_offset 0
		.amdhsa_system_sgpr_workgroup_id_x 1
		.amdhsa_system_sgpr_workgroup_id_y 0
		.amdhsa_system_sgpr_workgroup_id_z 0
		.amdhsa_system_sgpr_workgroup_info 0
		.amdhsa_system_vgpr_workitem_id 1
		.amdhsa_next_free_vgpr 38
		.amdhsa_next_free_sgpr 40
		.amdhsa_reserve_vcc 1
		.amdhsa_reserve_flat_scratch 0
		.amdhsa_float_round_mode_32 0
		.amdhsa_float_round_mode_16_64 0
		.amdhsa_float_denorm_mode_32 3
		.amdhsa_float_denorm_mode_16_64 3
		.amdhsa_dx10_clamp 1
		.amdhsa_ieee_mode 1
		.amdhsa_fp16_overflow 0
		.amdhsa_exception_fp_ieee_invalid_op 0
		.amdhsa_exception_fp_denorm_src 0
		.amdhsa_exception_fp_ieee_div_zero 0
		.amdhsa_exception_fp_ieee_overflow 0
		.amdhsa_exception_fp_ieee_underflow 0
		.amdhsa_exception_fp_ieee_inexact 0
		.amdhsa_exception_int_div_zero 0
	.end_amdhsa_kernel
	.section	.text._ZN9rocsparseL26bsric0_2_8_unrolled_kernelILi4ELi32ELi2EfEEv20rocsparse_direction_iiPKiS3_PT2_S3_PiS3_S6_21rocsparse_index_base_,"axG",@progbits,_ZN9rocsparseL26bsric0_2_8_unrolled_kernelILi4ELi32ELi2EfEEv20rocsparse_direction_iiPKiS3_PT2_S3_PiS3_S6_21rocsparse_index_base_,comdat
.Lfunc_end3:
	.size	_ZN9rocsparseL26bsric0_2_8_unrolled_kernelILi4ELi32ELi2EfEEv20rocsparse_direction_iiPKiS3_PT2_S3_PiS3_S6_21rocsparse_index_base_, .Lfunc_end3-_ZN9rocsparseL26bsric0_2_8_unrolled_kernelILi4ELi32ELi2EfEEv20rocsparse_direction_iiPKiS3_PT2_S3_PiS3_S6_21rocsparse_index_base_
                                        ; -- End function
	.set _ZN9rocsparseL26bsric0_2_8_unrolled_kernelILi4ELi32ELi2EfEEv20rocsparse_direction_iiPKiS3_PT2_S3_PiS3_S6_21rocsparse_index_base_.num_vgpr, 38
	.set _ZN9rocsparseL26bsric0_2_8_unrolled_kernelILi4ELi32ELi2EfEEv20rocsparse_direction_iiPKiS3_PT2_S3_PiS3_S6_21rocsparse_index_base_.num_agpr, 0
	.set _ZN9rocsparseL26bsric0_2_8_unrolled_kernelILi4ELi32ELi2EfEEv20rocsparse_direction_iiPKiS3_PT2_S3_PiS3_S6_21rocsparse_index_base_.numbered_sgpr, 40
	.set _ZN9rocsparseL26bsric0_2_8_unrolled_kernelILi4ELi32ELi2EfEEv20rocsparse_direction_iiPKiS3_PT2_S3_PiS3_S6_21rocsparse_index_base_.num_named_barrier, 0
	.set _ZN9rocsparseL26bsric0_2_8_unrolled_kernelILi4ELi32ELi2EfEEv20rocsparse_direction_iiPKiS3_PT2_S3_PiS3_S6_21rocsparse_index_base_.private_seg_size, 0
	.set _ZN9rocsparseL26bsric0_2_8_unrolled_kernelILi4ELi32ELi2EfEEv20rocsparse_direction_iiPKiS3_PT2_S3_PiS3_S6_21rocsparse_index_base_.uses_vcc, 1
	.set _ZN9rocsparseL26bsric0_2_8_unrolled_kernelILi4ELi32ELi2EfEEv20rocsparse_direction_iiPKiS3_PT2_S3_PiS3_S6_21rocsparse_index_base_.uses_flat_scratch, 0
	.set _ZN9rocsparseL26bsric0_2_8_unrolled_kernelILi4ELi32ELi2EfEEv20rocsparse_direction_iiPKiS3_PT2_S3_PiS3_S6_21rocsparse_index_base_.has_dyn_sized_stack, 0
	.set _ZN9rocsparseL26bsric0_2_8_unrolled_kernelILi4ELi32ELi2EfEEv20rocsparse_direction_iiPKiS3_PT2_S3_PiS3_S6_21rocsparse_index_base_.has_recursion, 0
	.set _ZN9rocsparseL26bsric0_2_8_unrolled_kernelILi4ELi32ELi2EfEEv20rocsparse_direction_iiPKiS3_PT2_S3_PiS3_S6_21rocsparse_index_base_.has_indirect_call, 0
	.section	.AMDGPU.csdata,"",@progbits
; Kernel info:
; codeLenInByte = 3676
; TotalNumSgprs: 44
; NumVgprs: 38
; ScratchSize: 0
; MemoryBound: 0
; FloatMode: 240
; IeeeMode: 1
; LDSByteSize: 504 bytes/workgroup (compile time only)
; SGPRBlocks: 5
; VGPRBlocks: 9
; NumSGPRsForWavesPerEU: 44
; NumVGPRsForWavesPerEU: 38
; Occupancy: 6
; WaveLimiterHint : 1
; COMPUTE_PGM_RSRC2:SCRATCH_EN: 0
; COMPUTE_PGM_RSRC2:USER_SGPR: 6
; COMPUTE_PGM_RSRC2:TRAP_HANDLER: 0
; COMPUTE_PGM_RSRC2:TGID_X_EN: 1
; COMPUTE_PGM_RSRC2:TGID_Y_EN: 0
; COMPUTE_PGM_RSRC2:TGID_Z_EN: 0
; COMPUTE_PGM_RSRC2:TIDIG_COMP_CNT: 1
	.section	.text._ZN9rocsparseL26bsric0_2_8_unrolled_kernelILi9ELi32ELi3EfEEv20rocsparse_direction_iiPKiS3_PT2_S3_PiS3_S6_21rocsparse_index_base_,"axG",@progbits,_ZN9rocsparseL26bsric0_2_8_unrolled_kernelILi9ELi32ELi3EfEEv20rocsparse_direction_iiPKiS3_PT2_S3_PiS3_S6_21rocsparse_index_base_,comdat
	.globl	_ZN9rocsparseL26bsric0_2_8_unrolled_kernelILi9ELi32ELi3EfEEv20rocsparse_direction_iiPKiS3_PT2_S3_PiS3_S6_21rocsparse_index_base_ ; -- Begin function _ZN9rocsparseL26bsric0_2_8_unrolled_kernelILi9ELi32ELi3EfEEv20rocsparse_direction_iiPKiS3_PT2_S3_PiS3_S6_21rocsparse_index_base_
	.p2align	8
	.type	_ZN9rocsparseL26bsric0_2_8_unrolled_kernelILi9ELi32ELi3EfEEv20rocsparse_direction_iiPKiS3_PT2_S3_PiS3_S6_21rocsparse_index_base_,@function
_ZN9rocsparseL26bsric0_2_8_unrolled_kernelILi9ELi32ELi3EfEEv20rocsparse_direction_iiPKiS3_PT2_S3_PiS3_S6_21rocsparse_index_base_: ; @_ZN9rocsparseL26bsric0_2_8_unrolled_kernelILi9ELi32ELi3EfEEv20rocsparse_direction_iiPKiS3_PT2_S3_PiS3_S6_21rocsparse_index_base_
; %bb.0:
	s_load_dwordx8 s[8:15], s[4:5], 0x28
	s_mov_b32 s7, 0
	s_lshl_b64 s[0:1], s[6:7], 2
	s_waitcnt lgkmcnt(0)
	s_add_u32 s0, s12, s0
	s_addc_u32 s1, s13, s1
	s_load_dword s12, s[0:1], 0x0
	s_waitcnt lgkmcnt(0)
	s_ashr_i32 s13, s12, 31
	s_lshl_b64 s[6:7], s[12:13], 2
	s_add_u32 s0, s8, s6
	s_addc_u32 s1, s9, s7
	s_load_dword s30, s[0:1], 0x0
	s_load_dword s13, s[4:5], 0x48
	s_waitcnt lgkmcnt(0)
	s_cmp_lg_u32 s30, -1
	s_cbranch_scc0 .LBB4_86
; %bb.1:
	s_load_dwordx4 s[16:19], s[4:5], 0x10
	s_load_dwordx2 s[20:21], s[4:5], 0x20
	v_mad_u32_u24 v7, v1, 3, v0
	s_waitcnt lgkmcnt(0)
	s_add_u32 s0, s16, s6
	s_addc_u32 s1, s17, s7
	s_load_dword s0, s[0:1], 0x0
	s_waitcnt lgkmcnt(0)
	s_sub_i32 s31, s0, s13
	v_add_u32_e32 v2, s31, v7
	v_cmp_ge_i32_e32 vcc, s30, v2
	s_and_saveexec_b64 s[0:1], vcc
	s_cbranch_execz .LBB4_4
; %bb.2:
	v_mov_b32_e32 v3, 0x100
	v_lshl_add_u32 v5, v7, 2, v3
	v_ashrrev_i32_e32 v3, 31, v2
	v_lshlrev_b64 v[3:4], 2, v[2:3]
	v_mov_b32_e32 v6, s19
	v_add_co_u32_e32 v3, vcc, s18, v3
	v_addc_co_u32_e32 v4, vcc, v6, v4, vcc
	s_mov_b64 s[2:3], 0
.LBB4_3:                                ; =>This Inner Loop Header: Depth=1
	global_load_dword v6, v[3:4], off
	v_add_co_u32_e32 v3, vcc, 36, v3
	v_add_u32_e32 v2, 9, v2
	v_addc_co_u32_e32 v4, vcc, 0, v4, vcc
	v_cmp_lt_i32_e32 vcc, s30, v2
	s_or_b64 s[2:3], vcc, s[2:3]
	s_waitcnt vmcnt(0)
	v_subrev_u32_e32 v6, s13, v6
	ds_write_b32 v5, v6
	v_add_u32_e32 v5, 36, v5
	s_andn2_b64 exec, exec, s[2:3]
	s_cbranch_execnz .LBB4_3
.LBB4_4:
	s_or_b64 exec, exec, s[0:1]
	s_load_dword s33, s[4:5], 0x0
	v_mov_b32_e32 v2, 0x210
	v_lshl_add_u32 v10, v1, 4, v2
	v_mul_u32_u24_e32 v11, 3, v1
	v_lshl_add_u32 v9, v0, 2, v10
	v_mov_b32_e32 v12, 0
	s_cmp_ge_i32 s31, s30
	v_mad_u32_u24 v8, v0, 3, v1
	ds_write_b32 v9, v12
	s_waitcnt lgkmcnt(0)
	s_cbranch_scc1 .LBB4_54
; %bb.5:
	s_cmp_lg_u32 s33, 0
	v_lshlrev_b32_e32 v3, 4, v1
	v_lshlrev_b32_e32 v4, 2, v0
	s_movk_i32 s0, 0x180
	s_cselect_b64 s[2:3], -1, 0
	s_cmp_eq_u32 s33, 0
	v_add_u32_e32 v14, 0x1e0, v3
	v_add3_u32 v16, v3, v4, s0
	v_add_u32_e32 v21, 0x1b0, v3
	v_mov_b32_e32 v3, 0x1e0
	v_mad_u32_u24 v2, v0, 3, v1
	v_lshl_add_u32 v23, v0, 4, v3
	v_or_b32_e32 v3, v0, v1
	s_cselect_b64 vcc, -1, 0
	v_mul_u32_u24_e32 v13, 3, v0
	v_add_u32_e32 v15, v14, v4
	v_add_u32_e32 v17, 3, v0
	;; [unrolled: 1-line block ×6, first 2 shown]
	v_cmp_ne_u32_e64 s[0:1], 0, v3
	v_cndmask_b32_e32 v2, v2, v7, vcc
	s_mov_b32 s4, s31
	s_branch .LBB4_8
.LBB4_6:                                ;   in Loop: Header=BB4_8 Depth=1
	s_or_b64 exec, exec, s[24:25]
	v_mov_b32_e32 v6, 1.0
.LBB4_7:                                ;   in Loop: Header=BB4_8 Depth=1
	s_or_b64 exec, exec, s[22:23]
	ds_read_b64 v[24:25], v12 offset:416
	ds_read_b64 v[26:27], v14
	ds_read_b32 v28, v21 offset:8
	s_add_i32 s4, s4, 1
	s_cmp_ge_i32 s4, s30
	s_waitcnt lgkmcnt(0)
	v_fmac_f32_e32 v28, v24, v26
	v_fmac_f32_e32 v28, v25, v27
	v_sub_f32_e32 v5, v5, v28
	v_div_scale_f32 v24, s[22:23], v6, v6, v5
	v_div_scale_f32 v25, vcc, v5, v6, v5
	s_cselect_b64 s[22:23], -1, 0
	v_rcp_f32_e32 v26, v24
	v_fma_f32 v27, -v24, v26, 1.0
	v_fmac_f32_e32 v26, v27, v26
	v_mul_f32_e32 v27, v25, v26
	v_fma_f32 v28, -v24, v27, v25
	v_fmac_f32_e32 v27, v28, v26
	v_fma_f32 v24, -v24, v27, v25
	v_div_fmas_f32 v24, v24, v26, v27
	v_div_fixup_f32 v5, v24, v6, v5
	ds_write_b32 v14, v5 offset:8
	s_waitcnt lgkmcnt(0)
	ds_read_b32 v6, v23 offset:8
	ds_read_b32 v24, v9
	s_waitcnt lgkmcnt(0)
	v_fmac_f32_e32 v24, v5, v6
	ds_write_b32 v9, v24
	s_waitcnt lgkmcnt(0)
	ds_read_b32 v5, v15
	s_waitcnt lgkmcnt(0)
	global_store_dword v[3:4], v5, off
	s_waitcnt vmcnt(0)
	buffer_wbinvl1_vol
	s_and_b64 vcc, exec, s[22:23]
	s_cbranch_vccnz .LBB4_54
.LBB4_8:                                ; =>This Loop Header: Depth=1
                                        ;     Child Loop BB4_11 Depth 2
                                        ;     Child Loop BB4_22 Depth 2
	;; [unrolled: 1-line block ×3, first 2 shown]
	s_ashr_i32 s5, s4, 31
	s_lshl_b64 s[22:23], s[4:5], 2
	s_add_u32 s22, s18, s22
	s_addc_u32 s23, s19, s23
	s_load_dword s5, s[22:23], 0x0
	s_waitcnt lgkmcnt(0)
	s_sub_i32 s24, s5, s13
	s_ashr_i32 s25, s24, 31
	s_lshl_b64 s[22:23], s[24:25], 2
	s_add_u32 s26, s8, s22
	s_addc_u32 s27, s9, s23
	s_load_dword s25, s[26:27], 0x0
	s_waitcnt lgkmcnt(0)
	s_cmp_eq_u32 s25, -1
	s_cbranch_scc1 .LBB4_35
; %bb.9:                                ;   in Loop: Header=BB4_8 Depth=1
	v_mad_u64_u32 v[3:4], s[26:27], s4, 9, v[2:3]
	v_mov_b32_e32 v5, s21
	s_add_u32 s26, s16, s22
	v_ashrrev_i32_e32 v4, 31, v3
	v_lshlrev_b64 v[3:4], 2, v[3:4]
	s_addc_u32 s27, s17, s23
	v_add_co_u32_e32 v3, vcc, s20, v3
	v_addc_co_u32_e32 v4, vcc, v5, v4, vcc
	global_load_dword v5, v[3:4], off
	s_load_dword s26, s[26:27], 0x0
	ds_read_b32 v6, v12 offset:256
	s_mov_b32 s27, 0
	s_waitcnt lgkmcnt(0)
	s_sub_i32 s26, s26, s13
	s_cmp_le_i32 s26, s25
	v_cmp_ge_i32_e32 vcc, s24, v6
	s_cselect_b64 s[28:29], -1, 0
	s_and_b64 s[28:29], s[28:29], vcc
	s_andn2_b64 vcc, exec, s[28:29]
	s_waitcnt vmcnt(0)
	ds_write_b32 v15, v5
	s_cbranch_vccnz .LBB4_21
; %bb.10:                               ;   in Loop: Header=BB4_8 Depth=1
	s_mov_b32 s34, 0
	s_mov_b32 s35, 0
.LBB4_11:                               ;   Parent Loop BB4_8 Depth=1
                                        ; =>  This Inner Loop Header: Depth=2
	s_ashr_i32 s27, s26, 31
	s_lshl_b64 s[28:29], s[26:27], 2
	s_add_u32 s28, s18, s28
	s_addc_u32 s29, s19, s29
	s_load_dword s27, s[28:29], 0x0
	s_lshl_b32 s28, s35, 2
	v_mov_b32_e32 v5, s28
	ds_read_b32 v5, v5 offset:256
	s_mov_b64 s[28:29], -1
	s_waitcnt lgkmcnt(0)
	s_sub_i32 s39, s27, s13
                                        ; implicit-def: $sgpr27
                                        ; implicit-def: $sgpr38
                                        ; implicit-def: $sgpr37
	v_cmp_ge_i32_e32 vcc, s39, v5
	v_readfirstlane_b32 s36, v5
	s_cbranch_vccz .LBB4_17
; %bb.12:                               ;   in Loop: Header=BB4_11 Depth=2
	s_cmp_le_i32 s39, s36
                                        ; implicit-def: $sgpr27
                                        ; implicit-def: $sgpr38
                                        ; implicit-def: $sgpr37
	s_cbranch_scc0 .LBB4_14
; %bb.13:                               ;   in Loop: Header=BB4_11 Depth=2
	s_add_i32 s27, s35, s31
	s_mul_i32 s27, s27, 9
	s_lshl_b32 s28, s34, 2
	v_mov_b32_e32 v6, s27
	s_mul_i32 s27, s26, 9
	v_mov_b32_e32 v5, s28
	v_mov_b32_e32 v24, s27
	ds_write2_b32 v5, v24, v6 offset1:32
	s_add_i32 s37, s35, 1
	s_add_i32 s38, s26, 1
	;; [unrolled: 1-line block ×3, first 2 shown]
	s_mov_b64 s[28:29], 0
.LBB4_14:                               ;   in Loop: Header=BB4_11 Depth=2
	s_andn2_b64 vcc, exec, s[28:29]
	s_cbranch_vccnz .LBB4_16
; %bb.15:                               ;   in Loop: Header=BB4_11 Depth=2
	s_add_i32 s37, s35, 1
	s_mov_b32 s27, s34
	s_mov_b32 s38, s26
.LBB4_16:                               ;   in Loop: Header=BB4_11 Depth=2
	s_mov_b64 s[28:29], 0
.LBB4_17:                               ;   in Loop: Header=BB4_11 Depth=2
	s_andn2_b64 vcc, exec, s[28:29]
	s_cbranch_vccnz .LBB4_19
; %bb.18:                               ;   in Loop: Header=BB4_11 Depth=2
	s_add_i32 s38, s26, 1
	s_mov_b32 s37, s35
	s_mov_b32 s27, s34
.LBB4_19:                               ;   in Loop: Header=BB4_11 Depth=2
	s_cmp_le_i32 s38, s25
	s_cselect_b64 s[28:29], -1, 0
	s_cmp_le_i32 s36, s24
	s_cselect_b64 s[34:35], -1, 0
	s_and_b64 s[28:29], s[28:29], s[34:35]
	s_and_b64 vcc, exec, s[28:29]
	s_cbranch_vccz .LBB4_21
; %bb.20:                               ;   in Loop: Header=BB4_11 Depth=2
	s_mov_b32 s34, s27
	s_mov_b32 s26, s38
	;; [unrolled: 1-line block ×3, first 2 shown]
	s_branch .LBB4_11
.LBB4_21:                               ;   in Loop: Header=BB4_8 Depth=1
	s_add_u32 s22, s10, s22
	s_addc_u32 s23, s11, s23
	s_waitcnt lgkmcnt(0)
.LBB4_22:                               ;   Parent Loop BB4_8 Depth=1
                                        ; =>  This Inner Loop Header: Depth=2
	global_load_dword v5, v12, s[22:23] glc
	s_waitcnt vmcnt(0)
	v_cmp_eq_u32_e32 vcc, 0, v5
	s_cbranch_vccnz .LBB4_22
; %bb.23:                               ;   in Loop: Header=BB4_8 Depth=1
	v_mad_u64_u32 v[5:6], s[22:23], s25, 9, v[2:3]
	v_mov_b32_e32 v24, s21
	buffer_wbinvl1_vol
	v_ashrrev_i32_e32 v6, 31, v5
	v_lshlrev_b64 v[5:6], 2, v[5:6]
	s_cmp_lt_i32 s27, 2
	v_add_co_u32_e32 v5, vcc, s20, v5
	v_addc_co_u32_e32 v6, vcc, v24, v6, vcc
	global_load_dword v5, v[5:6], off
	v_mov_b32_e32 v24, 0
	s_waitcnt vmcnt(0)
	ds_write_b32 v16, v5
	s_waitcnt lgkmcnt(0)
	s_cbranch_scc1 .LBB4_43
; %bb.24:                               ;   in Loop: Header=BB4_8 Depth=1
	s_add_i32 s24, s27, -1
	s_cmp_eq_u32 s27, 2
	s_cbranch_scc1 .LBB4_36
; %bb.25:                               ;   in Loop: Header=BB4_8 Depth=1
	s_and_b32 s25, s24, -2
	s_mov_b32 s26, 0
	v_mov_b32_e32 v24, 0
	s_mov_b32 s27, 0
	s_branch .LBB4_27
.LBB4_26:                               ;   in Loop: Header=BB4_27 Depth=2
	s_add_i32 s27, s27, 2
	s_add_i32 s26, s26, 8
	s_cmp_eq_u32 s25, s27
	s_cbranch_scc1 .LBB4_37
.LBB4_27:                               ;   Parent Loop BB4_8 Depth=1
                                        ; =>  This Inner Loop Header: Depth=2
	s_waitcnt lgkmcnt(0)
	v_mov_b32_e32 v5, s26
	ds_read2_b32 v[5:6], v5 offset1:32
	s_mov_b64 s[22:23], -1
	s_and_b64 vcc, exec, s[2:3]
                                        ; implicit-def: $vgpr25
	s_cbranch_vccz .LBB4_29
; %bb.28:                               ;   in Loop: Header=BB4_27 Depth=2
	s_waitcnt lgkmcnt(0)
	v_add_u32_e32 v25, v5, v0
	v_ashrrev_i32_e32 v26, 31, v25
	v_lshlrev_b64 v[25:26], 2, v[25:26]
	v_mov_b32_e32 v27, s21
	v_add_co_u32_e32 v25, vcc, s20, v25
	v_addc_co_u32_e32 v26, vcc, v27, v26, vcc
	v_add_u32_e32 v27, v6, v1
	v_ashrrev_i32_e32 v28, 31, v27
	v_lshlrev_b64 v[27:28], 2, v[27:28]
	v_mov_b32_e32 v29, s21
	v_add_co_u32_e32 v27, vcc, s20, v27
	v_addc_co_u32_e32 v28, vcc, v29, v28, vcc
	;; [unrolled: 6-line block ×6, first 2 shown]
	global_load_dword v37, v[25:26], off
	global_load_dword v38, v[27:28], off
	;; [unrolled: 1-line block ×6, first 2 shown]
	s_mov_b64 s[22:23], 0
	s_waitcnt vmcnt(4)
	v_fma_f32 v25, v37, v38, v24
	s_waitcnt vmcnt(2)
	v_fmac_f32_e32 v25, v39, v40
	s_waitcnt vmcnt(0)
	v_fmac_f32_e32 v25, v41, v42
.LBB4_29:                               ;   in Loop: Header=BB4_27 Depth=2
	s_andn2_b64 vcc, exec, s[22:23]
	s_cbranch_vccnz .LBB4_31
; %bb.30:                               ;   in Loop: Header=BB4_27 Depth=2
	s_waitcnt lgkmcnt(0)
	v_add_u32_e32 v25, v5, v13
	v_ashrrev_i32_e32 v26, 31, v25
	v_lshlrev_b64 v[25:26], 2, v[25:26]
	v_mov_b32_e32 v5, s21
	v_add_co_u32_e32 v31, vcc, s20, v25
	v_addc_co_u32_e32 v32, vcc, v5, v26, vcc
	v_add_u32_e32 v5, v6, v11
	v_ashrrev_i32_e32 v6, 31, v5
	v_lshlrev_b64 v[5:6], 2, v[5:6]
	v_mov_b32_e32 v25, s21
	v_add_co_u32_e32 v5, vcc, s20, v5
	v_addc_co_u32_e32 v6, vcc, v25, v6, vcc
	global_load_dwordx3 v[25:27], v[31:32], off
	global_load_dwordx3 v[28:30], v[5:6], off
	s_waitcnt vmcnt(0)
	v_fmac_f32_e32 v24, v25, v28
	v_fmac_f32_e32 v24, v26, v29
	;; [unrolled: 1-line block ×3, first 2 shown]
	v_mov_b32_e32 v25, v24
.LBB4_31:                               ;   in Loop: Header=BB4_27 Depth=2
	s_waitcnt lgkmcnt(0)
	v_mov_b32_e32 v5, s26
	ds_read2_b32 v[5:6], v5 offset0:1 offset1:33
	s_andn2_b64 vcc, exec, s[2:3]
	s_mov_b64 s[22:23], -1
                                        ; implicit-def: $vgpr24
	s_cbranch_vccnz .LBB4_33
; %bb.32:                               ;   in Loop: Header=BB4_27 Depth=2
	s_waitcnt lgkmcnt(0)
	v_add_u32_e32 v26, v5, v0
	v_ashrrev_i32_e32 v27, 31, v26
	v_lshlrev_b64 v[26:27], 2, v[26:27]
	v_add_u32_e32 v28, v6, v1
	v_ashrrev_i32_e32 v29, 31, v28
	v_mov_b32_e32 v24, s21
	v_add_co_u32_e32 v26, vcc, s20, v26
	v_lshlrev_b64 v[28:29], 2, v[28:29]
	v_add_u32_e32 v30, v17, v5
	v_addc_co_u32_e32 v27, vcc, v24, v27, vcc
	v_ashrrev_i32_e32 v31, 31, v30
	v_add_co_u32_e32 v28, vcc, s20, v28
	v_lshlrev_b64 v[30:31], 2, v[30:31]
	v_add_u32_e32 v32, v18, v6
	v_addc_co_u32_e32 v29, vcc, v24, v29, vcc
	v_ashrrev_i32_e32 v33, 31, v32
	;; [unrolled: 5-line block ×4, first 2 shown]
	v_add_co_u32_e32 v34, vcc, s20, v34
	v_lshlrev_b64 v[36:37], 2, v[36:37]
	v_addc_co_u32_e32 v35, vcc, v24, v35, vcc
	v_add_co_u32_e32 v36, vcc, s20, v36
	v_addc_co_u32_e32 v37, vcc, v24, v37, vcc
	global_load_dword v24, v[26:27], off
	global_load_dword v38, v[28:29], off
	;; [unrolled: 1-line block ×6, first 2 shown]
	s_mov_b64 s[22:23], 0
	s_waitcnt vmcnt(4)
	v_fma_f32 v24, v24, v38, v25
	s_waitcnt vmcnt(2)
	v_fmac_f32_e32 v24, v39, v40
	s_waitcnt vmcnt(0)
	v_fmac_f32_e32 v24, v41, v42
.LBB4_33:                               ;   in Loop: Header=BB4_27 Depth=2
	s_andn2_b64 vcc, exec, s[22:23]
	s_cbranch_vccnz .LBB4_26
; %bb.34:                               ;   in Loop: Header=BB4_27 Depth=2
	s_waitcnt lgkmcnt(0)
	v_add_u32_e32 v26, v5, v13
	v_ashrrev_i32_e32 v27, 31, v26
	v_lshlrev_b64 v[26:27], 2, v[26:27]
	v_mov_b32_e32 v5, s21
	v_add_co_u32_e32 v32, vcc, s20, v26
	v_addc_co_u32_e32 v33, vcc, v5, v27, vcc
	v_add_u32_e32 v5, v6, v11
	v_ashrrev_i32_e32 v6, 31, v5
	v_lshlrev_b64 v[5:6], 2, v[5:6]
	v_mov_b32_e32 v24, s21
	v_add_co_u32_e32 v5, vcc, s20, v5
	v_addc_co_u32_e32 v6, vcc, v24, v6, vcc
	global_load_dwordx3 v[26:28], v[32:33], off
	global_load_dwordx3 v[29:31], v[5:6], off
	s_waitcnt vmcnt(0)
	v_fmac_f32_e32 v25, v26, v29
	v_fmac_f32_e32 v25, v27, v30
	v_fmac_f32_e32 v25, v28, v31
	v_mov_b32_e32 v24, v25
	s_branch .LBB4_26
.LBB4_35:                               ;   in Loop: Header=BB4_8 Depth=1
                                        ; implicit-def: $sgpr4
	s_cbranch_execz .LBB4_8
	s_branch .LBB4_54
.LBB4_36:                               ;   in Loop: Header=BB4_8 Depth=1
	v_mov_b32_e32 v24, 0
	s_mov_b32 s25, 0
.LBB4_37:                               ;   in Loop: Header=BB4_8 Depth=1
	s_bitcmp0_b32 s24, 0
	s_cbranch_scc1 .LBB4_43
; %bb.38:                               ;   in Loop: Header=BB4_8 Depth=1
	s_lshl_b32 s22, s25, 2
	s_waitcnt lgkmcnt(0)
	v_mov_b32_e32 v5, s22
	ds_read2_b32 v[5:6], v5 offset1:32
	s_andn2_b64 vcc, exec, s[2:3]
	s_mov_b64 s[22:23], -1
                                        ; implicit-def: $vgpr25
	s_cbranch_vccnz .LBB4_40
; %bb.39:                               ;   in Loop: Header=BB4_8 Depth=1
	s_waitcnt lgkmcnt(0)
	v_add_u32_e32 v25, v5, v0
	v_ashrrev_i32_e32 v26, 31, v25
	v_lshlrev_b64 v[25:26], 2, v[25:26]
	v_mov_b32_e32 v27, s21
	v_add_co_u32_e32 v25, vcc, s20, v25
	v_addc_co_u32_e32 v26, vcc, v27, v26, vcc
	v_add_u32_e32 v27, v6, v1
	v_ashrrev_i32_e32 v28, 31, v27
	v_lshlrev_b64 v[27:28], 2, v[27:28]
	v_mov_b32_e32 v29, s21
	v_add_co_u32_e32 v27, vcc, s20, v27
	v_addc_co_u32_e32 v28, vcc, v29, v28, vcc
	;; [unrolled: 6-line block ×6, first 2 shown]
	global_load_dword v37, v[25:26], off
	global_load_dword v38, v[27:28], off
	;; [unrolled: 1-line block ×6, first 2 shown]
	s_mov_b64 s[22:23], 0
	s_waitcnt vmcnt(4)
	v_fma_f32 v25, v37, v38, v24
	s_waitcnt vmcnt(2)
	v_fmac_f32_e32 v25, v39, v40
	s_waitcnt vmcnt(0)
	v_fmac_f32_e32 v25, v41, v42
.LBB4_40:                               ;   in Loop: Header=BB4_8 Depth=1
	s_andn2_b64 vcc, exec, s[22:23]
	s_cbranch_vccnz .LBB4_42
; %bb.41:                               ;   in Loop: Header=BB4_8 Depth=1
	s_waitcnt lgkmcnt(0)
	v_add_u32_e32 v25, v5, v13
	v_ashrrev_i32_e32 v26, 31, v25
	v_lshlrev_b64 v[25:26], 2, v[25:26]
	v_mov_b32_e32 v5, s21
	v_add_co_u32_e32 v31, vcc, s20, v25
	v_addc_co_u32_e32 v32, vcc, v5, v26, vcc
	v_add_u32_e32 v5, v6, v11
	v_ashrrev_i32_e32 v6, 31, v5
	v_lshlrev_b64 v[5:6], 2, v[5:6]
	v_mov_b32_e32 v25, s21
	v_add_co_u32_e32 v5, vcc, s20, v5
	v_addc_co_u32_e32 v6, vcc, v25, v6, vcc
	global_load_dwordx3 v[25:27], v[31:32], off
	global_load_dwordx3 v[28:30], v[5:6], off
	s_waitcnt vmcnt(0)
	v_fmac_f32_e32 v24, v25, v28
	v_fmac_f32_e32 v24, v26, v29
	;; [unrolled: 1-line block ×3, first 2 shown]
	v_mov_b32_e32 v25, v24
.LBB4_42:                               ;   in Loop: Header=BB4_8 Depth=1
	v_mov_b32_e32 v24, v25
.LBB4_43:                               ;   in Loop: Header=BB4_8 Depth=1
	ds_write_b32 v22, v24
	s_waitcnt lgkmcnt(0)
	ds_read_b32 v6, v12 offset:384
	ds_read_b32 v5, v14
	s_waitcnt lgkmcnt(1)
	v_cmp_neq_f32_e32 vcc, 0, v6
	v_cndmask_b32_e32 v6, 1.0, v6, vcc
	s_nor_b64 s[24:25], vcc, s[0:1]
	s_and_saveexec_b64 s[22:23], s[24:25]
	s_cbranch_execz .LBB4_47
; %bb.44:                               ;   in Loop: Header=BB4_8 Depth=1
	v_mbcnt_lo_u32_b32 v6, exec_lo, 0
	v_mbcnt_hi_u32_b32 v6, exec_hi, v6
	v_cmp_eq_u32_e32 vcc, 0, v6
	s_and_saveexec_b64 s[24:25], vcc
	s_cbranch_execz .LBB4_46
; %bb.45:                               ;   in Loop: Header=BB4_8 Depth=1
	v_mov_b32_e32 v6, s5
	global_atomic_smin v12, v6, s[14:15]
.LBB4_46:                               ;   in Loop: Header=BB4_8 Depth=1
	s_or_b64 exec, exec, s[24:25]
	v_mov_b32_e32 v6, 1.0
.LBB4_47:                               ;   in Loop: Header=BB4_8 Depth=1
	s_or_b64 exec, exec, s[22:23]
	ds_read_b32 v24, v21
	s_waitcnt lgkmcnt(0)
	v_sub_f32_e32 v5, v5, v24
	v_div_scale_f32 v24, s[22:23], v6, v6, v5
	v_div_scale_f32 v25, vcc, v5, v6, v5
	v_rcp_f32_e32 v26, v24
	v_fma_f32 v27, -v24, v26, 1.0
	v_fmac_f32_e32 v26, v27, v26
	v_mul_f32_e32 v27, v25, v26
	v_fma_f32 v28, -v24, v27, v25
	v_fmac_f32_e32 v27, v28, v26
	v_fma_f32 v24, -v24, v27, v25
	v_div_fmas_f32 v24, v24, v26, v27
	v_div_fixup_f32 v5, v24, v6, v5
	ds_write_b32 v14, v5
	s_waitcnt lgkmcnt(0)
	ds_read_b32 v6, v23
	ds_read_b32 v24, v9
	s_waitcnt lgkmcnt(0)
	v_fmac_f32_e32 v24, v5, v6
	ds_write_b32 v9, v24
	s_waitcnt lgkmcnt(0)
	ds_read_b32 v6, v12 offset:404
	ds_read_b32 v5, v14 offset:4
	s_waitcnt lgkmcnt(1)
	v_cmp_neq_f32_e32 vcc, 0, v6
	v_cndmask_b32_e32 v6, 1.0, v6, vcc
	s_nor_b64 s[24:25], vcc, s[0:1]
	s_and_saveexec_b64 s[22:23], s[24:25]
	s_cbranch_execz .LBB4_51
; %bb.48:                               ;   in Loop: Header=BB4_8 Depth=1
	v_mbcnt_lo_u32_b32 v6, exec_lo, 0
	v_mbcnt_hi_u32_b32 v6, exec_hi, v6
	v_cmp_eq_u32_e32 vcc, 0, v6
	s_and_saveexec_b64 s[24:25], vcc
	s_cbranch_execz .LBB4_50
; %bb.49:                               ;   in Loop: Header=BB4_8 Depth=1
	v_mov_b32_e32 v6, s5
	global_atomic_smin v12, v6, s[14:15]
.LBB4_50:                               ;   in Loop: Header=BB4_8 Depth=1
	s_or_b64 exec, exec, s[24:25]
	v_mov_b32_e32 v6, 1.0
.LBB4_51:                               ;   in Loop: Header=BB4_8 Depth=1
	s_or_b64 exec, exec, s[22:23]
	ds_read_b32 v24, v12 offset:400
	ds_read_b32 v25, v14
	ds_read_b32 v26, v21 offset:4
	s_waitcnt lgkmcnt(0)
	v_fmac_f32_e32 v26, v24, v25
	v_sub_f32_e32 v5, v5, v26
	v_div_scale_f32 v24, s[22:23], v6, v6, v5
	v_div_scale_f32 v25, vcc, v5, v6, v5
	v_rcp_f32_e32 v26, v24
	v_fma_f32 v27, -v24, v26, 1.0
	v_fmac_f32_e32 v26, v27, v26
	v_mul_f32_e32 v27, v25, v26
	v_fma_f32 v28, -v24, v27, v25
	v_fmac_f32_e32 v27, v28, v26
	v_fma_f32 v24, -v24, v27, v25
	v_div_fmas_f32 v24, v24, v26, v27
	v_div_fixup_f32 v5, v24, v6, v5
	ds_write_b32 v14, v5 offset:4
	s_waitcnt lgkmcnt(0)
	ds_read_b32 v6, v23 offset:4
	ds_read_b32 v24, v9
	s_waitcnt lgkmcnt(0)
	v_fmac_f32_e32 v24, v5, v6
	ds_write_b32 v9, v24
	s_waitcnt lgkmcnt(0)
	ds_read_b32 v6, v12 offset:424
	ds_read_b32 v5, v14 offset:8
	s_waitcnt lgkmcnt(1)
	v_cmp_neq_f32_e32 vcc, 0, v6
	v_cndmask_b32_e32 v6, 1.0, v6, vcc
	s_nor_b64 s[24:25], vcc, s[0:1]
	s_and_saveexec_b64 s[22:23], s[24:25]
	s_cbranch_execz .LBB4_7
; %bb.52:                               ;   in Loop: Header=BB4_8 Depth=1
	v_mbcnt_lo_u32_b32 v6, exec_lo, 0
	v_mbcnt_hi_u32_b32 v6, exec_hi, v6
	v_cmp_eq_u32_e32 vcc, 0, v6
	s_and_saveexec_b64 s[24:25], vcc
	s_cbranch_execz .LBB4_6
; %bb.53:                               ;   in Loop: Header=BB4_8 Depth=1
	v_mov_b32_e32 v6, s5
	global_atomic_smin v12, v6, s[14:15]
	s_branch .LBB4_6
.LBB4_54:
	s_cmp_lg_u32 s33, 0
	s_cselect_b64 s[4:5], -1, 0
	s_cmp_eq_u32 s33, 0
	v_mov_b32_e32 v2, v7
	s_cbranch_scc1 .LBB4_56
; %bb.55:
	v_mad_u32_u24 v2, v0, 3, v1
.LBB4_56:
	s_mul_i32 s30, s30, 9
	v_add_u32_e32 v2, s30, v2
	v_ashrrev_i32_e32 v3, 31, v2
	v_lshlrev_b64 v[2:3], 2, v[2:3]
	v_mov_b32_e32 v4, s21
	v_add_co_u32_e32 v2, vcc, s20, v2
	v_addc_co_u32_e32 v3, vcc, v4, v3, vcc
	global_load_dword v4, v[2:3], off
	v_mov_b32_e32 v2, 0x1e0
	v_lshl_add_u32 v3, v1, 4, v2
	v_cmp_ne_u32_e32 vcc, 0, v1
	v_lshl_add_u32 v2, v0, 2, v3
	v_cmp_eq_u32_e64 s[0:1], 0, v1
	s_waitcnt vmcnt(0)
	ds_write_b32 v2, v4
	s_waitcnt lgkmcnt(0)
	s_and_saveexec_b64 s[8:9], s[0:1]
	s_cbranch_execz .LBB4_58
; %bb.57:
	v_mov_b32_e32 v6, 0
	ds_read2_b32 v[4:5], v6 offset0:120 offset1:132
	s_mov_b32 s2, 0xf800000
	s_waitcnt lgkmcnt(0)
	v_sub_f32_e32 v4, v4, v5
	v_cmp_gt_f32_e64 s[0:1], 0, v4
	v_cndmask_b32_e64 v4, v4, -v4, s[0:1]
	v_mul_f32_e32 v5, 0x4f800000, v4
	v_cmp_gt_f32_e64 s[0:1], s2, v4
	v_cndmask_b32_e64 v4, v4, v5, s[0:1]
	v_sqrt_f32_e32 v5, v4
	v_add_u32_e32 v11, -1, v5
	v_add_u32_e32 v12, 1, v5
	v_fma_f32 v13, -v11, v5, v4
	v_fma_f32 v14, -v12, v5, v4
	v_cmp_ge_f32_e64 s[2:3], 0, v13
	v_cndmask_b32_e64 v5, v5, v11, s[2:3]
	v_cmp_lt_f32_e64 s[2:3], 0, v14
	v_cndmask_b32_e64 v5, v5, v12, s[2:3]
	v_mul_f32_e32 v11, 0x37800000, v5
	v_cndmask_b32_e64 v5, v5, v11, s[0:1]
	v_mov_b32_e32 v11, 0x260
	v_cmp_class_f32_e64 s[0:1], v4, v11
	v_cndmask_b32_e64 v4, v5, v4, s[0:1]
	ds_write_b32 v6, v4 offset:480
.LBB4_58:
	s_or_b64 exec, exec, s[8:9]
	v_mov_b32_e32 v4, 0
	s_waitcnt lgkmcnt(0)
	ds_read_b32 v5, v4 offset:480
	v_or_b32_e32 v4, v0, v1
	v_cmp_ne_u32_e64 s[0:1], 0, v4
	s_add_i32 s18, s12, s13
	s_waitcnt lgkmcnt(0)
	v_cmp_neq_f32_e64 s[2:3], 0, v5
	v_cndmask_b32_e64 v6, 1.0, v5, s[2:3]
	s_nor_b64 s[2:3], s[2:3], s[0:1]
	s_and_saveexec_b64 s[8:9], s[2:3]
	s_cbranch_execz .LBB4_62
; %bb.59:
	v_mbcnt_lo_u32_b32 v5, exec_lo, 0
	v_mbcnt_hi_u32_b32 v5, exec_hi, v5
	v_cmp_eq_u32_e64 s[2:3], 0, v5
	s_and_saveexec_b64 s[16:17], s[2:3]
	s_cbranch_execz .LBB4_61
; %bb.60:
	v_mov_b32_e32 v5, 0
	v_mov_b32_e32 v6, s18
	global_atomic_smin v5, v6, s[14:15]
.LBB4_61:
	s_or_b64 exec, exec, s[16:17]
	v_mov_b32_e32 v6, 1.0
.LBB4_62:
	s_or_b64 exec, exec, s[8:9]
	v_mov_b32_e32 v5, 0x1e0
	v_lshl_add_u32 v5, v0, 4, v5
	s_and_saveexec_b64 s[2:3], vcc
	s_cbranch_execz .LBB4_64
; %bb.63:
	ds_read_b32 v11, v3
	ds_read_b32 v12, v10
	s_waitcnt lgkmcnt(0)
	v_sub_f32_e32 v11, v11, v12
	v_div_scale_f32 v12, s[8:9], v6, v6, v11
	v_div_scale_f32 v13, vcc, v11, v6, v11
	v_rcp_f32_e32 v14, v12
	v_fma_f32 v15, -v12, v14, 1.0
	v_fmac_f32_e32 v14, v15, v14
	v_mul_f32_e32 v15, v13, v14
	v_fma_f32 v16, -v12, v15, v13
	v_fmac_f32_e32 v15, v16, v14
	v_fma_f32 v12, -v12, v15, v13
	v_div_fmas_f32 v12, v12, v14, v15
	v_div_fixup_f32 v6, v12, v6, v11
	ds_write_b32 v3, v6
	s_waitcnt lgkmcnt(0)
	ds_read_b32 v11, v5
	ds_read_b32 v12, v9
	s_waitcnt lgkmcnt(0)
	v_fmac_f32_e32 v12, v6, v11
	ds_write_b32 v9, v12
.LBB4_64:
	s_or_b64 exec, exec, s[2:3]
	v_cmp_eq_u32_e32 vcc, 1, v1
	s_waitcnt lgkmcnt(0)
	s_and_saveexec_b64 s[8:9], vcc
	s_cbranch_execz .LBB4_66
; %bb.65:
	v_mov_b32_e32 v6, 0
	ds_read2_b32 v[11:12], v6 offset0:125 offset1:137
	s_mov_b32 s2, 0xf800000
	s_waitcnt lgkmcnt(0)
	v_sub_f32_e32 v11, v11, v12
	v_cmp_gt_f32_e32 vcc, 0, v11
	v_cndmask_b32_e64 v11, v11, -v11, vcc
	v_mul_f32_e32 v12, 0x4f800000, v11
	v_cmp_gt_f32_e32 vcc, s2, v11
	v_cndmask_b32_e32 v11, v11, v12, vcc
	v_sqrt_f32_e32 v12, v11
	v_add_u32_e32 v13, -1, v12
	v_add_u32_e32 v14, 1, v12
	v_fma_f32 v15, -v13, v12, v11
	v_fma_f32 v16, -v14, v12, v11
	v_cmp_ge_f32_e64 s[2:3], 0, v15
	v_cndmask_b32_e64 v12, v12, v13, s[2:3]
	v_cmp_lt_f32_e64 s[2:3], 0, v16
	v_cndmask_b32_e64 v12, v12, v14, s[2:3]
	v_mul_f32_e32 v13, 0x37800000, v12
	v_cndmask_b32_e32 v12, v12, v13, vcc
	v_mov_b32_e32 v13, 0x260
	v_cmp_class_f32_e32 vcc, v11, v13
	v_cndmask_b32_e32 v11, v12, v11, vcc
	ds_write_b32 v6, v11 offset:500
.LBB4_66:
	s_or_b64 exec, exec, s[8:9]
	v_mov_b32_e32 v6, 0
	s_waitcnt lgkmcnt(0)
	ds_read_b32 v6, v6 offset:500
	s_waitcnt lgkmcnt(0)
	v_cmp_neq_f32_e32 vcc, 0, v6
	v_cndmask_b32_e32 v6, 1.0, v6, vcc
	s_nor_b64 s[8:9], vcc, s[0:1]
	s_and_saveexec_b64 s[2:3], s[8:9]
	s_cbranch_execz .LBB4_70
; %bb.67:
	v_mbcnt_lo_u32_b32 v6, exec_lo, 0
	v_mbcnt_hi_u32_b32 v6, exec_hi, v6
	v_cmp_eq_u32_e32 vcc, 0, v6
	s_and_saveexec_b64 s[8:9], vcc
	s_cbranch_execz .LBB4_69
; %bb.68:
	v_mov_b32_e32 v6, 0
	v_mov_b32_e32 v11, s18
	global_atomic_smin v6, v11, s[14:15]
.LBB4_69:
	s_or_b64 exec, exec, s[8:9]
	v_mov_b32_e32 v6, 1.0
.LBB4_70:
	s_or_b64 exec, exec, s[2:3]
	v_cmp_lt_u32_e32 vcc, 1, v1
	s_and_saveexec_b64 s[2:3], vcc
	s_cbranch_execz .LBB4_72
; %bb.71:
	ds_read_b32 v11, v3 offset:4
	ds_read_b32 v12, v10 offset:4
	s_waitcnt lgkmcnt(0)
	v_sub_f32_e32 v11, v11, v12
	v_div_scale_f32 v12, s[8:9], v6, v6, v11
	v_div_scale_f32 v13, vcc, v11, v6, v11
	v_rcp_f32_e32 v14, v12
	v_fma_f32 v15, -v12, v14, 1.0
	v_fmac_f32_e32 v14, v15, v14
	v_mul_f32_e32 v15, v13, v14
	v_fma_f32 v16, -v12, v15, v13
	v_fmac_f32_e32 v15, v16, v14
	v_fma_f32 v12, -v12, v15, v13
	v_div_fmas_f32 v12, v12, v14, v15
	v_div_fixup_f32 v6, v12, v6, v11
	ds_write_b32 v3, v6 offset:4
	s_waitcnt lgkmcnt(0)
	ds_read_b32 v11, v5 offset:4
	ds_read_b32 v12, v9
	s_waitcnt lgkmcnt(0)
	v_fmac_f32_e32 v12, v6, v11
	ds_write_b32 v9, v12
.LBB4_72:
	s_or_b64 exec, exec, s[2:3]
	v_cmp_eq_u32_e32 vcc, 2, v1
	s_waitcnt lgkmcnt(0)
	s_and_saveexec_b64 s[8:9], vcc
	s_cbranch_execz .LBB4_74
; %bb.73:
	v_mov_b32_e32 v6, 0
	ds_read2_b32 v[11:12], v6 offset0:130 offset1:142
	s_mov_b32 s2, 0xf800000
	s_waitcnt lgkmcnt(0)
	v_sub_f32_e32 v11, v11, v12
	v_cmp_gt_f32_e32 vcc, 0, v11
	v_cndmask_b32_e64 v11, v11, -v11, vcc
	v_mul_f32_e32 v12, 0x4f800000, v11
	v_cmp_gt_f32_e32 vcc, s2, v11
	v_cndmask_b32_e32 v11, v11, v12, vcc
	v_sqrt_f32_e32 v12, v11
	v_add_u32_e32 v13, -1, v12
	v_add_u32_e32 v14, 1, v12
	v_fma_f32 v15, -v13, v12, v11
	v_fma_f32 v16, -v14, v12, v11
	v_cmp_ge_f32_e64 s[2:3], 0, v15
	v_cndmask_b32_e64 v12, v12, v13, s[2:3]
	v_cmp_lt_f32_e64 s[2:3], 0, v16
	v_cndmask_b32_e64 v12, v12, v14, s[2:3]
	v_mul_f32_e32 v13, 0x37800000, v12
	v_cndmask_b32_e32 v12, v12, v13, vcc
	v_mov_b32_e32 v13, 0x260
	v_cmp_class_f32_e32 vcc, v11, v13
	v_cndmask_b32_e32 v11, v12, v11, vcc
	ds_write_b32 v6, v11 offset:520
.LBB4_74:
	s_or_b64 exec, exec, s[8:9]
	v_mov_b32_e32 v6, 0
	s_waitcnt lgkmcnt(0)
	ds_read_b32 v6, v6 offset:520
	s_waitcnt lgkmcnt(0)
	v_cmp_neq_f32_e32 vcc, 0, v6
	v_cndmask_b32_e32 v6, 1.0, v6, vcc
	s_nor_b64 s[2:3], vcc, s[0:1]
	s_and_saveexec_b64 s[0:1], s[2:3]
	s_cbranch_execz .LBB4_78
; %bb.75:
	v_mbcnt_lo_u32_b32 v6, exec_lo, 0
	v_mbcnt_hi_u32_b32 v6, exec_hi, v6
	v_cmp_eq_u32_e32 vcc, 0, v6
	s_and_saveexec_b64 s[2:3], vcc
	s_cbranch_execz .LBB4_77
; %bb.76:
	v_mov_b32_e32 v6, 0
	v_mov_b32_e32 v11, s18
	global_atomic_smin v6, v11, s[14:15]
.LBB4_77:
	s_or_b64 exec, exec, s[2:3]
	v_mov_b32_e32 v6, 1.0
.LBB4_78:
	s_or_b64 exec, exec, s[0:1]
	v_cmp_lt_u32_e32 vcc, 2, v1
	s_and_saveexec_b64 s[0:1], vcc
	s_cbranch_execz .LBB4_80
; %bb.79:
	ds_read_b32 v11, v3 offset:8
	ds_read_b32 v10, v10 offset:8
	s_waitcnt lgkmcnt(0)
	v_sub_f32_e32 v10, v11, v10
	v_div_scale_f32 v11, s[2:3], v6, v6, v10
	v_div_scale_f32 v12, vcc, v10, v6, v10
	v_rcp_f32_e32 v13, v11
	v_fma_f32 v14, -v11, v13, 1.0
	v_fmac_f32_e32 v13, v14, v13
	v_mul_f32_e32 v14, v12, v13
	v_fma_f32 v15, -v11, v14, v12
	v_fmac_f32_e32 v14, v15, v13
	v_fma_f32 v11, -v11, v14, v12
	v_div_fmas_f32 v11, v11, v13, v14
	v_div_fixup_f32 v6, v11, v6, v10
	ds_write_b32 v3, v6 offset:8
	s_waitcnt lgkmcnt(0)
	ds_read_b32 v3, v5 offset:8
	ds_read_b32 v5, v9
	s_waitcnt lgkmcnt(0)
	v_fmac_f32_e32 v5, v6, v3
	ds_write_b32 v9, v5
.LBB4_80:
	s_or_b64 exec, exec, s[0:1]
	s_waitcnt lgkmcnt(0)
	ds_read_b32 v2, v2
	s_andn2_b64 vcc, exec, s[4:5]
	s_cbranch_vccnz .LBB4_82
; %bb.81:
	v_mov_b32_e32 v7, v8
.LBB4_82:
	v_add_u32_e32 v5, s30, v7
	v_ashrrev_i32_e32 v6, 31, v5
	v_lshlrev_b64 v[5:6], 2, v[5:6]
	v_mov_b32_e32 v3, s21
	v_add_co_u32_e32 v5, vcc, s20, v5
	v_addc_co_u32_e32 v6, vcc, v3, v6, vcc
	v_cmp_eq_u32_e32 vcc, 0, v4
	s_waitcnt lgkmcnt(0)
	global_store_dword v[5:6], v2, off
	s_and_saveexec_b64 s[0:1], vcc
	s_cbranch_execz .LBB4_84
; %bb.83:
	s_add_u32 s2, s10, s6
	s_addc_u32 s3, s11, s7
	v_mov_b32_e32 v2, 0
	v_mov_b32_e32 v3, 1
	s_waitcnt vmcnt(0)
	global_store_dword v2, v3, s[2:3]
.LBB4_84:
	s_or_b64 exec, exec, s[0:1]
.LBB4_85:
	s_endpgm
.LBB4_86:
	s_cbranch_execz .LBB4_85
; %bb.87:
	v_or_b32_e32 v0, v0, v1
	v_cmp_eq_u32_e32 vcc, 0, v0
	s_and_saveexec_b64 s[0:1], vcc
	s_cbranch_execz .LBB4_85
; %bb.88:
	v_mbcnt_lo_u32_b32 v0, exec_lo, 0
	v_mbcnt_hi_u32_b32 v0, exec_hi, v0
	v_cmp_eq_u32_e32 vcc, 0, v0
	s_and_saveexec_b64 s[0:1], vcc
	s_cbranch_execz .LBB4_90
; %bb.89:
	s_add_i32 s2, s12, s13
	v_mov_b32_e32 v0, 0
	v_mov_b32_e32 v1, s2
	global_atomic_smin v0, v1, s[14:15]
.LBB4_90:
	s_or_b64 exec, exec, s[0:1]
	s_add_u32 s0, s10, s6
	s_addc_u32 s1, s11, s7
	v_mov_b32_e32 v0, 0
	v_mov_b32_e32 v1, 1
	s_waitcnt vmcnt(0)
	global_store_dword v0, v1, s[0:1]
	s_endpgm
	.section	.rodata,"a",@progbits
	.p2align	6, 0x0
	.amdhsa_kernel _ZN9rocsparseL26bsric0_2_8_unrolled_kernelILi9ELi32ELi3EfEEv20rocsparse_direction_iiPKiS3_PT2_S3_PiS3_S6_21rocsparse_index_base_
		.amdhsa_group_segment_fixed_size 576
		.amdhsa_private_segment_fixed_size 0
		.amdhsa_kernarg_size 76
		.amdhsa_user_sgpr_count 6
		.amdhsa_user_sgpr_private_segment_buffer 1
		.amdhsa_user_sgpr_dispatch_ptr 0
		.amdhsa_user_sgpr_queue_ptr 0
		.amdhsa_user_sgpr_kernarg_segment_ptr 1
		.amdhsa_user_sgpr_dispatch_id 0
		.amdhsa_user_sgpr_flat_scratch_init 0
		.amdhsa_user_sgpr_private_segment_size 0
		.amdhsa_uses_dynamic_stack 0
		.amdhsa_system_sgpr_private_segment_wavefront_offset 0
		.amdhsa_system_sgpr_workgroup_id_x 1
		.amdhsa_system_sgpr_workgroup_id_y 0
		.amdhsa_system_sgpr_workgroup_id_z 0
		.amdhsa_system_sgpr_workgroup_info 0
		.amdhsa_system_vgpr_workitem_id 1
		.amdhsa_next_free_vgpr 43
		.amdhsa_next_free_sgpr 40
		.amdhsa_reserve_vcc 1
		.amdhsa_reserve_flat_scratch 0
		.amdhsa_float_round_mode_32 0
		.amdhsa_float_round_mode_16_64 0
		.amdhsa_float_denorm_mode_32 3
		.amdhsa_float_denorm_mode_16_64 3
		.amdhsa_dx10_clamp 1
		.amdhsa_ieee_mode 1
		.amdhsa_fp16_overflow 0
		.amdhsa_exception_fp_ieee_invalid_op 0
		.amdhsa_exception_fp_denorm_src 0
		.amdhsa_exception_fp_ieee_div_zero 0
		.amdhsa_exception_fp_ieee_overflow 0
		.amdhsa_exception_fp_ieee_underflow 0
		.amdhsa_exception_fp_ieee_inexact 0
		.amdhsa_exception_int_div_zero 0
	.end_amdhsa_kernel
	.section	.text._ZN9rocsparseL26bsric0_2_8_unrolled_kernelILi9ELi32ELi3EfEEv20rocsparse_direction_iiPKiS3_PT2_S3_PiS3_S6_21rocsparse_index_base_,"axG",@progbits,_ZN9rocsparseL26bsric0_2_8_unrolled_kernelILi9ELi32ELi3EfEEv20rocsparse_direction_iiPKiS3_PT2_S3_PiS3_S6_21rocsparse_index_base_,comdat
.Lfunc_end4:
	.size	_ZN9rocsparseL26bsric0_2_8_unrolled_kernelILi9ELi32ELi3EfEEv20rocsparse_direction_iiPKiS3_PT2_S3_PiS3_S6_21rocsparse_index_base_, .Lfunc_end4-_ZN9rocsparseL26bsric0_2_8_unrolled_kernelILi9ELi32ELi3EfEEv20rocsparse_direction_iiPKiS3_PT2_S3_PiS3_S6_21rocsparse_index_base_
                                        ; -- End function
	.set _ZN9rocsparseL26bsric0_2_8_unrolled_kernelILi9ELi32ELi3EfEEv20rocsparse_direction_iiPKiS3_PT2_S3_PiS3_S6_21rocsparse_index_base_.num_vgpr, 43
	.set _ZN9rocsparseL26bsric0_2_8_unrolled_kernelILi9ELi32ELi3EfEEv20rocsparse_direction_iiPKiS3_PT2_S3_PiS3_S6_21rocsparse_index_base_.num_agpr, 0
	.set _ZN9rocsparseL26bsric0_2_8_unrolled_kernelILi9ELi32ELi3EfEEv20rocsparse_direction_iiPKiS3_PT2_S3_PiS3_S6_21rocsparse_index_base_.numbered_sgpr, 40
	.set _ZN9rocsparseL26bsric0_2_8_unrolled_kernelILi9ELi32ELi3EfEEv20rocsparse_direction_iiPKiS3_PT2_S3_PiS3_S6_21rocsparse_index_base_.num_named_barrier, 0
	.set _ZN9rocsparseL26bsric0_2_8_unrolled_kernelILi9ELi32ELi3EfEEv20rocsparse_direction_iiPKiS3_PT2_S3_PiS3_S6_21rocsparse_index_base_.private_seg_size, 0
	.set _ZN9rocsparseL26bsric0_2_8_unrolled_kernelILi9ELi32ELi3EfEEv20rocsparse_direction_iiPKiS3_PT2_S3_PiS3_S6_21rocsparse_index_base_.uses_vcc, 1
	.set _ZN9rocsparseL26bsric0_2_8_unrolled_kernelILi9ELi32ELi3EfEEv20rocsparse_direction_iiPKiS3_PT2_S3_PiS3_S6_21rocsparse_index_base_.uses_flat_scratch, 0
	.set _ZN9rocsparseL26bsric0_2_8_unrolled_kernelILi9ELi32ELi3EfEEv20rocsparse_direction_iiPKiS3_PT2_S3_PiS3_S6_21rocsparse_index_base_.has_dyn_sized_stack, 0
	.set _ZN9rocsparseL26bsric0_2_8_unrolled_kernelILi9ELi32ELi3EfEEv20rocsparse_direction_iiPKiS3_PT2_S3_PiS3_S6_21rocsparse_index_base_.has_recursion, 0
	.set _ZN9rocsparseL26bsric0_2_8_unrolled_kernelILi9ELi32ELi3EfEEv20rocsparse_direction_iiPKiS3_PT2_S3_PiS3_S6_21rocsparse_index_base_.has_indirect_call, 0
	.section	.AMDGPU.csdata,"",@progbits
; Kernel info:
; codeLenInByte = 4636
; TotalNumSgprs: 44
; NumVgprs: 43
; ScratchSize: 0
; MemoryBound: 0
; FloatMode: 240
; IeeeMode: 1
; LDSByteSize: 576 bytes/workgroup (compile time only)
; SGPRBlocks: 5
; VGPRBlocks: 10
; NumSGPRsForWavesPerEU: 44
; NumVGPRsForWavesPerEU: 43
; Occupancy: 5
; WaveLimiterHint : 1
; COMPUTE_PGM_RSRC2:SCRATCH_EN: 0
; COMPUTE_PGM_RSRC2:USER_SGPR: 6
; COMPUTE_PGM_RSRC2:TRAP_HANDLER: 0
; COMPUTE_PGM_RSRC2:TGID_X_EN: 1
; COMPUTE_PGM_RSRC2:TGID_Y_EN: 0
; COMPUTE_PGM_RSRC2:TGID_Z_EN: 0
; COMPUTE_PGM_RSRC2:TIDIG_COMP_CNT: 1
	.section	.text._ZN9rocsparseL26bsric0_2_8_unrolled_kernelILi16ELi32ELi4EfEEv20rocsparse_direction_iiPKiS3_PT2_S3_PiS3_S6_21rocsparse_index_base_,"axG",@progbits,_ZN9rocsparseL26bsric0_2_8_unrolled_kernelILi16ELi32ELi4EfEEv20rocsparse_direction_iiPKiS3_PT2_S3_PiS3_S6_21rocsparse_index_base_,comdat
	.globl	_ZN9rocsparseL26bsric0_2_8_unrolled_kernelILi16ELi32ELi4EfEEv20rocsparse_direction_iiPKiS3_PT2_S3_PiS3_S6_21rocsparse_index_base_ ; -- Begin function _ZN9rocsparseL26bsric0_2_8_unrolled_kernelILi16ELi32ELi4EfEEv20rocsparse_direction_iiPKiS3_PT2_S3_PiS3_S6_21rocsparse_index_base_
	.p2align	8
	.type	_ZN9rocsparseL26bsric0_2_8_unrolled_kernelILi16ELi32ELi4EfEEv20rocsparse_direction_iiPKiS3_PT2_S3_PiS3_S6_21rocsparse_index_base_,@function
_ZN9rocsparseL26bsric0_2_8_unrolled_kernelILi16ELi32ELi4EfEEv20rocsparse_direction_iiPKiS3_PT2_S3_PiS3_S6_21rocsparse_index_base_: ; @_ZN9rocsparseL26bsric0_2_8_unrolled_kernelILi16ELi32ELi4EfEEv20rocsparse_direction_iiPKiS3_PT2_S3_PiS3_S6_21rocsparse_index_base_
; %bb.0:
	s_load_dwordx8 s[8:15], s[4:5], 0x28
	s_mov_b32 s7, 0
	s_lshl_b64 s[0:1], s[6:7], 2
	s_waitcnt lgkmcnt(0)
	s_add_u32 s0, s12, s0
	s_addc_u32 s1, s13, s1
	s_load_dword s12, s[0:1], 0x0
	s_waitcnt lgkmcnt(0)
	s_ashr_i32 s13, s12, 31
	s_lshl_b64 s[6:7], s[12:13], 2
	s_add_u32 s0, s8, s6
	s_addc_u32 s1, s9, s7
	s_load_dword s30, s[0:1], 0x0
	s_load_dword s13, s[4:5], 0x48
	s_waitcnt lgkmcnt(0)
	s_cmp_lg_u32 s30, -1
	s_cbranch_scc0 .LBB5_6
; %bb.1:
	s_load_dwordx4 s[16:19], s[4:5], 0x10
	s_load_dwordx2 s[2:3], s[4:5], 0x20
	v_lshlrev_b32_e32 v10, 2, v1
	v_add_u32_e32 v9, v10, v0
	s_waitcnt lgkmcnt(0)
	s_add_u32 s0, s16, s6
	s_addc_u32 s1, s17, s7
	s_load_dword s0, s[0:1], 0x0
	s_waitcnt lgkmcnt(0)
	s_sub_i32 s31, s0, s13
	v_add_u32_e32 v2, s31, v9
	v_cmp_ge_i32_e32 vcc, s30, v2
	s_and_saveexec_b64 s[0:1], vcc
	s_cbranch_execz .LBB5_4
; %bb.2:
	v_lshlrev_b32_e32 v3, 4, v1
	v_lshlrev_b32_e32 v4, 2, v0
	s_movk_i32 s20, 0x100
	v_add3_u32 v5, v3, v4, s20
	v_ashrrev_i32_e32 v3, 31, v2
	v_lshlrev_b64 v[3:4], 2, v[2:3]
	v_mov_b32_e32 v6, s19
	v_add_co_u32_e32 v3, vcc, s18, v3
	v_addc_co_u32_e32 v4, vcc, v6, v4, vcc
	s_mov_b64 s[20:21], 0
.LBB5_3:                                ; =>This Inner Loop Header: Depth=1
	global_load_dword v6, v[3:4], off
	v_add_co_u32_e32 v3, vcc, 64, v3
	v_add_u32_e32 v2, 16, v2
	v_addc_co_u32_e32 v4, vcc, 0, v4, vcc
	v_cmp_lt_i32_e32 vcc, s30, v2
	s_or_b64 s[20:21], vcc, s[20:21]
	s_waitcnt vmcnt(0)
	v_subrev_u32_e32 v6, s13, v6
	ds_write_b32 v5, v6
	v_add_u32_e32 v5, 64, v5
	s_andn2_b64 exec, exec, s[20:21]
	s_cbranch_execnz .LBB5_3
.LBB5_4:
	s_or_b64 exec, exec, s[0:1]
	v_mov_b32_e32 v2, 0x270
	v_mad_u32_u24 v7, v1, 20, v2
	v_lshl_add_u32 v6, v0, 2, v7
	v_mov_b32_e32 v2, 0
	s_cmp_lt_i32 s31, s30
	ds_write_b32 v6, v2
	s_waitcnt lgkmcnt(0)
	s_cbranch_scc1 .LBB5_8
; %bb.5:
	v_lshl_add_u32 v11, v0, 2, v1
	v_or_b32_e32 v8, v0, v1
	s_load_dword s33, s[4:5], 0x0
	s_cbranch_execz .LBB5_9
	s_branch .LBB5_62
.LBB5_6:
	s_cbranch_execnz .LBB5_97
.LBB5_7:
	s_endpgm
.LBB5_8:
                                        ; implicit-def: $vgpr11
                                        ; implicit-def: $vgpr8
	s_load_dword s33, s[4:5], 0x0
.LBB5_9:
	s_waitcnt lgkmcnt(0)
	s_cmp_lg_u32 s33, 0
	v_lshlrev_b32_e32 v12, 2, v0
	v_mul_u32_u24_e32 v3, 20, v1
	s_movk_i32 s0, 0x180
	s_cselect_b64 s[4:5], -1, 0
	s_cmp_eq_u32 s33, 0
	v_mov_b32_e32 v2, 0x220
	v_add3_u32 v15, v3, v12, s0
	v_mov_b32_e32 v3, 0x1d0
	v_add_u32_e32 v11, v12, v1
	v_mad_u32_u24 v13, v1, 20, v2
	v_mad_u32_u24 v22, v1, 20, v3
	v_or_b32_e32 v8, v0, v1
	s_cselect_b64 vcc, -1, 0
	v_add_u32_e32 v14, v13, v12
	v_add_u32_e32 v16, 4, v0
	;; [unrolled: 1-line block ×8, first 2 shown]
	v_mad_u32_u24 v24, v0, 20, v2
	v_cmp_ne_u32_e64 s[0:1], 0, v8
	v_cndmask_b32_e32 v25, v11, v9, vcc
	v_mov_b32_e32 v26, 0
	s_mov_b32 s20, s31
	s_branch .LBB5_12
.LBB5_10:                               ;   in Loop: Header=BB5_12 Depth=1
	s_or_b64 exec, exec, s[24:25]
	v_mov_b32_e32 v5, 1.0
.LBB5_11:                               ;   in Loop: Header=BB5_12 Depth=1
	s_or_b64 exec, exec, s[22:23]
	ds_read2_b32 v[27:28], v26 offset0:111 offset1:112
	ds_read_b32 v31, v22 offset:12
	ds_read2_b32 v[29:30], v13 offset1:1
	ds_read_b32 v32, v13 offset:8
	ds_read_b32 v33, v26 offset:452
	s_add_i32 s20, s20, 1
	s_cmp_ge_i32 s20, s30
	s_waitcnt lgkmcnt(2)
	v_fmac_f32_e32 v31, v27, v29
	v_fmac_f32_e32 v31, v28, v30
	s_waitcnt lgkmcnt(0)
	v_fmac_f32_e32 v31, v33, v32
	v_sub_f32_e32 v4, v4, v31
	v_div_scale_f32 v27, s[22:23], v5, v5, v4
	v_div_scale_f32 v28, vcc, v4, v5, v4
	s_cselect_b64 s[22:23], -1, 0
	v_rcp_f32_e32 v29, v27
	v_fma_f32 v30, -v27, v29, 1.0
	v_fmac_f32_e32 v29, v30, v29
	v_mul_f32_e32 v30, v28, v29
	v_fma_f32 v31, -v27, v30, v28
	v_fmac_f32_e32 v30, v31, v29
	v_fma_f32 v27, -v27, v30, v28
	v_div_fmas_f32 v27, v27, v29, v30
	v_div_fixup_f32 v4, v27, v5, v4
	ds_write_b32 v13, v4 offset:12
	s_waitcnt lgkmcnt(0)
	ds_read_b32 v5, v24 offset:12
	ds_read_b32 v27, v6
	s_waitcnt lgkmcnt(0)
	v_fmac_f32_e32 v27, v4, v5
	ds_write_b32 v6, v27
	s_waitcnt lgkmcnt(0)
	ds_read_b32 v4, v14
	s_waitcnt lgkmcnt(0)
	global_store_dword v[2:3], v4, off
	s_waitcnt vmcnt(0)
	buffer_wbinvl1_vol
	s_and_b64 vcc, exec, s[22:23]
	s_cbranch_vccnz .LBB5_62
.LBB5_12:                               ; =>This Loop Header: Depth=1
                                        ;     Child Loop BB5_15 Depth 2
                                        ;     Child Loop BB5_26 Depth 2
	;; [unrolled: 1-line block ×3, first 2 shown]
	s_ashr_i32 s21, s20, 31
	s_lshl_b64 s[22:23], s[20:21], 2
	s_add_u32 s22, s18, s22
	s_addc_u32 s23, s19, s23
	s_load_dword s21, s[22:23], 0x0
	s_waitcnt lgkmcnt(0)
	s_sub_i32 s24, s21, s13
	s_ashr_i32 s25, s24, 31
	s_lshl_b64 s[22:23], s[24:25], 2
	s_add_u32 s26, s8, s22
	s_addc_u32 s27, s9, s23
	s_load_dword s25, s[26:27], 0x0
	s_waitcnt lgkmcnt(0)
	s_cmp_eq_u32 s25, -1
	s_cbranch_scc1 .LBB5_39
; %bb.13:                               ;   in Loop: Header=BB5_12 Depth=1
	v_lshl_add_u32 v2, s20, 4, v25
	v_ashrrev_i32_e32 v3, 31, v2
	v_lshlrev_b64 v[2:3], 2, v[2:3]
	v_mov_b32_e32 v4, s3
	v_add_co_u32_e32 v2, vcc, s2, v2
	v_addc_co_u32_e32 v3, vcc, v4, v3, vcc
	global_load_dword v4, v[2:3], off
	s_add_u32 s26, s16, s22
	s_addc_u32 s27, s17, s23
	s_load_dword s26, s[26:27], 0x0
	ds_read_b32 v5, v26 offset:256
	s_mov_b32 s27, 0
	s_waitcnt lgkmcnt(0)
	s_sub_i32 s26, s26, s13
	s_cmp_le_i32 s26, s25
	v_cmp_ge_i32_e32 vcc, s24, v5
	s_cselect_b64 s[28:29], -1, 0
	s_and_b64 s[28:29], s[28:29], vcc
	s_andn2_b64 vcc, exec, s[28:29]
	s_waitcnt vmcnt(0)
	ds_write_b32 v14, v4
	s_cbranch_vccnz .LBB5_25
; %bb.14:                               ;   in Loop: Header=BB5_12 Depth=1
	s_mov_b32 s34, 0
	s_mov_b32 s35, 0
.LBB5_15:                               ;   Parent Loop BB5_12 Depth=1
                                        ; =>  This Inner Loop Header: Depth=2
	s_ashr_i32 s27, s26, 31
	s_lshl_b64 s[28:29], s[26:27], 2
	s_add_u32 s28, s18, s28
	s_addc_u32 s29, s19, s29
	s_load_dword s27, s[28:29], 0x0
	s_lshl_b32 s28, s35, 2
	v_mov_b32_e32 v4, s28
	ds_read_b32 v4, v4 offset:256
	s_mov_b64 s[28:29], -1
	s_waitcnt lgkmcnt(0)
	s_sub_i32 s39, s27, s13
                                        ; implicit-def: $sgpr27
                                        ; implicit-def: $sgpr38
                                        ; implicit-def: $sgpr37
	v_cmp_ge_i32_e32 vcc, s39, v4
	v_readfirstlane_b32 s36, v4
	s_cbranch_vccz .LBB5_21
; %bb.16:                               ;   in Loop: Header=BB5_15 Depth=2
	s_cmp_le_i32 s39, s36
                                        ; implicit-def: $sgpr27
                                        ; implicit-def: $sgpr38
                                        ; implicit-def: $sgpr37
	s_cbranch_scc0 .LBB5_18
; %bb.17:                               ;   in Loop: Header=BB5_15 Depth=2
	s_add_i32 s27, s35, s31
	s_lshl_b32 s27, s27, 4
	s_lshl_b32 s28, s34, 2
	v_mov_b32_e32 v5, s27
	s_lshl_b32 s27, s26, 4
	v_mov_b32_e32 v4, s28
	v_mov_b32_e32 v27, s27
	ds_write2_b32 v4, v27, v5 offset1:32
	s_add_i32 s37, s35, 1
	s_add_i32 s38, s26, 1
	;; [unrolled: 1-line block ×3, first 2 shown]
	s_mov_b64 s[28:29], 0
.LBB5_18:                               ;   in Loop: Header=BB5_15 Depth=2
	s_andn2_b64 vcc, exec, s[28:29]
	s_cbranch_vccnz .LBB5_20
; %bb.19:                               ;   in Loop: Header=BB5_15 Depth=2
	s_add_i32 s37, s35, 1
	s_mov_b32 s27, s34
	s_mov_b32 s38, s26
.LBB5_20:                               ;   in Loop: Header=BB5_15 Depth=2
	s_mov_b64 s[28:29], 0
.LBB5_21:                               ;   in Loop: Header=BB5_15 Depth=2
	s_andn2_b64 vcc, exec, s[28:29]
	s_cbranch_vccnz .LBB5_23
; %bb.22:                               ;   in Loop: Header=BB5_15 Depth=2
	s_add_i32 s38, s26, 1
	s_mov_b32 s37, s35
	s_mov_b32 s27, s34
.LBB5_23:                               ;   in Loop: Header=BB5_15 Depth=2
	s_cmp_le_i32 s38, s25
	s_cselect_b64 s[28:29], -1, 0
	s_cmp_le_i32 s36, s24
	s_cselect_b64 s[34:35], -1, 0
	s_and_b64 s[28:29], s[28:29], s[34:35]
	s_and_b64 vcc, exec, s[28:29]
	s_cbranch_vccz .LBB5_25
; %bb.24:                               ;   in Loop: Header=BB5_15 Depth=2
	s_mov_b32 s34, s27
	s_mov_b32 s26, s38
	s_mov_b32 s35, s37
	s_branch .LBB5_15
.LBB5_25:                               ;   in Loop: Header=BB5_12 Depth=1
	s_add_u32 s22, s10, s22
	s_addc_u32 s23, s11, s23
	s_waitcnt lgkmcnt(0)
.LBB5_26:                               ;   Parent Loop BB5_12 Depth=1
                                        ; =>  This Inner Loop Header: Depth=2
	global_load_dword v4, v26, s[22:23] glc
	s_waitcnt vmcnt(0)
	v_cmp_eq_u32_e32 vcc, 0, v4
	s_cbranch_vccnz .LBB5_26
; %bb.27:                               ;   in Loop: Header=BB5_12 Depth=1
	v_lshl_add_u32 v4, s25, 4, v25
	v_ashrrev_i32_e32 v5, 31, v4
	v_lshlrev_b64 v[4:5], 2, v[4:5]
	v_mov_b32_e32 v27, s3
	v_add_co_u32_e32 v4, vcc, s2, v4
	v_addc_co_u32_e32 v5, vcc, v27, v5, vcc
	buffer_wbinvl1_vol
	global_load_dword v4, v[4:5], off
	s_cmp_lt_i32 s27, 2
	v_mov_b32_e32 v27, 0
	s_waitcnt vmcnt(0)
	ds_write_b32 v15, v4
	s_waitcnt lgkmcnt(0)
	s_cbranch_scc1 .LBB5_47
; %bb.28:                               ;   in Loop: Header=BB5_12 Depth=1
	s_add_i32 s24, s27, -1
	s_cmp_eq_u32 s27, 2
	s_cbranch_scc1 .LBB5_40
; %bb.29:                               ;   in Loop: Header=BB5_12 Depth=1
	s_and_b32 s25, s24, -2
	s_mov_b32 s26, 0
	v_mov_b32_e32 v27, 0
	s_mov_b32 s27, 0
	s_branch .LBB5_31
.LBB5_30:                               ;   in Loop: Header=BB5_31 Depth=2
	s_add_i32 s27, s27, 2
	s_add_i32 s26, s26, 8
	s_cmp_eq_u32 s25, s27
	s_cbranch_scc1 .LBB5_41
.LBB5_31:                               ;   Parent Loop BB5_12 Depth=1
                                        ; =>  This Inner Loop Header: Depth=2
	s_waitcnt lgkmcnt(0)
	v_mov_b32_e32 v4, s26
	ds_read2_b32 v[4:5], v4 offset1:32
	s_mov_b64 s[22:23], -1
	s_and_b64 vcc, exec, s[4:5]
                                        ; implicit-def: $vgpr28
	s_cbranch_vccz .LBB5_33
; %bb.32:                               ;   in Loop: Header=BB5_31 Depth=2
	s_waitcnt lgkmcnt(0)
	v_add_u32_e32 v28, v4, v0
	v_ashrrev_i32_e32 v29, 31, v28
	v_lshlrev_b64 v[28:29], 2, v[28:29]
	v_mov_b32_e32 v30, s3
	v_add_co_u32_e32 v28, vcc, s2, v28
	v_addc_co_u32_e32 v29, vcc, v30, v29, vcc
	v_add_u32_e32 v30, v5, v1
	v_ashrrev_i32_e32 v31, 31, v30
	v_lshlrev_b64 v[30:31], 2, v[30:31]
	v_mov_b32_e32 v32, s3
	v_add_co_u32_e32 v30, vcc, s2, v30
	v_addc_co_u32_e32 v31, vcc, v32, v31, vcc
	;; [unrolled: 6-line block ×8, first 2 shown]
	global_load_dword v44, v[28:29], off
	global_load_dword v45, v[30:31], off
	;; [unrolled: 1-line block ×8, first 2 shown]
	s_mov_b64 s[22:23], 0
	s_waitcnt vmcnt(6)
	v_fma_f32 v28, v44, v45, v27
	s_waitcnt vmcnt(4)
	v_fmac_f32_e32 v28, v46, v47
	s_waitcnt vmcnt(2)
	v_fmac_f32_e32 v28, v48, v49
	;; [unrolled: 2-line block ×3, first 2 shown]
.LBB5_33:                               ;   in Loop: Header=BB5_31 Depth=2
	s_andn2_b64 vcc, exec, s[22:23]
	s_cbranch_vccnz .LBB5_35
; %bb.34:                               ;   in Loop: Header=BB5_31 Depth=2
	s_waitcnt lgkmcnt(0)
	v_add_u32_e32 v28, v4, v12
	v_ashrrev_i32_e32 v29, 31, v28
	v_lshlrev_b64 v[28:29], 2, v[28:29]
	v_mov_b32_e32 v4, s3
	v_add_co_u32_e32 v36, vcc, s2, v28
	v_addc_co_u32_e32 v37, vcc, v4, v29, vcc
	v_add_u32_e32 v4, v5, v10
	v_ashrrev_i32_e32 v5, 31, v4
	v_lshlrev_b64 v[4:5], 2, v[4:5]
	v_mov_b32_e32 v28, s3
	v_add_co_u32_e32 v4, vcc, s2, v4
	v_addc_co_u32_e32 v5, vcc, v28, v5, vcc
	global_load_dwordx4 v[28:31], v[36:37], off
	global_load_dwordx4 v[32:35], v[4:5], off
	s_waitcnt vmcnt(0)
	v_fmac_f32_e32 v27, v28, v32
	v_fmac_f32_e32 v27, v29, v33
	;; [unrolled: 1-line block ×4, first 2 shown]
	v_mov_b32_e32 v28, v27
.LBB5_35:                               ;   in Loop: Header=BB5_31 Depth=2
	s_waitcnt lgkmcnt(0)
	v_mov_b32_e32 v4, s26
	ds_read2_b32 v[4:5], v4 offset0:1 offset1:33
	s_andn2_b64 vcc, exec, s[4:5]
	s_mov_b64 s[22:23], -1
                                        ; implicit-def: $vgpr27
	s_cbranch_vccnz .LBB5_37
; %bb.36:                               ;   in Loop: Header=BB5_31 Depth=2
	s_waitcnt lgkmcnt(0)
	v_add_u32_e32 v29, v4, v0
	v_ashrrev_i32_e32 v30, 31, v29
	v_lshlrev_b64 v[29:30], 2, v[29:30]
	v_add_u32_e32 v31, v5, v1
	v_ashrrev_i32_e32 v32, 31, v31
	v_mov_b32_e32 v27, s3
	v_add_co_u32_e32 v29, vcc, s2, v29
	v_lshlrev_b64 v[31:32], 2, v[31:32]
	v_add_u32_e32 v33, v16, v4
	v_addc_co_u32_e32 v30, vcc, v27, v30, vcc
	v_ashrrev_i32_e32 v34, 31, v33
	v_add_co_u32_e32 v31, vcc, s2, v31
	v_lshlrev_b64 v[33:34], 2, v[33:34]
	v_add_u32_e32 v35, v17, v5
	v_addc_co_u32_e32 v32, vcc, v27, v32, vcc
	v_ashrrev_i32_e32 v36, 31, v35
	;; [unrolled: 5-line block ×6, first 2 shown]
	v_add_co_u32_e32 v41, vcc, s2, v41
	v_lshlrev_b64 v[43:44], 2, v[43:44]
	v_addc_co_u32_e32 v42, vcc, v27, v42, vcc
	v_add_co_u32_e32 v43, vcc, s2, v43
	v_addc_co_u32_e32 v44, vcc, v27, v44, vcc
	global_load_dword v27, v[29:30], off
	global_load_dword v45, v[31:32], off
	global_load_dword v46, v[33:34], off
	global_load_dword v47, v[35:36], off
	global_load_dword v48, v[37:38], off
	global_load_dword v49, v[39:40], off
	global_load_dword v50, v[41:42], off
	global_load_dword v51, v[43:44], off
	s_mov_b64 s[22:23], 0
	s_waitcnt vmcnt(6)
	v_fma_f32 v27, v27, v45, v28
	s_waitcnt vmcnt(4)
	v_fmac_f32_e32 v27, v46, v47
	s_waitcnt vmcnt(2)
	v_fmac_f32_e32 v27, v48, v49
	;; [unrolled: 2-line block ×3, first 2 shown]
.LBB5_37:                               ;   in Loop: Header=BB5_31 Depth=2
	s_andn2_b64 vcc, exec, s[22:23]
	s_cbranch_vccnz .LBB5_30
; %bb.38:                               ;   in Loop: Header=BB5_31 Depth=2
	s_waitcnt lgkmcnt(0)
	v_add_u32_e32 v29, v4, v12
	v_ashrrev_i32_e32 v30, 31, v29
	v_lshlrev_b64 v[29:30], 2, v[29:30]
	v_mov_b32_e32 v4, s3
	v_add_co_u32_e32 v37, vcc, s2, v29
	v_addc_co_u32_e32 v38, vcc, v4, v30, vcc
	v_add_u32_e32 v4, v5, v10
	v_ashrrev_i32_e32 v5, 31, v4
	v_lshlrev_b64 v[4:5], 2, v[4:5]
	v_mov_b32_e32 v27, s3
	v_add_co_u32_e32 v4, vcc, s2, v4
	v_addc_co_u32_e32 v5, vcc, v27, v5, vcc
	global_load_dwordx4 v[29:32], v[37:38], off
	global_load_dwordx4 v[33:36], v[4:5], off
	s_waitcnt vmcnt(0)
	v_fmac_f32_e32 v28, v29, v33
	v_fmac_f32_e32 v28, v30, v34
	;; [unrolled: 1-line block ×4, first 2 shown]
	v_mov_b32_e32 v27, v28
	s_branch .LBB5_30
.LBB5_39:                               ;   in Loop: Header=BB5_12 Depth=1
                                        ; implicit-def: $sgpr20
	s_cbranch_execz .LBB5_12
	s_branch .LBB5_62
.LBB5_40:                               ;   in Loop: Header=BB5_12 Depth=1
	v_mov_b32_e32 v27, 0
	s_mov_b32 s25, 0
.LBB5_41:                               ;   in Loop: Header=BB5_12 Depth=1
	s_bitcmp0_b32 s24, 0
	s_cbranch_scc1 .LBB5_47
; %bb.42:                               ;   in Loop: Header=BB5_12 Depth=1
	s_lshl_b32 s22, s25, 2
	s_waitcnt lgkmcnt(0)
	v_mov_b32_e32 v4, s22
	ds_read2_b32 v[4:5], v4 offset1:32
	s_andn2_b64 vcc, exec, s[4:5]
	s_mov_b64 s[22:23], -1
                                        ; implicit-def: $vgpr28
	s_cbranch_vccnz .LBB5_44
; %bb.43:                               ;   in Loop: Header=BB5_12 Depth=1
	s_waitcnt lgkmcnt(0)
	v_add_u32_e32 v28, v4, v0
	v_ashrrev_i32_e32 v29, 31, v28
	v_lshlrev_b64 v[28:29], 2, v[28:29]
	v_mov_b32_e32 v30, s3
	v_add_co_u32_e32 v28, vcc, s2, v28
	v_addc_co_u32_e32 v29, vcc, v30, v29, vcc
	v_add_u32_e32 v30, v5, v1
	v_ashrrev_i32_e32 v31, 31, v30
	v_lshlrev_b64 v[30:31], 2, v[30:31]
	v_mov_b32_e32 v32, s3
	v_add_co_u32_e32 v30, vcc, s2, v30
	v_addc_co_u32_e32 v31, vcc, v32, v31, vcc
	;; [unrolled: 6-line block ×8, first 2 shown]
	global_load_dword v44, v[28:29], off
	global_load_dword v45, v[30:31], off
	global_load_dword v46, v[32:33], off
	global_load_dword v47, v[34:35], off
	global_load_dword v48, v[36:37], off
	global_load_dword v49, v[38:39], off
	global_load_dword v50, v[40:41], off
	global_load_dword v51, v[42:43], off
	s_mov_b64 s[22:23], 0
	s_waitcnt vmcnt(6)
	v_fma_f32 v28, v44, v45, v27
	s_waitcnt vmcnt(4)
	v_fmac_f32_e32 v28, v46, v47
	s_waitcnt vmcnt(2)
	v_fmac_f32_e32 v28, v48, v49
	;; [unrolled: 2-line block ×3, first 2 shown]
.LBB5_44:                               ;   in Loop: Header=BB5_12 Depth=1
	s_andn2_b64 vcc, exec, s[22:23]
	s_cbranch_vccnz .LBB5_46
; %bb.45:                               ;   in Loop: Header=BB5_12 Depth=1
	s_waitcnt lgkmcnt(0)
	v_add_u32_e32 v28, v4, v12
	v_ashrrev_i32_e32 v29, 31, v28
	v_lshlrev_b64 v[28:29], 2, v[28:29]
	v_mov_b32_e32 v4, s3
	v_add_co_u32_e32 v36, vcc, s2, v28
	v_addc_co_u32_e32 v37, vcc, v4, v29, vcc
	v_add_u32_e32 v4, v5, v10
	v_ashrrev_i32_e32 v5, 31, v4
	v_lshlrev_b64 v[4:5], 2, v[4:5]
	v_mov_b32_e32 v28, s3
	v_add_co_u32_e32 v4, vcc, s2, v4
	v_addc_co_u32_e32 v5, vcc, v28, v5, vcc
	global_load_dwordx4 v[28:31], v[36:37], off
	global_load_dwordx4 v[32:35], v[4:5], off
	s_waitcnt vmcnt(0)
	v_fmac_f32_e32 v27, v28, v32
	v_fmac_f32_e32 v27, v29, v33
	;; [unrolled: 1-line block ×4, first 2 shown]
	v_mov_b32_e32 v28, v27
.LBB5_46:                               ;   in Loop: Header=BB5_12 Depth=1
	v_mov_b32_e32 v27, v28
.LBB5_47:                               ;   in Loop: Header=BB5_12 Depth=1
	ds_write_b32 v23, v27
	s_waitcnt lgkmcnt(0)
	ds_read_b32 v5, v26 offset:384
	ds_read_b32 v4, v13
	s_waitcnt lgkmcnt(1)
	v_cmp_neq_f32_e32 vcc, 0, v5
	v_cndmask_b32_e32 v5, 1.0, v5, vcc
	s_nor_b64 s[24:25], vcc, s[0:1]
	s_and_saveexec_b64 s[22:23], s[24:25]
	s_cbranch_execz .LBB5_51
; %bb.48:                               ;   in Loop: Header=BB5_12 Depth=1
	v_mbcnt_lo_u32_b32 v5, exec_lo, 0
	v_mbcnt_hi_u32_b32 v5, exec_hi, v5
	v_cmp_eq_u32_e32 vcc, 0, v5
	s_and_saveexec_b64 s[24:25], vcc
	s_cbranch_execz .LBB5_50
; %bb.49:                               ;   in Loop: Header=BB5_12 Depth=1
	v_mov_b32_e32 v5, s21
	global_atomic_smin v26, v5, s[14:15]
.LBB5_50:                               ;   in Loop: Header=BB5_12 Depth=1
	s_or_b64 exec, exec, s[24:25]
	v_mov_b32_e32 v5, 1.0
.LBB5_51:                               ;   in Loop: Header=BB5_12 Depth=1
	s_or_b64 exec, exec, s[22:23]
	ds_read_b32 v27, v22
	s_waitcnt lgkmcnt(0)
	v_sub_f32_e32 v4, v4, v27
	v_div_scale_f32 v27, s[22:23], v5, v5, v4
	v_div_scale_f32 v28, vcc, v4, v5, v4
	v_rcp_f32_e32 v29, v27
	v_fma_f32 v30, -v27, v29, 1.0
	v_fmac_f32_e32 v29, v30, v29
	v_mul_f32_e32 v30, v28, v29
	v_fma_f32 v31, -v27, v30, v28
	v_fmac_f32_e32 v30, v31, v29
	v_fma_f32 v27, -v27, v30, v28
	v_div_fmas_f32 v27, v27, v29, v30
	v_div_fixup_f32 v4, v27, v5, v4
	ds_write_b32 v13, v4
	s_waitcnt lgkmcnt(0)
	ds_read_b32 v5, v24
	ds_read_b32 v27, v6
	s_waitcnt lgkmcnt(0)
	v_fmac_f32_e32 v27, v4, v5
	ds_write_b32 v6, v27
	s_waitcnt lgkmcnt(0)
	ds_read_b32 v5, v26 offset:408
	ds_read_b32 v4, v13 offset:4
	s_waitcnt lgkmcnt(1)
	v_cmp_neq_f32_e32 vcc, 0, v5
	v_cndmask_b32_e32 v5, 1.0, v5, vcc
	s_nor_b64 s[24:25], vcc, s[0:1]
	s_and_saveexec_b64 s[22:23], s[24:25]
	s_cbranch_execz .LBB5_55
; %bb.52:                               ;   in Loop: Header=BB5_12 Depth=1
	v_mbcnt_lo_u32_b32 v5, exec_lo, 0
	v_mbcnt_hi_u32_b32 v5, exec_hi, v5
	v_cmp_eq_u32_e32 vcc, 0, v5
	s_and_saveexec_b64 s[24:25], vcc
	s_cbranch_execz .LBB5_54
; %bb.53:                               ;   in Loop: Header=BB5_12 Depth=1
	v_mov_b32_e32 v5, s21
	global_atomic_smin v26, v5, s[14:15]
.LBB5_54:                               ;   in Loop: Header=BB5_12 Depth=1
	s_or_b64 exec, exec, s[24:25]
	v_mov_b32_e32 v5, 1.0
.LBB5_55:                               ;   in Loop: Header=BB5_12 Depth=1
	s_or_b64 exec, exec, s[22:23]
	ds_read_b32 v27, v26 offset:404
	ds_read_b32 v28, v13
	ds_read_b32 v29, v22 offset:4
	s_waitcnt lgkmcnt(0)
	v_fmac_f32_e32 v29, v27, v28
	v_sub_f32_e32 v4, v4, v29
	v_div_scale_f32 v27, s[22:23], v5, v5, v4
	v_div_scale_f32 v28, vcc, v4, v5, v4
	v_rcp_f32_e32 v29, v27
	v_fma_f32 v30, -v27, v29, 1.0
	v_fmac_f32_e32 v29, v30, v29
	v_mul_f32_e32 v30, v28, v29
	v_fma_f32 v31, -v27, v30, v28
	v_fmac_f32_e32 v30, v31, v29
	v_fma_f32 v27, -v27, v30, v28
	v_div_fmas_f32 v27, v27, v29, v30
	v_div_fixup_f32 v4, v27, v5, v4
	ds_write_b32 v13, v4 offset:4
	s_waitcnt lgkmcnt(0)
	ds_read_b32 v5, v24 offset:4
	ds_read_b32 v27, v6
	s_waitcnt lgkmcnt(0)
	v_fmac_f32_e32 v27, v4, v5
	ds_write_b32 v6, v27
	s_waitcnt lgkmcnt(0)
	ds_read_b32 v5, v26 offset:432
	ds_read_b32 v4, v13 offset:8
	s_waitcnt lgkmcnt(1)
	v_cmp_neq_f32_e32 vcc, 0, v5
	v_cndmask_b32_e32 v5, 1.0, v5, vcc
	s_nor_b64 s[24:25], vcc, s[0:1]
	s_and_saveexec_b64 s[22:23], s[24:25]
	s_cbranch_execz .LBB5_59
; %bb.56:                               ;   in Loop: Header=BB5_12 Depth=1
	v_mbcnt_lo_u32_b32 v5, exec_lo, 0
	v_mbcnt_hi_u32_b32 v5, exec_hi, v5
	v_cmp_eq_u32_e32 vcc, 0, v5
	s_and_saveexec_b64 s[24:25], vcc
	s_cbranch_execz .LBB5_58
; %bb.57:                               ;   in Loop: Header=BB5_12 Depth=1
	v_mov_b32_e32 v5, s21
	global_atomic_smin v26, v5, s[14:15]
.LBB5_58:                               ;   in Loop: Header=BB5_12 Depth=1
	s_or_b64 exec, exec, s[24:25]
	v_mov_b32_e32 v5, 1.0
.LBB5_59:                               ;   in Loop: Header=BB5_12 Depth=1
	s_or_b64 exec, exec, s[22:23]
	ds_read_b64 v[27:28], v26 offset:424
	ds_read2_b32 v[29:30], v13 offset1:1
	ds_read_b32 v31, v22 offset:8
	s_waitcnt lgkmcnt(0)
	v_fmac_f32_e32 v31, v27, v29
	v_fmac_f32_e32 v31, v28, v30
	v_sub_f32_e32 v4, v4, v31
	v_div_scale_f32 v27, s[22:23], v5, v5, v4
	v_div_scale_f32 v28, vcc, v4, v5, v4
	v_rcp_f32_e32 v29, v27
	v_fma_f32 v30, -v27, v29, 1.0
	v_fmac_f32_e32 v29, v30, v29
	v_mul_f32_e32 v30, v28, v29
	v_fma_f32 v31, -v27, v30, v28
	v_fmac_f32_e32 v30, v31, v29
	v_fma_f32 v27, -v27, v30, v28
	v_div_fmas_f32 v27, v27, v29, v30
	v_div_fixup_f32 v4, v27, v5, v4
	ds_write_b32 v13, v4 offset:8
	s_waitcnt lgkmcnt(0)
	ds_read_b32 v5, v24 offset:8
	ds_read_b32 v27, v6
	s_waitcnt lgkmcnt(0)
	v_fmac_f32_e32 v27, v4, v5
	ds_write_b32 v6, v27
	s_waitcnt lgkmcnt(0)
	ds_read_b32 v5, v26 offset:456
	ds_read_b32 v4, v13 offset:12
	s_waitcnt lgkmcnt(1)
	v_cmp_neq_f32_e32 vcc, 0, v5
	v_cndmask_b32_e32 v5, 1.0, v5, vcc
	s_nor_b64 s[24:25], vcc, s[0:1]
	s_and_saveexec_b64 s[22:23], s[24:25]
	s_cbranch_execz .LBB5_11
; %bb.60:                               ;   in Loop: Header=BB5_12 Depth=1
	v_mbcnt_lo_u32_b32 v5, exec_lo, 0
	v_mbcnt_hi_u32_b32 v5, exec_hi, v5
	v_cmp_eq_u32_e32 vcc, 0, v5
	s_and_saveexec_b64 s[24:25], vcc
	s_cbranch_execz .LBB5_10
; %bb.61:                               ;   in Loop: Header=BB5_12 Depth=1
	v_mov_b32_e32 v5, s21
	global_atomic_smin v26, v5, s[14:15]
	s_branch .LBB5_10
.LBB5_62:
	s_waitcnt lgkmcnt(0)
	s_cmp_eq_u32 s33, 0
	s_cselect_b64 vcc, -1, 0
	v_cndmask_b32_e32 v2, v11, v9, vcc
	v_lshl_add_u32 v2, s30, 4, v2
	v_ashrrev_i32_e32 v3, 31, v2
	v_lshlrev_b64 v[2:3], 2, v[2:3]
	v_mov_b32_e32 v4, s3
	v_add_co_u32_e32 v2, vcc, s2, v2
	v_addc_co_u32_e32 v3, vcc, v4, v3, vcc
	global_load_dword v9, v[2:3], off
	v_mov_b32_e32 v4, 0x220
	v_mad_u32_u24 v5, v1, 20, v4
	v_cmp_ne_u32_e32 vcc, 0, v1
	v_lshl_add_u32 v4, v0, 2, v5
	v_cmp_eq_u32_e64 s[0:1], 0, v1
	s_waitcnt vmcnt(0)
	ds_write_b32 v4, v9
	s_waitcnt lgkmcnt(0)
	s_and_saveexec_b64 s[4:5], s[0:1]
	s_cbranch_execz .LBB5_64
; %bb.63:
	v_mov_b32_e32 v11, 0
	ds_read2_b32 v[9:10], v11 offset0:136 offset1:156
	s_mov_b32 s2, 0xf800000
	s_waitcnt lgkmcnt(0)
	v_sub_f32_e32 v9, v9, v10
	v_cmp_gt_f32_e64 s[0:1], 0, v9
	v_cndmask_b32_e64 v9, v9, -v9, s[0:1]
	v_mul_f32_e32 v10, 0x4f800000, v9
	v_cmp_gt_f32_e64 s[0:1], s2, v9
	v_cndmask_b32_e64 v9, v9, v10, s[0:1]
	v_sqrt_f32_e32 v10, v9
	v_add_u32_e32 v12, -1, v10
	v_add_u32_e32 v13, 1, v10
	v_fma_f32 v14, -v12, v10, v9
	v_fma_f32 v15, -v13, v10, v9
	v_cmp_ge_f32_e64 s[2:3], 0, v14
	v_cndmask_b32_e64 v10, v10, v12, s[2:3]
	v_cmp_lt_f32_e64 s[2:3], 0, v15
	v_cndmask_b32_e64 v10, v10, v13, s[2:3]
	v_mul_f32_e32 v12, 0x37800000, v10
	v_cndmask_b32_e64 v10, v10, v12, s[0:1]
	v_mov_b32_e32 v12, 0x260
	v_cmp_class_f32_e64 s[0:1], v9, v12
	v_cndmask_b32_e64 v9, v10, v9, s[0:1]
	ds_write_b32 v11, v9 offset:544
.LBB5_64:
	s_or_b64 exec, exec, s[4:5]
	v_mov_b32_e32 v9, 0
	s_waitcnt lgkmcnt(0)
	ds_read_b32 v9, v9 offset:544
	v_cmp_ne_u32_e64 s[0:1], 0, v8
	s_add_i32 s16, s12, s13
	s_waitcnt lgkmcnt(0)
	v_cmp_neq_f32_e64 s[2:3], 0, v9
	v_cndmask_b32_e64 v10, 1.0, v9, s[2:3]
	s_nor_b64 s[2:3], s[2:3], s[0:1]
	s_and_saveexec_b64 s[4:5], s[2:3]
	s_cbranch_execz .LBB5_68
; %bb.65:
	v_mbcnt_lo_u32_b32 v9, exec_lo, 0
	v_mbcnt_hi_u32_b32 v9, exec_hi, v9
	v_cmp_eq_u32_e64 s[2:3], 0, v9
	s_and_saveexec_b64 s[8:9], s[2:3]
	s_cbranch_execz .LBB5_67
; %bb.66:
	v_mov_b32_e32 v9, 0
	v_mov_b32_e32 v10, s16
	global_atomic_smin v9, v10, s[14:15]
.LBB5_67:
	s_or_b64 exec, exec, s[8:9]
	v_mov_b32_e32 v10, 1.0
.LBB5_68:
	s_or_b64 exec, exec, s[4:5]
	v_mov_b32_e32 v9, 0x220
	v_mad_u32_u24 v9, v0, 20, v9
	s_and_saveexec_b64 s[2:3], vcc
	s_cbranch_execz .LBB5_70
; %bb.69:
	ds_read_b32 v11, v5
	ds_read_b32 v12, v7
	s_waitcnt lgkmcnt(0)
	v_sub_f32_e32 v11, v11, v12
	v_div_scale_f32 v12, s[4:5], v10, v10, v11
	v_div_scale_f32 v13, vcc, v11, v10, v11
	v_rcp_f32_e32 v14, v12
	v_fma_f32 v15, -v12, v14, 1.0
	v_fmac_f32_e32 v14, v15, v14
	v_mul_f32_e32 v15, v13, v14
	v_fma_f32 v16, -v12, v15, v13
	v_fmac_f32_e32 v15, v16, v14
	v_fma_f32 v12, -v12, v15, v13
	v_div_fmas_f32 v12, v12, v14, v15
	v_div_fixup_f32 v10, v12, v10, v11
	ds_write_b32 v5, v10
	s_waitcnt lgkmcnt(0)
	ds_read_b32 v11, v9
	ds_read_b32 v12, v6
	s_waitcnt lgkmcnt(0)
	v_fmac_f32_e32 v12, v10, v11
	ds_write_b32 v6, v12
.LBB5_70:
	s_or_b64 exec, exec, s[2:3]
	v_cmp_eq_u32_e32 vcc, 1, v1
	s_waitcnt lgkmcnt(0)
	s_and_saveexec_b64 s[4:5], vcc
	s_cbranch_execz .LBB5_72
; %bb.71:
	v_mov_b32_e32 v12, 0
	ds_read2_b32 v[10:11], v12 offset0:142 offset1:162
	s_mov_b32 s2, 0xf800000
	s_waitcnt lgkmcnt(0)
	v_sub_f32_e32 v10, v10, v11
	v_cmp_gt_f32_e32 vcc, 0, v10
	v_cndmask_b32_e64 v10, v10, -v10, vcc
	v_mul_f32_e32 v11, 0x4f800000, v10
	v_cmp_gt_f32_e32 vcc, s2, v10
	v_cndmask_b32_e32 v10, v10, v11, vcc
	v_sqrt_f32_e32 v11, v10
	v_add_u32_e32 v13, -1, v11
	v_add_u32_e32 v14, 1, v11
	v_fma_f32 v15, -v13, v11, v10
	v_fma_f32 v16, -v14, v11, v10
	v_cmp_ge_f32_e64 s[2:3], 0, v15
	v_cndmask_b32_e64 v11, v11, v13, s[2:3]
	v_cmp_lt_f32_e64 s[2:3], 0, v16
	v_cndmask_b32_e64 v11, v11, v14, s[2:3]
	v_mul_f32_e32 v13, 0x37800000, v11
	v_cndmask_b32_e32 v11, v11, v13, vcc
	v_mov_b32_e32 v13, 0x260
	v_cmp_class_f32_e32 vcc, v10, v13
	v_cndmask_b32_e32 v10, v11, v10, vcc
	ds_write_b32 v12, v10 offset:568
.LBB5_72:
	s_or_b64 exec, exec, s[4:5]
	v_mov_b32_e32 v10, 0
	s_waitcnt lgkmcnt(0)
	ds_read_b32 v10, v10 offset:568
	s_waitcnt lgkmcnt(0)
	v_cmp_neq_f32_e32 vcc, 0, v10
	v_cndmask_b32_e32 v10, 1.0, v10, vcc
	s_nor_b64 s[4:5], vcc, s[0:1]
	s_and_saveexec_b64 s[2:3], s[4:5]
	s_cbranch_execz .LBB5_76
; %bb.73:
	v_mbcnt_lo_u32_b32 v10, exec_lo, 0
	v_mbcnt_hi_u32_b32 v10, exec_hi, v10
	v_cmp_eq_u32_e32 vcc, 0, v10
	s_and_saveexec_b64 s[4:5], vcc
	s_cbranch_execz .LBB5_75
; %bb.74:
	v_mov_b32_e32 v10, 0
	v_mov_b32_e32 v11, s16
	global_atomic_smin v10, v11, s[14:15]
.LBB5_75:
	s_or_b64 exec, exec, s[4:5]
	v_mov_b32_e32 v10, 1.0
.LBB5_76:
	s_or_b64 exec, exec, s[2:3]
	v_cmp_lt_u32_e32 vcc, 1, v1
	s_and_saveexec_b64 s[2:3], vcc
	s_cbranch_execz .LBB5_78
; %bb.77:
	ds_read_b32 v11, v5 offset:4
	ds_read_b32 v12, v7 offset:4
	s_waitcnt lgkmcnt(0)
	v_sub_f32_e32 v11, v11, v12
	v_div_scale_f32 v12, s[4:5], v10, v10, v11
	v_div_scale_f32 v13, vcc, v11, v10, v11
	v_rcp_f32_e32 v14, v12
	v_fma_f32 v15, -v12, v14, 1.0
	v_fmac_f32_e32 v14, v15, v14
	v_mul_f32_e32 v15, v13, v14
	v_fma_f32 v16, -v12, v15, v13
	v_fmac_f32_e32 v15, v16, v14
	v_fma_f32 v12, -v12, v15, v13
	v_div_fmas_f32 v12, v12, v14, v15
	v_div_fixup_f32 v10, v12, v10, v11
	ds_write_b32 v5, v10 offset:4
	s_waitcnt lgkmcnt(0)
	ds_read_b32 v11, v9 offset:4
	ds_read_b32 v12, v6
	s_waitcnt lgkmcnt(0)
	v_fmac_f32_e32 v12, v10, v11
	ds_write_b32 v6, v12
.LBB5_78:
	s_or_b64 exec, exec, s[2:3]
	v_cmp_eq_u32_e32 vcc, 2, v1
	s_waitcnt lgkmcnt(0)
	s_and_saveexec_b64 s[4:5], vcc
	s_cbranch_execz .LBB5_80
; %bb.79:
	v_mov_b32_e32 v12, 0
	ds_read2_b32 v[10:11], v12 offset0:148 offset1:168
	s_mov_b32 s2, 0xf800000
	s_waitcnt lgkmcnt(0)
	v_sub_f32_e32 v10, v10, v11
	v_cmp_gt_f32_e32 vcc, 0, v10
	v_cndmask_b32_e64 v10, v10, -v10, vcc
	v_mul_f32_e32 v11, 0x4f800000, v10
	v_cmp_gt_f32_e32 vcc, s2, v10
	v_cndmask_b32_e32 v10, v10, v11, vcc
	v_sqrt_f32_e32 v11, v10
	v_add_u32_e32 v13, -1, v11
	v_add_u32_e32 v14, 1, v11
	v_fma_f32 v15, -v13, v11, v10
	v_fma_f32 v16, -v14, v11, v10
	v_cmp_ge_f32_e64 s[2:3], 0, v15
	v_cndmask_b32_e64 v11, v11, v13, s[2:3]
	v_cmp_lt_f32_e64 s[2:3], 0, v16
	v_cndmask_b32_e64 v11, v11, v14, s[2:3]
	v_mul_f32_e32 v13, 0x37800000, v11
	v_cndmask_b32_e32 v11, v11, v13, vcc
	v_mov_b32_e32 v13, 0x260
	v_cmp_class_f32_e32 vcc, v10, v13
	v_cndmask_b32_e32 v10, v11, v10, vcc
	ds_write_b32 v12, v10 offset:592
.LBB5_80:
	s_or_b64 exec, exec, s[4:5]
	v_mov_b32_e32 v10, 0
	s_waitcnt lgkmcnt(0)
	ds_read_b32 v10, v10 offset:592
	s_waitcnt lgkmcnt(0)
	v_cmp_neq_f32_e32 vcc, 0, v10
	v_cndmask_b32_e32 v10, 1.0, v10, vcc
	s_nor_b64 s[4:5], vcc, s[0:1]
	s_and_saveexec_b64 s[2:3], s[4:5]
	s_cbranch_execz .LBB5_84
; %bb.81:
	v_mbcnt_lo_u32_b32 v10, exec_lo, 0
	v_mbcnt_hi_u32_b32 v10, exec_hi, v10
	v_cmp_eq_u32_e32 vcc, 0, v10
	s_and_saveexec_b64 s[4:5], vcc
	s_cbranch_execz .LBB5_83
; %bb.82:
	v_mov_b32_e32 v10, 0
	v_mov_b32_e32 v11, s16
	global_atomic_smin v10, v11, s[14:15]
.LBB5_83:
	s_or_b64 exec, exec, s[4:5]
	v_mov_b32_e32 v10, 1.0
.LBB5_84:
	s_or_b64 exec, exec, s[2:3]
	v_cmp_lt_u32_e32 vcc, 2, v1
	s_and_saveexec_b64 s[2:3], vcc
	s_cbranch_execz .LBB5_86
; %bb.85:
	ds_read_b32 v11, v5 offset:8
	ds_read_b32 v12, v7 offset:8
	s_waitcnt lgkmcnt(0)
	v_sub_f32_e32 v11, v11, v12
	v_div_scale_f32 v12, s[4:5], v10, v10, v11
	v_div_scale_f32 v13, vcc, v11, v10, v11
	v_rcp_f32_e32 v14, v12
	v_fma_f32 v15, -v12, v14, 1.0
	v_fmac_f32_e32 v14, v15, v14
	v_mul_f32_e32 v15, v13, v14
	v_fma_f32 v16, -v12, v15, v13
	v_fmac_f32_e32 v15, v16, v14
	v_fma_f32 v12, -v12, v15, v13
	v_div_fmas_f32 v12, v12, v14, v15
	v_div_fixup_f32 v10, v12, v10, v11
	ds_write_b32 v5, v10 offset:8
	s_waitcnt lgkmcnt(0)
	ds_read_b32 v11, v9 offset:8
	ds_read_b32 v12, v6
	s_waitcnt lgkmcnt(0)
	v_fmac_f32_e32 v12, v10, v11
	ds_write_b32 v6, v12
.LBB5_86:
	s_or_b64 exec, exec, s[2:3]
	v_cmp_eq_u32_e32 vcc, 3, v1
	s_waitcnt lgkmcnt(0)
	s_and_saveexec_b64 s[4:5], vcc
	s_cbranch_execz .LBB5_88
; %bb.87:
	v_mov_b32_e32 v12, 0
	ds_read2_b32 v[10:11], v12 offset0:154 offset1:174
	s_mov_b32 s2, 0xf800000
	s_waitcnt lgkmcnt(0)
	v_sub_f32_e32 v10, v10, v11
	v_cmp_gt_f32_e32 vcc, 0, v10
	v_cndmask_b32_e64 v10, v10, -v10, vcc
	v_mul_f32_e32 v11, 0x4f800000, v10
	v_cmp_gt_f32_e32 vcc, s2, v10
	v_cndmask_b32_e32 v10, v10, v11, vcc
	v_sqrt_f32_e32 v11, v10
	v_add_u32_e32 v13, -1, v11
	v_add_u32_e32 v14, 1, v11
	v_fma_f32 v15, -v13, v11, v10
	v_fma_f32 v16, -v14, v11, v10
	v_cmp_ge_f32_e64 s[2:3], 0, v15
	v_cndmask_b32_e64 v11, v11, v13, s[2:3]
	v_cmp_lt_f32_e64 s[2:3], 0, v16
	v_cndmask_b32_e64 v11, v11, v14, s[2:3]
	v_mul_f32_e32 v13, 0x37800000, v11
	v_cndmask_b32_e32 v11, v11, v13, vcc
	v_mov_b32_e32 v13, 0x260
	v_cmp_class_f32_e32 vcc, v10, v13
	v_cndmask_b32_e32 v10, v11, v10, vcc
	ds_write_b32 v12, v10 offset:616
.LBB5_88:
	s_or_b64 exec, exec, s[4:5]
	v_mov_b32_e32 v10, 0
	s_waitcnt lgkmcnt(0)
	ds_read_b32 v10, v10 offset:616
	s_waitcnt lgkmcnt(0)
	v_cmp_neq_f32_e32 vcc, 0, v10
	v_cndmask_b32_e32 v10, 1.0, v10, vcc
	s_nor_b64 s[2:3], vcc, s[0:1]
	s_and_saveexec_b64 s[0:1], s[2:3]
	s_cbranch_execz .LBB5_92
; %bb.89:
	v_mbcnt_lo_u32_b32 v10, exec_lo, 0
	v_mbcnt_hi_u32_b32 v10, exec_hi, v10
	v_cmp_eq_u32_e32 vcc, 0, v10
	s_and_saveexec_b64 s[2:3], vcc
	s_cbranch_execz .LBB5_91
; %bb.90:
	v_mov_b32_e32 v10, 0
	v_mov_b32_e32 v11, s16
	global_atomic_smin v10, v11, s[14:15]
.LBB5_91:
	s_or_b64 exec, exec, s[2:3]
	v_mov_b32_e32 v10, 1.0
.LBB5_92:
	s_or_b64 exec, exec, s[0:1]
	v_cmp_lt_u32_e32 vcc, 3, v1
	s_and_saveexec_b64 s[0:1], vcc
	s_cbranch_execz .LBB5_94
; %bb.93:
	ds_read_b32 v11, v5 offset:12
	ds_read_b32 v7, v7 offset:12
	s_waitcnt lgkmcnt(0)
	v_sub_f32_e32 v7, v11, v7
	v_div_scale_f32 v11, s[2:3], v10, v10, v7
	v_div_scale_f32 v12, vcc, v7, v10, v7
	v_rcp_f32_e32 v13, v11
	v_fma_f32 v14, -v11, v13, 1.0
	v_fmac_f32_e32 v13, v14, v13
	v_mul_f32_e32 v14, v12, v13
	v_fma_f32 v15, -v11, v14, v12
	v_fmac_f32_e32 v14, v15, v13
	v_fma_f32 v11, -v11, v14, v12
	v_div_fmas_f32 v11, v11, v13, v14
	v_div_fixup_f32 v7, v11, v10, v7
	ds_write_b32 v5, v7 offset:12
	s_waitcnt lgkmcnt(0)
	ds_read_b32 v5, v9 offset:12
	ds_read_b32 v9, v6
	s_waitcnt lgkmcnt(0)
	v_fmac_f32_e32 v9, v7, v5
	ds_write_b32 v6, v9
.LBB5_94:
	s_or_b64 exec, exec, s[0:1]
	s_waitcnt lgkmcnt(0)
	ds_read_b32 v4, v4
	v_cmp_eq_u32_e32 vcc, 0, v8
	s_waitcnt lgkmcnt(0)
	global_store_dword v[2:3], v4, off
	s_and_saveexec_b64 s[0:1], vcc
	s_cbranch_execz .LBB5_96
; %bb.95:
	s_add_u32 s2, s10, s6
	s_addc_u32 s3, s11, s7
	v_mov_b32_e32 v2, 0
	v_mov_b32_e32 v3, 1
	s_waitcnt vmcnt(0)
	global_store_dword v2, v3, s[2:3]
.LBB5_96:
	s_or_b64 exec, exec, s[0:1]
	s_branch .LBB5_7
.LBB5_97:
	v_or_b32_e32 v0, v0, v1
	v_cmp_eq_u32_e32 vcc, 0, v0
	s_and_saveexec_b64 s[0:1], vcc
	s_cbranch_execz .LBB5_7
; %bb.98:
	v_mbcnt_lo_u32_b32 v0, exec_lo, 0
	v_mbcnt_hi_u32_b32 v0, exec_hi, v0
	v_cmp_eq_u32_e32 vcc, 0, v0
	s_and_saveexec_b64 s[0:1], vcc
	s_cbranch_execz .LBB5_100
; %bb.99:
	s_add_i32 s2, s12, s13
	v_mov_b32_e32 v0, 0
	v_mov_b32_e32 v1, s2
	global_atomic_smin v0, v1, s[14:15]
.LBB5_100:
	s_or_b64 exec, exec, s[0:1]
	s_add_u32 s0, s10, s6
	s_addc_u32 s1, s11, s7
	v_mov_b32_e32 v0, 0
	v_mov_b32_e32 v1, 1
	s_waitcnt vmcnt(0)
	global_store_dword v0, v1, s[0:1]
	s_endpgm
	.section	.rodata,"a",@progbits
	.p2align	6, 0x0
	.amdhsa_kernel _ZN9rocsparseL26bsric0_2_8_unrolled_kernelILi16ELi32ELi4EfEEv20rocsparse_direction_iiPKiS3_PT2_S3_PiS3_S6_21rocsparse_index_base_
		.amdhsa_group_segment_fixed_size 704
		.amdhsa_private_segment_fixed_size 0
		.amdhsa_kernarg_size 76
		.amdhsa_user_sgpr_count 6
		.amdhsa_user_sgpr_private_segment_buffer 1
		.amdhsa_user_sgpr_dispatch_ptr 0
		.amdhsa_user_sgpr_queue_ptr 0
		.amdhsa_user_sgpr_kernarg_segment_ptr 1
		.amdhsa_user_sgpr_dispatch_id 0
		.amdhsa_user_sgpr_flat_scratch_init 0
		.amdhsa_user_sgpr_private_segment_size 0
		.amdhsa_uses_dynamic_stack 0
		.amdhsa_system_sgpr_private_segment_wavefront_offset 0
		.amdhsa_system_sgpr_workgroup_id_x 1
		.amdhsa_system_sgpr_workgroup_id_y 0
		.amdhsa_system_sgpr_workgroup_id_z 0
		.amdhsa_system_sgpr_workgroup_info 0
		.amdhsa_system_vgpr_workitem_id 1
		.amdhsa_next_free_vgpr 52
		.amdhsa_next_free_sgpr 40
		.amdhsa_reserve_vcc 1
		.amdhsa_reserve_flat_scratch 0
		.amdhsa_float_round_mode_32 0
		.amdhsa_float_round_mode_16_64 0
		.amdhsa_float_denorm_mode_32 3
		.amdhsa_float_denorm_mode_16_64 3
		.amdhsa_dx10_clamp 1
		.amdhsa_ieee_mode 1
		.amdhsa_fp16_overflow 0
		.amdhsa_exception_fp_ieee_invalid_op 0
		.amdhsa_exception_fp_denorm_src 0
		.amdhsa_exception_fp_ieee_div_zero 0
		.amdhsa_exception_fp_ieee_overflow 0
		.amdhsa_exception_fp_ieee_underflow 0
		.amdhsa_exception_fp_ieee_inexact 0
		.amdhsa_exception_int_div_zero 0
	.end_amdhsa_kernel
	.section	.text._ZN9rocsparseL26bsric0_2_8_unrolled_kernelILi16ELi32ELi4EfEEv20rocsparse_direction_iiPKiS3_PT2_S3_PiS3_S6_21rocsparse_index_base_,"axG",@progbits,_ZN9rocsparseL26bsric0_2_8_unrolled_kernelILi16ELi32ELi4EfEEv20rocsparse_direction_iiPKiS3_PT2_S3_PiS3_S6_21rocsparse_index_base_,comdat
.Lfunc_end5:
	.size	_ZN9rocsparseL26bsric0_2_8_unrolled_kernelILi16ELi32ELi4EfEEv20rocsparse_direction_iiPKiS3_PT2_S3_PiS3_S6_21rocsparse_index_base_, .Lfunc_end5-_ZN9rocsparseL26bsric0_2_8_unrolled_kernelILi16ELi32ELi4EfEEv20rocsparse_direction_iiPKiS3_PT2_S3_PiS3_S6_21rocsparse_index_base_
                                        ; -- End function
	.set _ZN9rocsparseL26bsric0_2_8_unrolled_kernelILi16ELi32ELi4EfEEv20rocsparse_direction_iiPKiS3_PT2_S3_PiS3_S6_21rocsparse_index_base_.num_vgpr, 52
	.set _ZN9rocsparseL26bsric0_2_8_unrolled_kernelILi16ELi32ELi4EfEEv20rocsparse_direction_iiPKiS3_PT2_S3_PiS3_S6_21rocsparse_index_base_.num_agpr, 0
	.set _ZN9rocsparseL26bsric0_2_8_unrolled_kernelILi16ELi32ELi4EfEEv20rocsparse_direction_iiPKiS3_PT2_S3_PiS3_S6_21rocsparse_index_base_.numbered_sgpr, 40
	.set _ZN9rocsparseL26bsric0_2_8_unrolled_kernelILi16ELi32ELi4EfEEv20rocsparse_direction_iiPKiS3_PT2_S3_PiS3_S6_21rocsparse_index_base_.num_named_barrier, 0
	.set _ZN9rocsparseL26bsric0_2_8_unrolled_kernelILi16ELi32ELi4EfEEv20rocsparse_direction_iiPKiS3_PT2_S3_PiS3_S6_21rocsparse_index_base_.private_seg_size, 0
	.set _ZN9rocsparseL26bsric0_2_8_unrolled_kernelILi16ELi32ELi4EfEEv20rocsparse_direction_iiPKiS3_PT2_S3_PiS3_S6_21rocsparse_index_base_.uses_vcc, 1
	.set _ZN9rocsparseL26bsric0_2_8_unrolled_kernelILi16ELi32ELi4EfEEv20rocsparse_direction_iiPKiS3_PT2_S3_PiS3_S6_21rocsparse_index_base_.uses_flat_scratch, 0
	.set _ZN9rocsparseL26bsric0_2_8_unrolled_kernelILi16ELi32ELi4EfEEv20rocsparse_direction_iiPKiS3_PT2_S3_PiS3_S6_21rocsparse_index_base_.has_dyn_sized_stack, 0
	.set _ZN9rocsparseL26bsric0_2_8_unrolled_kernelILi16ELi32ELi4EfEEv20rocsparse_direction_iiPKiS3_PT2_S3_PiS3_S6_21rocsparse_index_base_.has_recursion, 0
	.set _ZN9rocsparseL26bsric0_2_8_unrolled_kernelILi16ELi32ELi4EfEEv20rocsparse_direction_iiPKiS3_PT2_S3_PiS3_S6_21rocsparse_index_base_.has_indirect_call, 0
	.section	.AMDGPU.csdata,"",@progbits
; Kernel info:
; codeLenInByte = 5564
; TotalNumSgprs: 44
; NumVgprs: 52
; ScratchSize: 0
; MemoryBound: 0
; FloatMode: 240
; IeeeMode: 1
; LDSByteSize: 704 bytes/workgroup (compile time only)
; SGPRBlocks: 5
; VGPRBlocks: 12
; NumSGPRsForWavesPerEU: 44
; NumVGPRsForWavesPerEU: 52
; Occupancy: 4
; WaveLimiterHint : 1
; COMPUTE_PGM_RSRC2:SCRATCH_EN: 0
; COMPUTE_PGM_RSRC2:USER_SGPR: 6
; COMPUTE_PGM_RSRC2:TRAP_HANDLER: 0
; COMPUTE_PGM_RSRC2:TGID_X_EN: 1
; COMPUTE_PGM_RSRC2:TGID_Y_EN: 0
; COMPUTE_PGM_RSRC2:TGID_Z_EN: 0
; COMPUTE_PGM_RSRC2:TIDIG_COMP_CNT: 1
	.section	.text._ZN9rocsparseL26bsric0_2_8_unrolled_kernelILi25ELi32ELi5EfEEv20rocsparse_direction_iiPKiS3_PT2_S3_PiS3_S6_21rocsparse_index_base_,"axG",@progbits,_ZN9rocsparseL26bsric0_2_8_unrolled_kernelILi25ELi32ELi5EfEEv20rocsparse_direction_iiPKiS3_PT2_S3_PiS3_S6_21rocsparse_index_base_,comdat
	.globl	_ZN9rocsparseL26bsric0_2_8_unrolled_kernelILi25ELi32ELi5EfEEv20rocsparse_direction_iiPKiS3_PT2_S3_PiS3_S6_21rocsparse_index_base_ ; -- Begin function _ZN9rocsparseL26bsric0_2_8_unrolled_kernelILi25ELi32ELi5EfEEv20rocsparse_direction_iiPKiS3_PT2_S3_PiS3_S6_21rocsparse_index_base_
	.p2align	8
	.type	_ZN9rocsparseL26bsric0_2_8_unrolled_kernelILi25ELi32ELi5EfEEv20rocsparse_direction_iiPKiS3_PT2_S3_PiS3_S6_21rocsparse_index_base_,@function
_ZN9rocsparseL26bsric0_2_8_unrolled_kernelILi25ELi32ELi5EfEEv20rocsparse_direction_iiPKiS3_PT2_S3_PiS3_S6_21rocsparse_index_base_: ; @_ZN9rocsparseL26bsric0_2_8_unrolled_kernelILi25ELi32ELi5EfEEv20rocsparse_direction_iiPKiS3_PT2_S3_PiS3_S6_21rocsparse_index_base_
; %bb.0:
	s_load_dwordx8 s[8:15], s[4:5], 0x28
	s_mov_b32 s7, 0
	s_lshl_b64 s[0:1], s[6:7], 2
	s_waitcnt lgkmcnt(0)
	s_add_u32 s0, s12, s0
	s_addc_u32 s1, s13, s1
	s_load_dword s12, s[0:1], 0x0
	s_waitcnt lgkmcnt(0)
	s_ashr_i32 s13, s12, 31
	s_lshl_b64 s[6:7], s[12:13], 2
	s_add_u32 s0, s8, s6
	s_addc_u32 s1, s9, s7
	s_load_dword s30, s[0:1], 0x0
	s_load_dword s13, s[4:5], 0x48
	s_waitcnt lgkmcnt(0)
	s_cmp_lg_u32 s30, -1
	s_cbranch_scc0 .LBB6_99
; %bb.1:
	s_load_dwordx4 s[16:19], s[4:5], 0x10
	s_load_dwordx2 s[20:21], s[4:5], 0x20
	v_mad_u32_u24 v7, v1, 5, v0
	s_waitcnt lgkmcnt(0)
	s_add_u32 s0, s16, s6
	s_addc_u32 s1, s17, s7
	s_load_dword s0, s[0:1], 0x0
	s_waitcnt lgkmcnt(0)
	s_sub_i32 s31, s0, s13
	v_add_u32_e32 v2, s31, v7
	v_cmp_ge_i32_e32 vcc, s30, v2
	s_and_saveexec_b64 s[0:1], vcc
	s_cbranch_execz .LBB6_4
; %bb.2:
	v_mov_b32_e32 v3, 0x100
	v_lshl_add_u32 v5, v7, 2, v3
	v_ashrrev_i32_e32 v3, 31, v2
	v_lshlrev_b64 v[3:4], 2, v[2:3]
	v_mov_b32_e32 v6, s19
	v_add_co_u32_e32 v3, vcc, s18, v3
	v_addc_co_u32_e32 v4, vcc, v6, v4, vcc
	s_mov_b64 s[2:3], 0
.LBB6_3:                                ; =>This Inner Loop Header: Depth=1
	global_load_dword v6, v[3:4], off
	v_add_co_u32_e32 v3, vcc, 0x64, v3
	v_add_u32_e32 v2, 25, v2
	v_addc_co_u32_e32 v4, vcc, 0, v4, vcc
	v_cmp_lt_i32_e32 vcc, s30, v2
	s_or_b64 s[2:3], vcc, s[2:3]
	s_waitcnt vmcnt(0)
	v_subrev_u32_e32 v6, s13, v6
	ds_write_b32 v5, v6
	v_add_u32_e32 v5, 0x64, v5
	s_andn2_b64 exec, exec, s[2:3]
	s_cbranch_execnz .LBB6_3
.LBB6_4:
	s_or_b64 exec, exec, s[0:1]
	s_load_dword s33, s[4:5], 0x0
	v_mov_b32_e32 v2, 0x300
	v_mad_u32_u24 v9, v1, 24, v2
	v_mul_u32_u24_e32 v10, 5, v1
	v_lshl_add_u32 v8, v0, 2, v9
	v_mov_b32_e32 v11, 0
	s_cmp_ge_i32 s31, s30
	ds_write_b32 v8, v11
	s_waitcnt lgkmcnt(0)
	s_cbranch_scc1 .LBB6_51
; %bb.5:
	s_cmp_lg_u32 s33, 0
	v_mul_u32_u24_e32 v4, 24, v1
	v_lshlrev_b32_e32 v5, 2, v0
	s_movk_i32 s0, 0x180
	s_cselect_b64 s[2:3], -1, 0
	s_cmp_eq_u32 s33, 0
	v_mov_b32_e32 v3, 0x280
	v_add3_u32 v15, v4, v5, s0
	v_mov_b32_e32 v4, 0x200
	v_mad_u32_u24 v2, v0, 5, v1
	v_mad_u32_u24 v13, v1, 24, v3
	;; [unrolled: 1-line block ×4, first 2 shown]
	v_or_b32_e32 v3, v0, v1
	s_cselect_b64 vcc, -1, 0
	v_mul_u32_u24_e32 v12, 5, v0
	v_add_u32_e32 v14, v13, v5
	v_add_u32_e32 v17, v16, v5
	v_cmp_ne_u32_e64 s[0:1], 0, v3
	v_cndmask_b32_e32 v2, v2, v7, vcc
	s_mov_b32 s4, s31
	s_branch .LBB6_8
.LBB6_6:                                ;   in Loop: Header=BB6_8 Depth=1
	s_or_b64 exec, exec, s[24:25]
	v_mov_b32_e32 v6, 1.0
.LBB6_7:                                ;   in Loop: Header=BB6_8 Depth=1
	s_or_b64 exec, exec, s[22:23]
	ds_read_b128 v[19:22], v11 offset:480
	ds_read2_b64 v[23:26], v13 offset1:1
	ds_read_b32 v27, v16 offset:16
	s_add_i32 s4, s4, 1
	s_cmp_ge_i32 s4, s30
	s_waitcnt lgkmcnt(0)
	v_fmac_f32_e32 v27, v19, v23
	v_fmac_f32_e32 v27, v20, v24
	;; [unrolled: 1-line block ×4, first 2 shown]
	v_sub_f32_e32 v5, v5, v27
	v_div_scale_f32 v19, s[22:23], v6, v6, v5
	v_div_scale_f32 v20, vcc, v5, v6, v5
	s_cselect_b64 s[22:23], -1, 0
	v_rcp_f32_e32 v21, v19
	v_fma_f32 v22, -v19, v21, 1.0
	v_fmac_f32_e32 v21, v22, v21
	v_mul_f32_e32 v22, v20, v21
	v_fma_f32 v23, -v19, v22, v20
	v_fmac_f32_e32 v22, v23, v21
	v_fma_f32 v19, -v19, v22, v20
	v_div_fmas_f32 v19, v19, v21, v22
	v_div_fixup_f32 v5, v19, v6, v5
	ds_write_b32 v13, v5 offset:16
	s_waitcnt lgkmcnt(0)
	ds_read_b32 v6, v18 offset:16
	ds_read_b32 v19, v8
	s_waitcnt lgkmcnt(0)
	v_fmac_f32_e32 v19, v5, v6
	ds_write_b32 v8, v19
	s_waitcnt lgkmcnt(0)
	ds_read_b32 v5, v14
	s_waitcnt lgkmcnt(0)
	global_store_dword v[3:4], v5, off
	s_waitcnt vmcnt(0)
	buffer_wbinvl1_vol
	s_and_b64 vcc, exec, s[22:23]
	s_cbranch_vccnz .LBB6_51
.LBB6_8:                                ; =>This Loop Header: Depth=1
                                        ;     Child Loop BB6_11 Depth 2
                                        ;     Child Loop BB6_22 Depth 2
	;; [unrolled: 1-line block ×3, first 2 shown]
	s_ashr_i32 s5, s4, 31
	s_lshl_b64 s[22:23], s[4:5], 2
	s_add_u32 s22, s18, s22
	s_addc_u32 s23, s19, s23
	s_load_dword s5, s[22:23], 0x0
	s_waitcnt lgkmcnt(0)
	s_sub_i32 s24, s5, s13
	s_ashr_i32 s25, s24, 31
	s_lshl_b64 s[22:23], s[24:25], 2
	s_add_u32 s26, s8, s22
	s_addc_u32 s27, s9, s23
	s_load_dword s25, s[26:27], 0x0
	s_waitcnt lgkmcnt(0)
	s_cmp_eq_u32 s25, -1
	s_cbranch_scc1 .LBB6_50
; %bb.9:                                ;   in Loop: Header=BB6_8 Depth=1
	v_mad_u64_u32 v[3:4], s[26:27], s4, 25, v[2:3]
	v_mov_b32_e32 v5, s21
	s_add_u32 s26, s16, s22
	v_ashrrev_i32_e32 v4, 31, v3
	v_lshlrev_b64 v[3:4], 2, v[3:4]
	s_addc_u32 s27, s17, s23
	v_add_co_u32_e32 v3, vcc, s20, v3
	v_addc_co_u32_e32 v4, vcc, v5, v4, vcc
	global_load_dword v5, v[3:4], off
	s_load_dword s26, s[26:27], 0x0
	ds_read_b32 v6, v11 offset:256
	s_mov_b32 s27, 0
	s_waitcnt lgkmcnt(0)
	s_sub_i32 s26, s26, s13
	s_cmp_le_i32 s26, s25
	v_cmp_ge_i32_e32 vcc, s24, v6
	s_cselect_b64 s[28:29], -1, 0
	s_and_b64 s[28:29], s[28:29], vcc
	s_andn2_b64 vcc, exec, s[28:29]
	s_waitcnt vmcnt(0)
	ds_write_b32 v14, v5
	s_cbranch_vccnz .LBB6_21
; %bb.10:                               ;   in Loop: Header=BB6_8 Depth=1
	s_mov_b32 s34, 0
	s_mov_b32 s35, 0
.LBB6_11:                               ;   Parent Loop BB6_8 Depth=1
                                        ; =>  This Inner Loop Header: Depth=2
	s_ashr_i32 s27, s26, 31
	s_lshl_b64 s[28:29], s[26:27], 2
	s_add_u32 s28, s18, s28
	s_addc_u32 s29, s19, s29
	s_load_dword s27, s[28:29], 0x0
	s_lshl_b32 s28, s35, 2
	v_mov_b32_e32 v5, s28
	ds_read_b32 v5, v5 offset:256
	s_mov_b64 s[28:29], -1
	s_waitcnt lgkmcnt(0)
	s_sub_i32 s39, s27, s13
                                        ; implicit-def: $sgpr27
                                        ; implicit-def: $sgpr38
                                        ; implicit-def: $sgpr37
	v_cmp_ge_i32_e32 vcc, s39, v5
	v_readfirstlane_b32 s36, v5
	s_cbranch_vccz .LBB6_17
; %bb.12:                               ;   in Loop: Header=BB6_11 Depth=2
	s_cmp_le_i32 s39, s36
                                        ; implicit-def: $sgpr27
                                        ; implicit-def: $sgpr38
                                        ; implicit-def: $sgpr37
	s_cbranch_scc0 .LBB6_14
; %bb.13:                               ;   in Loop: Header=BB6_11 Depth=2
	s_add_i32 s27, s35, s31
	s_mul_i32 s27, s27, 25
	s_lshl_b32 s28, s34, 2
	v_mov_b32_e32 v6, s27
	s_mul_i32 s27, s26, 25
	v_mov_b32_e32 v5, s28
	v_mov_b32_e32 v19, s27
	ds_write2_b32 v5, v19, v6 offset1:32
	s_add_i32 s37, s35, 1
	s_add_i32 s38, s26, 1
	;; [unrolled: 1-line block ×3, first 2 shown]
	s_mov_b64 s[28:29], 0
.LBB6_14:                               ;   in Loop: Header=BB6_11 Depth=2
	s_andn2_b64 vcc, exec, s[28:29]
	s_cbranch_vccnz .LBB6_16
; %bb.15:                               ;   in Loop: Header=BB6_11 Depth=2
	s_add_i32 s37, s35, 1
	s_mov_b32 s27, s34
	s_mov_b32 s38, s26
.LBB6_16:                               ;   in Loop: Header=BB6_11 Depth=2
	s_mov_b64 s[28:29], 0
.LBB6_17:                               ;   in Loop: Header=BB6_11 Depth=2
	s_andn2_b64 vcc, exec, s[28:29]
	s_cbranch_vccnz .LBB6_19
; %bb.18:                               ;   in Loop: Header=BB6_11 Depth=2
	s_add_i32 s38, s26, 1
	s_mov_b32 s37, s35
	s_mov_b32 s27, s34
.LBB6_19:                               ;   in Loop: Header=BB6_11 Depth=2
	s_cmp_le_i32 s38, s25
	s_cselect_b64 s[28:29], -1, 0
	s_cmp_le_i32 s36, s24
	s_cselect_b64 s[34:35], -1, 0
	s_and_b64 s[28:29], s[28:29], s[34:35]
	s_and_b64 vcc, exec, s[28:29]
	s_cbranch_vccz .LBB6_21
; %bb.20:                               ;   in Loop: Header=BB6_11 Depth=2
	s_mov_b32 s34, s27
	s_mov_b32 s26, s38
	;; [unrolled: 1-line block ×3, first 2 shown]
	s_branch .LBB6_11
.LBB6_21:                               ;   in Loop: Header=BB6_8 Depth=1
	s_add_u32 s22, s10, s22
	s_addc_u32 s23, s11, s23
	s_waitcnt lgkmcnt(0)
.LBB6_22:                               ;   Parent Loop BB6_8 Depth=1
                                        ; =>  This Inner Loop Header: Depth=2
	global_load_dword v5, v11, s[22:23] glc
	s_waitcnt vmcnt(0)
	v_cmp_eq_u32_e32 vcc, 0, v5
	s_cbranch_vccnz .LBB6_22
; %bb.23:                               ;   in Loop: Header=BB6_8 Depth=1
	v_mad_u64_u32 v[5:6], s[22:23], s25, 25, v[2:3]
	v_mov_b32_e32 v19, s21
	buffer_wbinvl1_vol
	v_ashrrev_i32_e32 v6, 31, v5
	v_lshlrev_b64 v[5:6], 2, v[5:6]
	s_cmp_lt_i32 s27, 2
	v_add_co_u32_e32 v5, vcc, s20, v5
	v_addc_co_u32_e32 v6, vcc, v19, v6, vcc
	global_load_dword v5, v[5:6], off
	v_mov_b32_e32 v20, 0
	s_waitcnt vmcnt(0)
	ds_write_b32 v15, v5
	s_waitcnt lgkmcnt(0)
	s_cbranch_scc1 .LBB6_31
; %bb.24:                               ;   in Loop: Header=BB6_8 Depth=1
	s_add_i32 s24, s27, -1
	v_mov_b32_e32 v19, 0
	s_mov_b32 s25, 0
.LBB6_25:                               ;   Parent Loop BB6_8 Depth=1
                                        ; =>  This Inner Loop Header: Depth=2
	s_waitcnt lgkmcnt(0)
	v_mov_b32_e32 v5, s25
	ds_read2_b32 v[5:6], v5 offset1:32
	s_mov_b64 s[22:23], -1
	s_and_b64 vcc, exec, s[2:3]
                                        ; implicit-def: $vgpr20
	s_cbranch_vccz .LBB6_28
; %bb.26:                               ;   in Loop: Header=BB6_25 Depth=2
	s_waitcnt lgkmcnt(0)
	v_add_u32_e32 v20, v5, v0
	v_ashrrev_i32_e32 v21, 31, v20
	v_lshlrev_b64 v[21:22], 2, v[20:21]
	v_mov_b32_e32 v23, s21
	v_add_co_u32_e32 v21, vcc, s20, v21
	v_addc_co_u32_e32 v22, vcc, v23, v22, vcc
	v_add_u32_e32 v23, v6, v1
	v_ashrrev_i32_e32 v24, 31, v23
	v_lshlrev_b64 v[24:25], 2, v[23:24]
	v_mov_b32_e32 v26, s21
	v_add_co_u32_e32 v24, vcc, s20, v24
	v_addc_co_u32_e32 v25, vcc, v26, v25, vcc
	;; [unrolled: 6-line block ×7, first 2 shown]
	v_add_u32_e32 v36, 15, v23
	v_ashrrev_i32_e32 v37, 31, v36
	v_lshlrev_b64 v[36:37], 2, v[36:37]
	v_mov_b32_e32 v38, s21
	v_add_co_u32_e32 v36, vcc, s20, v36
	v_add_u32_e32 v20, 20, v20
	v_addc_co_u32_e32 v37, vcc, v38, v37, vcc
	global_load_dword v38, v[21:22], off
	global_load_dword v39, v[24:25], off
	global_load_dword v40, v[26:27], off
	global_load_dword v41, v[28:29], off
	global_load_dword v42, v[30:31], off
	global_load_dword v43, v[32:33], off
	global_load_dword v44, v[34:35], off
	global_load_dword v45, v[36:37], off
	v_ashrrev_i32_e32 v21, 31, v20
	v_lshlrev_b64 v[20:21], 2, v[20:21]
	v_mov_b32_e32 v22, s21
	v_add_co_u32_e32 v20, vcc, s20, v20
	v_addc_co_u32_e32 v21, vcc, v22, v21, vcc
	v_add_u32_e32 v22, 20, v23
	v_ashrrev_i32_e32 v23, 31, v22
	v_lshlrev_b64 v[22:23], 2, v[22:23]
	v_mov_b32_e32 v24, s21
	v_add_co_u32_e32 v22, vcc, s20, v22
	v_addc_co_u32_e32 v23, vcc, v24, v23, vcc
	global_load_dword v24, v[20:21], off
	global_load_dword v25, v[22:23], off
	s_waitcnt vmcnt(8)
	v_fma_f32 v20, v38, v39, v19
	s_waitcnt vmcnt(6)
	v_fmac_f32_e32 v20, v40, v41
	s_waitcnt vmcnt(4)
	v_fmac_f32_e32 v20, v42, v43
	;; [unrolled: 2-line block ×4, first 2 shown]
	s_cbranch_execz .LBB6_29
.LBB6_27:                               ;   in Loop: Header=BB6_25 Depth=2
	s_add_i32 s24, s24, -1
	s_add_i32 s25, s25, 4
	s_cmp_eq_u32 s24, 0
	s_cbranch_scc0 .LBB6_30
	s_branch .LBB6_31
.LBB6_28:                               ;   in Loop: Header=BB6_25 Depth=2
	s_andn2_b64 vcc, exec, s[22:23]
	s_cbranch_vccnz .LBB6_27
.LBB6_29:                               ;   in Loop: Header=BB6_25 Depth=2
	s_waitcnt lgkmcnt(0)
	v_add_u32_e32 v20, v5, v12
	v_ashrrev_i32_e32 v21, 31, v20
	v_lshlrev_b64 v[20:21], 2, v[20:21]
	v_mov_b32_e32 v5, s21
	v_add_co_u32_e32 v28, vcc, s20, v20
	v_addc_co_u32_e32 v29, vcc, v5, v21, vcc
	v_add_u32_e32 v5, v6, v10
	v_ashrrev_i32_e32 v6, 31, v5
	v_lshlrev_b64 v[5:6], 2, v[5:6]
	v_mov_b32_e32 v20, s21
	v_add_co_u32_e32 v5, vcc, s20, v5
	v_addc_co_u32_e32 v6, vcc, v20, v6, vcc
	global_load_dwordx4 v[20:23], v[5:6], off
	global_load_dwordx4 v[24:27], v[28:29], off
	global_load_dword v30, v[28:29], off offset:16
	global_load_dword v31, v[5:6], off offset:16
	s_waitcnt vmcnt(2)
	v_fmac_f32_e32 v19, v24, v20
	v_fmac_f32_e32 v19, v25, v21
	v_fmac_f32_e32 v19, v26, v22
	v_fmac_f32_e32 v19, v27, v23
	s_waitcnt vmcnt(0)
	v_fmac_f32_e32 v19, v30, v31
	v_mov_b32_e32 v20, v19
	s_add_i32 s24, s24, -1
	s_add_i32 s25, s25, 4
	s_cmp_eq_u32 s24, 0
	s_cbranch_scc1 .LBB6_31
.LBB6_30:                               ;   in Loop: Header=BB6_25 Depth=2
	v_mov_b32_e32 v19, v20
	s_branch .LBB6_25
.LBB6_31:                               ;   in Loop: Header=BB6_8 Depth=1
	ds_write_b32 v17, v20
	s_waitcnt lgkmcnt(0)
	ds_read_b32 v6, v11 offset:384
	ds_read_b32 v5, v13
	s_waitcnt lgkmcnt(1)
	v_cmp_neq_f32_e32 vcc, 0, v6
	v_cndmask_b32_e32 v6, 1.0, v6, vcc
	s_nor_b64 s[24:25], vcc, s[0:1]
	s_and_saveexec_b64 s[22:23], s[24:25]
	s_cbranch_execz .LBB6_35
; %bb.32:                               ;   in Loop: Header=BB6_8 Depth=1
	v_mbcnt_lo_u32_b32 v6, exec_lo, 0
	v_mbcnt_hi_u32_b32 v6, exec_hi, v6
	v_cmp_eq_u32_e32 vcc, 0, v6
	s_and_saveexec_b64 s[24:25], vcc
	s_cbranch_execz .LBB6_34
; %bb.33:                               ;   in Loop: Header=BB6_8 Depth=1
	v_mov_b32_e32 v6, s5
	global_atomic_smin v11, v6, s[14:15]
.LBB6_34:                               ;   in Loop: Header=BB6_8 Depth=1
	s_or_b64 exec, exec, s[24:25]
	v_mov_b32_e32 v6, 1.0
.LBB6_35:                               ;   in Loop: Header=BB6_8 Depth=1
	s_or_b64 exec, exec, s[22:23]
	ds_read_b32 v19, v16
	s_waitcnt lgkmcnt(0)
	v_sub_f32_e32 v5, v5, v19
	v_div_scale_f32 v19, s[22:23], v6, v6, v5
	v_div_scale_f32 v20, vcc, v5, v6, v5
	v_rcp_f32_e32 v21, v19
	v_fma_f32 v22, -v19, v21, 1.0
	v_fmac_f32_e32 v21, v22, v21
	v_mul_f32_e32 v22, v20, v21
	v_fma_f32 v23, -v19, v22, v20
	v_fmac_f32_e32 v22, v23, v21
	v_fma_f32 v19, -v19, v22, v20
	v_div_fmas_f32 v19, v19, v21, v22
	v_div_fixup_f32 v5, v19, v6, v5
	ds_write_b32 v13, v5
	s_waitcnt lgkmcnt(0)
	ds_read_b32 v6, v18
	ds_read_b32 v19, v8
	s_waitcnt lgkmcnt(0)
	v_fmac_f32_e32 v19, v5, v6
	ds_write_b32 v8, v19
	s_waitcnt lgkmcnt(0)
	ds_read_b32 v6, v11 offset:412
	ds_read_b32 v5, v13 offset:4
	s_waitcnt lgkmcnt(1)
	v_cmp_neq_f32_e32 vcc, 0, v6
	v_cndmask_b32_e32 v6, 1.0, v6, vcc
	s_nor_b64 s[24:25], vcc, s[0:1]
	s_and_saveexec_b64 s[22:23], s[24:25]
	s_cbranch_execz .LBB6_39
; %bb.36:                               ;   in Loop: Header=BB6_8 Depth=1
	v_mbcnt_lo_u32_b32 v6, exec_lo, 0
	v_mbcnt_hi_u32_b32 v6, exec_hi, v6
	v_cmp_eq_u32_e32 vcc, 0, v6
	s_and_saveexec_b64 s[24:25], vcc
	s_cbranch_execz .LBB6_38
; %bb.37:                               ;   in Loop: Header=BB6_8 Depth=1
	v_mov_b32_e32 v6, s5
	global_atomic_smin v11, v6, s[14:15]
.LBB6_38:                               ;   in Loop: Header=BB6_8 Depth=1
	s_or_b64 exec, exec, s[24:25]
	v_mov_b32_e32 v6, 1.0
.LBB6_39:                               ;   in Loop: Header=BB6_8 Depth=1
	s_or_b64 exec, exec, s[22:23]
	ds_read_b32 v19, v11 offset:408
	ds_read_b32 v20, v13
	ds_read_b32 v21, v16 offset:4
	s_waitcnt lgkmcnt(0)
	v_fmac_f32_e32 v21, v19, v20
	v_sub_f32_e32 v5, v5, v21
	v_div_scale_f32 v19, s[22:23], v6, v6, v5
	v_div_scale_f32 v20, vcc, v5, v6, v5
	v_rcp_f32_e32 v21, v19
	v_fma_f32 v22, -v19, v21, 1.0
	v_fmac_f32_e32 v21, v22, v21
	v_mul_f32_e32 v22, v20, v21
	v_fma_f32 v23, -v19, v22, v20
	v_fmac_f32_e32 v22, v23, v21
	v_fma_f32 v19, -v19, v22, v20
	v_div_fmas_f32 v19, v19, v21, v22
	v_div_fixup_f32 v5, v19, v6, v5
	ds_write_b32 v13, v5 offset:4
	s_waitcnt lgkmcnt(0)
	ds_read_b32 v6, v18 offset:4
	ds_read_b32 v19, v8
	s_waitcnt lgkmcnt(0)
	v_fmac_f32_e32 v19, v5, v6
	ds_write_b32 v8, v19
	s_waitcnt lgkmcnt(0)
	ds_read_b32 v6, v11 offset:440
	ds_read_b32 v5, v13 offset:8
	s_waitcnt lgkmcnt(1)
	v_cmp_neq_f32_e32 vcc, 0, v6
	v_cndmask_b32_e32 v6, 1.0, v6, vcc
	s_nor_b64 s[24:25], vcc, s[0:1]
	s_and_saveexec_b64 s[22:23], s[24:25]
	s_cbranch_execz .LBB6_43
; %bb.40:                               ;   in Loop: Header=BB6_8 Depth=1
	v_mbcnt_lo_u32_b32 v6, exec_lo, 0
	v_mbcnt_hi_u32_b32 v6, exec_hi, v6
	v_cmp_eq_u32_e32 vcc, 0, v6
	s_and_saveexec_b64 s[24:25], vcc
	s_cbranch_execz .LBB6_42
; %bb.41:                               ;   in Loop: Header=BB6_8 Depth=1
	v_mov_b32_e32 v6, s5
	global_atomic_smin v11, v6, s[14:15]
.LBB6_42:                               ;   in Loop: Header=BB6_8 Depth=1
	s_or_b64 exec, exec, s[24:25]
	v_mov_b32_e32 v6, 1.0
.LBB6_43:                               ;   in Loop: Header=BB6_8 Depth=1
	s_or_b64 exec, exec, s[22:23]
	ds_read_b64 v[19:20], v11 offset:432
	ds_read_b64 v[21:22], v13
	ds_read_b32 v23, v16 offset:8
	s_waitcnt lgkmcnt(0)
	v_fmac_f32_e32 v23, v19, v21
	v_fmac_f32_e32 v23, v20, v22
	v_sub_f32_e32 v5, v5, v23
	v_div_scale_f32 v19, s[22:23], v6, v6, v5
	v_div_scale_f32 v20, vcc, v5, v6, v5
	v_rcp_f32_e32 v21, v19
	v_fma_f32 v22, -v19, v21, 1.0
	v_fmac_f32_e32 v21, v22, v21
	v_mul_f32_e32 v22, v20, v21
	v_fma_f32 v23, -v19, v22, v20
	v_fmac_f32_e32 v22, v23, v21
	v_fma_f32 v19, -v19, v22, v20
	v_div_fmas_f32 v19, v19, v21, v22
	v_div_fixup_f32 v5, v19, v6, v5
	ds_write_b32 v13, v5 offset:8
	s_waitcnt lgkmcnt(0)
	ds_read_b32 v6, v18 offset:8
	ds_read_b32 v19, v8
	s_waitcnt lgkmcnt(0)
	v_fmac_f32_e32 v19, v5, v6
	ds_write_b32 v8, v19
	s_waitcnt lgkmcnt(0)
	ds_read_b32 v6, v11 offset:468
	ds_read_b32 v5, v13 offset:12
	s_waitcnt lgkmcnt(1)
	v_cmp_neq_f32_e32 vcc, 0, v6
	v_cndmask_b32_e32 v6, 1.0, v6, vcc
	s_nor_b64 s[24:25], vcc, s[0:1]
	s_and_saveexec_b64 s[22:23], s[24:25]
	s_cbranch_execz .LBB6_47
; %bb.44:                               ;   in Loop: Header=BB6_8 Depth=1
	v_mbcnt_lo_u32_b32 v6, exec_lo, 0
	v_mbcnt_hi_u32_b32 v6, exec_hi, v6
	v_cmp_eq_u32_e32 vcc, 0, v6
	s_and_saveexec_b64 s[24:25], vcc
	s_cbranch_execz .LBB6_46
; %bb.45:                               ;   in Loop: Header=BB6_8 Depth=1
	v_mov_b32_e32 v6, s5
	global_atomic_smin v11, v6, s[14:15]
.LBB6_46:                               ;   in Loop: Header=BB6_8 Depth=1
	s_or_b64 exec, exec, s[24:25]
	v_mov_b32_e32 v6, 1.0
.LBB6_47:                               ;   in Loop: Header=BB6_8 Depth=1
	s_or_b64 exec, exec, s[22:23]
	ds_read_b64 v[19:20], v11 offset:456
	ds_read_b64 v[21:22], v13
	ds_read_b32 v23, v16 offset:12
	ds_read_b32 v24, v13 offset:8
	;; [unrolled: 1-line block ×3, first 2 shown]
	s_waitcnt lgkmcnt(2)
	v_fmac_f32_e32 v23, v19, v21
	v_fmac_f32_e32 v23, v20, v22
	s_waitcnt lgkmcnt(0)
	v_fmac_f32_e32 v23, v25, v24
	v_sub_f32_e32 v5, v5, v23
	v_div_scale_f32 v19, s[22:23], v6, v6, v5
	v_div_scale_f32 v20, vcc, v5, v6, v5
	v_rcp_f32_e32 v21, v19
	v_fma_f32 v22, -v19, v21, 1.0
	v_fmac_f32_e32 v21, v22, v21
	v_mul_f32_e32 v22, v20, v21
	v_fma_f32 v23, -v19, v22, v20
	v_fmac_f32_e32 v22, v23, v21
	v_fma_f32 v19, -v19, v22, v20
	v_div_fmas_f32 v19, v19, v21, v22
	v_div_fixup_f32 v5, v19, v6, v5
	ds_write_b32 v13, v5 offset:12
	s_waitcnt lgkmcnt(0)
	ds_read_b32 v6, v18 offset:12
	ds_read_b32 v19, v8
	s_waitcnt lgkmcnt(0)
	v_fmac_f32_e32 v19, v5, v6
	ds_write_b32 v8, v19
	s_waitcnt lgkmcnt(0)
	ds_read_b32 v6, v11 offset:496
	ds_read_b32 v5, v13 offset:16
	s_waitcnt lgkmcnt(1)
	v_cmp_neq_f32_e32 vcc, 0, v6
	v_cndmask_b32_e32 v6, 1.0, v6, vcc
	s_nor_b64 s[24:25], vcc, s[0:1]
	s_and_saveexec_b64 s[22:23], s[24:25]
	s_cbranch_execz .LBB6_7
; %bb.48:                               ;   in Loop: Header=BB6_8 Depth=1
	v_mbcnt_lo_u32_b32 v6, exec_lo, 0
	v_mbcnt_hi_u32_b32 v6, exec_hi, v6
	v_cmp_eq_u32_e32 vcc, 0, v6
	s_and_saveexec_b64 s[24:25], vcc
	s_cbranch_execz .LBB6_6
; %bb.49:                               ;   in Loop: Header=BB6_8 Depth=1
	v_mov_b32_e32 v6, s5
	global_atomic_smin v11, v6, s[14:15]
	s_branch .LBB6_6
.LBB6_50:                               ;   in Loop: Header=BB6_8 Depth=1
                                        ; implicit-def: $sgpr4
	s_cbranch_execz .LBB6_8
.LBB6_51:
	s_cmp_lg_u32 s33, 0
	s_cselect_b64 s[4:5], -1, 0
	s_cmp_eq_u32 s33, 0
	v_mov_b32_e32 v2, v7
	s_cbranch_scc1 .LBB6_53
; %bb.52:
	v_mad_u32_u24 v2, v0, 5, v1
.LBB6_53:
	s_mul_i32 s30, s30, 25
	v_add_u32_e32 v2, s30, v2
	v_ashrrev_i32_e32 v3, 31, v2
	v_lshlrev_b64 v[2:3], 2, v[2:3]
	v_mov_b32_e32 v4, s21
	v_add_co_u32_e32 v2, vcc, s20, v2
	v_addc_co_u32_e32 v3, vcc, v4, v3, vcc
	global_load_dword v4, v[2:3], off
	v_mov_b32_e32 v2, 0x280
	v_mad_u32_u24 v3, v1, 24, v2
	v_cmp_ne_u32_e32 vcc, 0, v1
	v_lshl_add_u32 v2, v0, 2, v3
	v_cmp_eq_u32_e64 s[0:1], 0, v1
	s_waitcnt vmcnt(0)
	ds_write_b32 v2, v4
	s_waitcnt lgkmcnt(0)
	s_and_saveexec_b64 s[8:9], s[0:1]
	s_cbranch_execz .LBB6_55
; %bb.54:
	v_mov_b32_e32 v6, 0
	ds_read2_b32 v[4:5], v6 offset0:160 offset1:192
	s_mov_b32 s2, 0xf800000
	s_waitcnt lgkmcnt(0)
	v_sub_f32_e32 v4, v4, v5
	v_cmp_gt_f32_e64 s[0:1], 0, v4
	v_cndmask_b32_e64 v4, v4, -v4, s[0:1]
	v_mul_f32_e32 v5, 0x4f800000, v4
	v_cmp_gt_f32_e64 s[0:1], s2, v4
	v_cndmask_b32_e64 v4, v4, v5, s[0:1]
	v_sqrt_f32_e32 v5, v4
	v_add_u32_e32 v10, -1, v5
	v_add_u32_e32 v11, 1, v5
	v_fma_f32 v12, -v10, v5, v4
	v_fma_f32 v13, -v11, v5, v4
	v_cmp_ge_f32_e64 s[2:3], 0, v12
	v_cndmask_b32_e64 v5, v5, v10, s[2:3]
	v_cmp_lt_f32_e64 s[2:3], 0, v13
	v_cndmask_b32_e64 v5, v5, v11, s[2:3]
	v_mul_f32_e32 v10, 0x37800000, v5
	v_cndmask_b32_e64 v5, v5, v10, s[0:1]
	v_mov_b32_e32 v10, 0x260
	v_cmp_class_f32_e64 s[0:1], v4, v10
	v_cndmask_b32_e64 v4, v5, v4, s[0:1]
	ds_write_b32 v6, v4 offset:640
.LBB6_55:
	s_or_b64 exec, exec, s[8:9]
	v_mov_b32_e32 v4, 0
	s_waitcnt lgkmcnt(0)
	ds_read_b32 v5, v4 offset:640
	v_or_b32_e32 v4, v0, v1
	v_cmp_ne_u32_e64 s[0:1], 0, v4
	s_add_i32 s18, s12, s13
	s_waitcnt lgkmcnt(0)
	v_cmp_neq_f32_e64 s[2:3], 0, v5
	v_cndmask_b32_e64 v6, 1.0, v5, s[2:3]
	s_nor_b64 s[2:3], s[2:3], s[0:1]
	s_and_saveexec_b64 s[8:9], s[2:3]
	s_cbranch_execz .LBB6_59
; %bb.56:
	v_mbcnt_lo_u32_b32 v5, exec_lo, 0
	v_mbcnt_hi_u32_b32 v5, exec_hi, v5
	v_cmp_eq_u32_e64 s[2:3], 0, v5
	s_and_saveexec_b64 s[16:17], s[2:3]
	s_cbranch_execz .LBB6_58
; %bb.57:
	v_mov_b32_e32 v5, 0
	v_mov_b32_e32 v6, s18
	global_atomic_smin v5, v6, s[14:15]
.LBB6_58:
	s_or_b64 exec, exec, s[16:17]
	v_mov_b32_e32 v6, 1.0
.LBB6_59:
	s_or_b64 exec, exec, s[8:9]
	v_mov_b32_e32 v5, 0x280
	v_mad_u32_u24 v5, v0, 24, v5
	s_and_saveexec_b64 s[2:3], vcc
	s_cbranch_execz .LBB6_61
; %bb.60:
	ds_read_b32 v10, v3
	ds_read_b32 v11, v9
	s_waitcnt lgkmcnt(0)
	v_sub_f32_e32 v10, v10, v11
	v_div_scale_f32 v11, s[8:9], v6, v6, v10
	v_div_scale_f32 v12, vcc, v10, v6, v10
	v_rcp_f32_e32 v13, v11
	v_fma_f32 v14, -v11, v13, 1.0
	v_fmac_f32_e32 v13, v14, v13
	v_mul_f32_e32 v14, v12, v13
	v_fma_f32 v15, -v11, v14, v12
	v_fmac_f32_e32 v14, v15, v13
	v_fma_f32 v11, -v11, v14, v12
	v_div_fmas_f32 v11, v11, v13, v14
	v_div_fixup_f32 v6, v11, v6, v10
	ds_write_b32 v3, v6
	s_waitcnt lgkmcnt(0)
	ds_read_b32 v10, v5
	ds_read_b32 v11, v8
	s_waitcnt lgkmcnt(0)
	v_fmac_f32_e32 v11, v6, v10
	ds_write_b32 v8, v11
.LBB6_61:
	s_or_b64 exec, exec, s[2:3]
	v_cmp_eq_u32_e32 vcc, 1, v1
	s_waitcnt lgkmcnt(0)
	s_and_saveexec_b64 s[8:9], vcc
	s_cbranch_execz .LBB6_63
; %bb.62:
	v_mov_b32_e32 v6, 0
	ds_read2_b32 v[10:11], v6 offset0:167 offset1:199
	s_mov_b32 s2, 0xf800000
	s_waitcnt lgkmcnt(0)
	v_sub_f32_e32 v10, v10, v11
	v_cmp_gt_f32_e32 vcc, 0, v10
	v_cndmask_b32_e64 v10, v10, -v10, vcc
	v_mul_f32_e32 v11, 0x4f800000, v10
	v_cmp_gt_f32_e32 vcc, s2, v10
	v_cndmask_b32_e32 v10, v10, v11, vcc
	v_sqrt_f32_e32 v11, v10
	v_add_u32_e32 v12, -1, v11
	v_add_u32_e32 v13, 1, v11
	v_fma_f32 v14, -v12, v11, v10
	v_fma_f32 v15, -v13, v11, v10
	v_cmp_ge_f32_e64 s[2:3], 0, v14
	v_cndmask_b32_e64 v11, v11, v12, s[2:3]
	v_cmp_lt_f32_e64 s[2:3], 0, v15
	v_cndmask_b32_e64 v11, v11, v13, s[2:3]
	v_mul_f32_e32 v12, 0x37800000, v11
	v_cndmask_b32_e32 v11, v11, v12, vcc
	v_mov_b32_e32 v12, 0x260
	v_cmp_class_f32_e32 vcc, v10, v12
	v_cndmask_b32_e32 v10, v11, v10, vcc
	ds_write_b32 v6, v10 offset:668
.LBB6_63:
	s_or_b64 exec, exec, s[8:9]
	v_mov_b32_e32 v6, 0
	s_waitcnt lgkmcnt(0)
	ds_read_b32 v6, v6 offset:668
	s_waitcnt lgkmcnt(0)
	v_cmp_neq_f32_e32 vcc, 0, v6
	v_cndmask_b32_e32 v6, 1.0, v6, vcc
	s_nor_b64 s[8:9], vcc, s[0:1]
	s_and_saveexec_b64 s[2:3], s[8:9]
	s_cbranch_execz .LBB6_67
; %bb.64:
	v_mbcnt_lo_u32_b32 v6, exec_lo, 0
	v_mbcnt_hi_u32_b32 v6, exec_hi, v6
	v_cmp_eq_u32_e32 vcc, 0, v6
	s_and_saveexec_b64 s[8:9], vcc
	s_cbranch_execz .LBB6_66
; %bb.65:
	v_mov_b32_e32 v6, 0
	v_mov_b32_e32 v10, s18
	global_atomic_smin v6, v10, s[14:15]
.LBB6_66:
	s_or_b64 exec, exec, s[8:9]
	v_mov_b32_e32 v6, 1.0
.LBB6_67:
	s_or_b64 exec, exec, s[2:3]
	v_cmp_lt_u32_e32 vcc, 1, v1
	s_and_saveexec_b64 s[2:3], vcc
	s_cbranch_execz .LBB6_69
; %bb.68:
	ds_read_b32 v10, v3 offset:4
	ds_read_b32 v11, v9 offset:4
	s_waitcnt lgkmcnt(0)
	v_sub_f32_e32 v10, v10, v11
	v_div_scale_f32 v11, s[8:9], v6, v6, v10
	v_div_scale_f32 v12, vcc, v10, v6, v10
	v_rcp_f32_e32 v13, v11
	v_fma_f32 v14, -v11, v13, 1.0
	v_fmac_f32_e32 v13, v14, v13
	v_mul_f32_e32 v14, v12, v13
	v_fma_f32 v15, -v11, v14, v12
	v_fmac_f32_e32 v14, v15, v13
	v_fma_f32 v11, -v11, v14, v12
	v_div_fmas_f32 v11, v11, v13, v14
	v_div_fixup_f32 v6, v11, v6, v10
	ds_write_b32 v3, v6 offset:4
	s_waitcnt lgkmcnt(0)
	ds_read_b32 v10, v5 offset:4
	ds_read_b32 v11, v8
	s_waitcnt lgkmcnt(0)
	v_fmac_f32_e32 v11, v6, v10
	ds_write_b32 v8, v11
.LBB6_69:
	s_or_b64 exec, exec, s[2:3]
	v_cmp_eq_u32_e32 vcc, 2, v1
	s_waitcnt lgkmcnt(0)
	s_and_saveexec_b64 s[8:9], vcc
	s_cbranch_execz .LBB6_71
; %bb.70:
	v_mov_b32_e32 v6, 0
	ds_read2_b32 v[10:11], v6 offset0:174 offset1:206
	s_mov_b32 s2, 0xf800000
	s_waitcnt lgkmcnt(0)
	v_sub_f32_e32 v10, v10, v11
	v_cmp_gt_f32_e32 vcc, 0, v10
	v_cndmask_b32_e64 v10, v10, -v10, vcc
	v_mul_f32_e32 v11, 0x4f800000, v10
	v_cmp_gt_f32_e32 vcc, s2, v10
	v_cndmask_b32_e32 v10, v10, v11, vcc
	v_sqrt_f32_e32 v11, v10
	v_add_u32_e32 v12, -1, v11
	v_add_u32_e32 v13, 1, v11
	v_fma_f32 v14, -v12, v11, v10
	v_fma_f32 v15, -v13, v11, v10
	v_cmp_ge_f32_e64 s[2:3], 0, v14
	v_cndmask_b32_e64 v11, v11, v12, s[2:3]
	v_cmp_lt_f32_e64 s[2:3], 0, v15
	v_cndmask_b32_e64 v11, v11, v13, s[2:3]
	v_mul_f32_e32 v12, 0x37800000, v11
	v_cndmask_b32_e32 v11, v11, v12, vcc
	v_mov_b32_e32 v12, 0x260
	v_cmp_class_f32_e32 vcc, v10, v12
	v_cndmask_b32_e32 v10, v11, v10, vcc
	ds_write_b32 v6, v10 offset:696
.LBB6_71:
	s_or_b64 exec, exec, s[8:9]
	v_mov_b32_e32 v6, 0
	s_waitcnt lgkmcnt(0)
	ds_read_b32 v6, v6 offset:696
	s_waitcnt lgkmcnt(0)
	v_cmp_neq_f32_e32 vcc, 0, v6
	v_cndmask_b32_e32 v6, 1.0, v6, vcc
	s_nor_b64 s[8:9], vcc, s[0:1]
	s_and_saveexec_b64 s[2:3], s[8:9]
	s_cbranch_execz .LBB6_75
; %bb.72:
	v_mbcnt_lo_u32_b32 v6, exec_lo, 0
	v_mbcnt_hi_u32_b32 v6, exec_hi, v6
	v_cmp_eq_u32_e32 vcc, 0, v6
	s_and_saveexec_b64 s[8:9], vcc
	s_cbranch_execz .LBB6_74
; %bb.73:
	v_mov_b32_e32 v6, 0
	v_mov_b32_e32 v10, s18
	global_atomic_smin v6, v10, s[14:15]
.LBB6_74:
	s_or_b64 exec, exec, s[8:9]
	v_mov_b32_e32 v6, 1.0
.LBB6_75:
	s_or_b64 exec, exec, s[2:3]
	v_cmp_lt_u32_e32 vcc, 2, v1
	s_and_saveexec_b64 s[2:3], vcc
	s_cbranch_execz .LBB6_77
; %bb.76:
	ds_read_b32 v10, v3 offset:8
	ds_read_b32 v11, v9 offset:8
	s_waitcnt lgkmcnt(0)
	v_sub_f32_e32 v10, v10, v11
	v_div_scale_f32 v11, s[8:9], v6, v6, v10
	v_div_scale_f32 v12, vcc, v10, v6, v10
	v_rcp_f32_e32 v13, v11
	v_fma_f32 v14, -v11, v13, 1.0
	v_fmac_f32_e32 v13, v14, v13
	v_mul_f32_e32 v14, v12, v13
	v_fma_f32 v15, -v11, v14, v12
	v_fmac_f32_e32 v14, v15, v13
	v_fma_f32 v11, -v11, v14, v12
	v_div_fmas_f32 v11, v11, v13, v14
	v_div_fixup_f32 v6, v11, v6, v10
	ds_write_b32 v3, v6 offset:8
	s_waitcnt lgkmcnt(0)
	ds_read_b32 v10, v5 offset:8
	ds_read_b32 v11, v8
	s_waitcnt lgkmcnt(0)
	v_fmac_f32_e32 v11, v6, v10
	ds_write_b32 v8, v11
.LBB6_77:
	s_or_b64 exec, exec, s[2:3]
	v_cmp_eq_u32_e32 vcc, 3, v1
	s_waitcnt lgkmcnt(0)
	s_and_saveexec_b64 s[8:9], vcc
	s_cbranch_execz .LBB6_79
; %bb.78:
	v_mov_b32_e32 v6, 0
	ds_read2_b32 v[10:11], v6 offset0:181 offset1:213
	s_mov_b32 s2, 0xf800000
	s_waitcnt lgkmcnt(0)
	v_sub_f32_e32 v10, v10, v11
	v_cmp_gt_f32_e32 vcc, 0, v10
	v_cndmask_b32_e64 v10, v10, -v10, vcc
	v_mul_f32_e32 v11, 0x4f800000, v10
	v_cmp_gt_f32_e32 vcc, s2, v10
	v_cndmask_b32_e32 v10, v10, v11, vcc
	v_sqrt_f32_e32 v11, v10
	v_add_u32_e32 v12, -1, v11
	v_add_u32_e32 v13, 1, v11
	v_fma_f32 v14, -v12, v11, v10
	v_fma_f32 v15, -v13, v11, v10
	v_cmp_ge_f32_e64 s[2:3], 0, v14
	v_cndmask_b32_e64 v11, v11, v12, s[2:3]
	v_cmp_lt_f32_e64 s[2:3], 0, v15
	v_cndmask_b32_e64 v11, v11, v13, s[2:3]
	v_mul_f32_e32 v12, 0x37800000, v11
	v_cndmask_b32_e32 v11, v11, v12, vcc
	v_mov_b32_e32 v12, 0x260
	v_cmp_class_f32_e32 vcc, v10, v12
	v_cndmask_b32_e32 v10, v11, v10, vcc
	ds_write_b32 v6, v10 offset:724
.LBB6_79:
	s_or_b64 exec, exec, s[8:9]
	v_mov_b32_e32 v6, 0
	s_waitcnt lgkmcnt(0)
	ds_read_b32 v6, v6 offset:724
	s_waitcnt lgkmcnt(0)
	v_cmp_neq_f32_e32 vcc, 0, v6
	v_cndmask_b32_e32 v6, 1.0, v6, vcc
	s_nor_b64 s[8:9], vcc, s[0:1]
	s_and_saveexec_b64 s[2:3], s[8:9]
	s_cbranch_execz .LBB6_83
; %bb.80:
	v_mbcnt_lo_u32_b32 v6, exec_lo, 0
	v_mbcnt_hi_u32_b32 v6, exec_hi, v6
	v_cmp_eq_u32_e32 vcc, 0, v6
	s_and_saveexec_b64 s[8:9], vcc
	s_cbranch_execz .LBB6_82
; %bb.81:
	v_mov_b32_e32 v6, 0
	v_mov_b32_e32 v10, s18
	global_atomic_smin v6, v10, s[14:15]
.LBB6_82:
	s_or_b64 exec, exec, s[8:9]
	v_mov_b32_e32 v6, 1.0
.LBB6_83:
	s_or_b64 exec, exec, s[2:3]
	v_cmp_lt_u32_e32 vcc, 3, v1
	s_and_saveexec_b64 s[2:3], vcc
	s_cbranch_execz .LBB6_85
; %bb.84:
	ds_read_b32 v10, v3 offset:12
	ds_read_b32 v11, v9 offset:12
	s_waitcnt lgkmcnt(0)
	v_sub_f32_e32 v10, v10, v11
	v_div_scale_f32 v11, s[8:9], v6, v6, v10
	v_div_scale_f32 v12, vcc, v10, v6, v10
	v_rcp_f32_e32 v13, v11
	v_fma_f32 v14, -v11, v13, 1.0
	v_fmac_f32_e32 v13, v14, v13
	v_mul_f32_e32 v14, v12, v13
	v_fma_f32 v15, -v11, v14, v12
	v_fmac_f32_e32 v14, v15, v13
	v_fma_f32 v11, -v11, v14, v12
	v_div_fmas_f32 v11, v11, v13, v14
	v_div_fixup_f32 v6, v11, v6, v10
	ds_write_b32 v3, v6 offset:12
	s_waitcnt lgkmcnt(0)
	ds_read_b32 v10, v5 offset:12
	ds_read_b32 v11, v8
	s_waitcnt lgkmcnt(0)
	v_fmac_f32_e32 v11, v6, v10
	ds_write_b32 v8, v11
.LBB6_85:
	s_or_b64 exec, exec, s[2:3]
	v_cmp_eq_u32_e32 vcc, 4, v1
	s_waitcnt lgkmcnt(0)
	s_and_saveexec_b64 s[8:9], vcc
	s_cbranch_execz .LBB6_87
; %bb.86:
	v_mov_b32_e32 v6, 0
	ds_read2_b32 v[10:11], v6 offset0:188 offset1:220
	s_mov_b32 s2, 0xf800000
	s_waitcnt lgkmcnt(0)
	v_sub_f32_e32 v10, v10, v11
	v_cmp_gt_f32_e32 vcc, 0, v10
	v_cndmask_b32_e64 v10, v10, -v10, vcc
	v_mul_f32_e32 v11, 0x4f800000, v10
	v_cmp_gt_f32_e32 vcc, s2, v10
	v_cndmask_b32_e32 v10, v10, v11, vcc
	v_sqrt_f32_e32 v11, v10
	v_add_u32_e32 v12, -1, v11
	v_add_u32_e32 v13, 1, v11
	v_fma_f32 v14, -v12, v11, v10
	v_fma_f32 v15, -v13, v11, v10
	v_cmp_ge_f32_e64 s[2:3], 0, v14
	v_cndmask_b32_e64 v11, v11, v12, s[2:3]
	v_cmp_lt_f32_e64 s[2:3], 0, v15
	v_cndmask_b32_e64 v11, v11, v13, s[2:3]
	v_mul_f32_e32 v12, 0x37800000, v11
	v_cndmask_b32_e32 v11, v11, v12, vcc
	v_mov_b32_e32 v12, 0x260
	v_cmp_class_f32_e32 vcc, v10, v12
	v_cndmask_b32_e32 v10, v11, v10, vcc
	ds_write_b32 v6, v10 offset:752
.LBB6_87:
	s_or_b64 exec, exec, s[8:9]
	v_mov_b32_e32 v6, 0
	s_waitcnt lgkmcnt(0)
	ds_read_b32 v6, v6 offset:752
	s_waitcnt lgkmcnt(0)
	v_cmp_neq_f32_e32 vcc, 0, v6
	v_cndmask_b32_e32 v6, 1.0, v6, vcc
	s_nor_b64 s[2:3], vcc, s[0:1]
	s_and_saveexec_b64 s[0:1], s[2:3]
	s_cbranch_execz .LBB6_91
; %bb.88:
	v_mbcnt_lo_u32_b32 v6, exec_lo, 0
	v_mbcnt_hi_u32_b32 v6, exec_hi, v6
	v_cmp_eq_u32_e32 vcc, 0, v6
	s_and_saveexec_b64 s[2:3], vcc
	s_cbranch_execz .LBB6_90
; %bb.89:
	v_mov_b32_e32 v6, 0
	v_mov_b32_e32 v10, s18
	global_atomic_smin v6, v10, s[14:15]
.LBB6_90:
	s_or_b64 exec, exec, s[2:3]
	v_mov_b32_e32 v6, 1.0
.LBB6_91:
	s_or_b64 exec, exec, s[0:1]
	v_cmp_lt_u32_e32 vcc, 4, v1
	s_and_saveexec_b64 s[0:1], vcc
	s_cbranch_execz .LBB6_93
; %bb.92:
	ds_read_b32 v10, v3 offset:16
	ds_read_b32 v9, v9 offset:16
	s_waitcnt lgkmcnt(0)
	v_sub_f32_e32 v9, v10, v9
	v_div_scale_f32 v10, s[2:3], v6, v6, v9
	v_div_scale_f32 v11, vcc, v9, v6, v9
	v_rcp_f32_e32 v12, v10
	v_fma_f32 v13, -v10, v12, 1.0
	v_fmac_f32_e32 v12, v13, v12
	v_mul_f32_e32 v13, v11, v12
	v_fma_f32 v14, -v10, v13, v11
	v_fmac_f32_e32 v13, v14, v12
	v_fma_f32 v10, -v10, v13, v11
	v_div_fmas_f32 v10, v10, v12, v13
	v_div_fixup_f32 v6, v10, v6, v9
	ds_write_b32 v3, v6 offset:16
	s_waitcnt lgkmcnt(0)
	ds_read_b32 v3, v5 offset:16
	ds_read_b32 v5, v8
	s_waitcnt lgkmcnt(0)
	v_fmac_f32_e32 v5, v6, v3
	ds_write_b32 v8, v5
.LBB6_93:
	s_or_b64 exec, exec, s[0:1]
	s_waitcnt lgkmcnt(0)
	ds_read_b32 v2, v2
	s_andn2_b64 vcc, exec, s[4:5]
	s_cbranch_vccnz .LBB6_95
; %bb.94:
	v_mad_u32_u24 v7, v0, 5, v1
.LBB6_95:
	v_add_u32_e32 v5, s30, v7
	v_ashrrev_i32_e32 v6, 31, v5
	v_lshlrev_b64 v[5:6], 2, v[5:6]
	v_mov_b32_e32 v3, s21
	v_add_co_u32_e32 v5, vcc, s20, v5
	v_addc_co_u32_e32 v6, vcc, v3, v6, vcc
	v_cmp_eq_u32_e32 vcc, 0, v4
	s_waitcnt lgkmcnt(0)
	global_store_dword v[5:6], v2, off
	s_and_saveexec_b64 s[0:1], vcc
	s_cbranch_execz .LBB6_97
; %bb.96:
	s_add_u32 s2, s10, s6
	s_addc_u32 s3, s11, s7
	v_mov_b32_e32 v2, 0
	v_mov_b32_e32 v3, 1
	s_waitcnt vmcnt(0)
	global_store_dword v2, v3, s[2:3]
.LBB6_97:
	s_or_b64 exec, exec, s[0:1]
.LBB6_98:
	s_endpgm
.LBB6_99:
	s_cbranch_execz .LBB6_98
; %bb.100:
	v_or_b32_e32 v0, v0, v1
	v_cmp_eq_u32_e32 vcc, 0, v0
	s_and_saveexec_b64 s[0:1], vcc
	s_cbranch_execz .LBB6_98
; %bb.101:
	v_mbcnt_lo_u32_b32 v0, exec_lo, 0
	v_mbcnt_hi_u32_b32 v0, exec_hi, v0
	v_cmp_eq_u32_e32 vcc, 0, v0
	s_and_saveexec_b64 s[0:1], vcc
	s_cbranch_execz .LBB6_103
; %bb.102:
	s_add_i32 s2, s12, s13
	v_mov_b32_e32 v0, 0
	v_mov_b32_e32 v1, s2
	global_atomic_smin v0, v1, s[14:15]
.LBB6_103:
	s_or_b64 exec, exec, s[0:1]
	s_add_u32 s0, s10, s6
	s_addc_u32 s1, s11, s7
	v_mov_b32_e32 v0, 0
	v_mov_b32_e32 v1, 1
	s_waitcnt vmcnt(0)
	global_store_dword v0, v1, s[0:1]
	s_endpgm
	.section	.rodata,"a",@progbits
	.p2align	6, 0x0
	.amdhsa_kernel _ZN9rocsparseL26bsric0_2_8_unrolled_kernelILi25ELi32ELi5EfEEv20rocsparse_direction_iiPKiS3_PT2_S3_PiS3_S6_21rocsparse_index_base_
		.amdhsa_group_segment_fixed_size 888
		.amdhsa_private_segment_fixed_size 0
		.amdhsa_kernarg_size 76
		.amdhsa_user_sgpr_count 6
		.amdhsa_user_sgpr_private_segment_buffer 1
		.amdhsa_user_sgpr_dispatch_ptr 0
		.amdhsa_user_sgpr_queue_ptr 0
		.amdhsa_user_sgpr_kernarg_segment_ptr 1
		.amdhsa_user_sgpr_dispatch_id 0
		.amdhsa_user_sgpr_flat_scratch_init 0
		.amdhsa_user_sgpr_private_segment_size 0
		.amdhsa_uses_dynamic_stack 0
		.amdhsa_system_sgpr_private_segment_wavefront_offset 0
		.amdhsa_system_sgpr_workgroup_id_x 1
		.amdhsa_system_sgpr_workgroup_id_y 0
		.amdhsa_system_sgpr_workgroup_id_z 0
		.amdhsa_system_sgpr_workgroup_info 0
		.amdhsa_system_vgpr_workitem_id 1
		.amdhsa_next_free_vgpr 46
		.amdhsa_next_free_sgpr 40
		.amdhsa_reserve_vcc 1
		.amdhsa_reserve_flat_scratch 0
		.amdhsa_float_round_mode_32 0
		.amdhsa_float_round_mode_16_64 0
		.amdhsa_float_denorm_mode_32 3
		.amdhsa_float_denorm_mode_16_64 3
		.amdhsa_dx10_clamp 1
		.amdhsa_ieee_mode 1
		.amdhsa_fp16_overflow 0
		.amdhsa_exception_fp_ieee_invalid_op 0
		.amdhsa_exception_fp_denorm_src 0
		.amdhsa_exception_fp_ieee_div_zero 0
		.amdhsa_exception_fp_ieee_overflow 0
		.amdhsa_exception_fp_ieee_underflow 0
		.amdhsa_exception_fp_ieee_inexact 0
		.amdhsa_exception_int_div_zero 0
	.end_amdhsa_kernel
	.section	.text._ZN9rocsparseL26bsric0_2_8_unrolled_kernelILi25ELi32ELi5EfEEv20rocsparse_direction_iiPKiS3_PT2_S3_PiS3_S6_21rocsparse_index_base_,"axG",@progbits,_ZN9rocsparseL26bsric0_2_8_unrolled_kernelILi25ELi32ELi5EfEEv20rocsparse_direction_iiPKiS3_PT2_S3_PiS3_S6_21rocsparse_index_base_,comdat
.Lfunc_end6:
	.size	_ZN9rocsparseL26bsric0_2_8_unrolled_kernelILi25ELi32ELi5EfEEv20rocsparse_direction_iiPKiS3_PT2_S3_PiS3_S6_21rocsparse_index_base_, .Lfunc_end6-_ZN9rocsparseL26bsric0_2_8_unrolled_kernelILi25ELi32ELi5EfEEv20rocsparse_direction_iiPKiS3_PT2_S3_PiS3_S6_21rocsparse_index_base_
                                        ; -- End function
	.set _ZN9rocsparseL26bsric0_2_8_unrolled_kernelILi25ELi32ELi5EfEEv20rocsparse_direction_iiPKiS3_PT2_S3_PiS3_S6_21rocsparse_index_base_.num_vgpr, 46
	.set _ZN9rocsparseL26bsric0_2_8_unrolled_kernelILi25ELi32ELi5EfEEv20rocsparse_direction_iiPKiS3_PT2_S3_PiS3_S6_21rocsparse_index_base_.num_agpr, 0
	.set _ZN9rocsparseL26bsric0_2_8_unrolled_kernelILi25ELi32ELi5EfEEv20rocsparse_direction_iiPKiS3_PT2_S3_PiS3_S6_21rocsparse_index_base_.numbered_sgpr, 40
	.set _ZN9rocsparseL26bsric0_2_8_unrolled_kernelILi25ELi32ELi5EfEEv20rocsparse_direction_iiPKiS3_PT2_S3_PiS3_S6_21rocsparse_index_base_.num_named_barrier, 0
	.set _ZN9rocsparseL26bsric0_2_8_unrolled_kernelILi25ELi32ELi5EfEEv20rocsparse_direction_iiPKiS3_PT2_S3_PiS3_S6_21rocsparse_index_base_.private_seg_size, 0
	.set _ZN9rocsparseL26bsric0_2_8_unrolled_kernelILi25ELi32ELi5EfEEv20rocsparse_direction_iiPKiS3_PT2_S3_PiS3_S6_21rocsparse_index_base_.uses_vcc, 1
	.set _ZN9rocsparseL26bsric0_2_8_unrolled_kernelILi25ELi32ELi5EfEEv20rocsparse_direction_iiPKiS3_PT2_S3_PiS3_S6_21rocsparse_index_base_.uses_flat_scratch, 0
	.set _ZN9rocsparseL26bsric0_2_8_unrolled_kernelILi25ELi32ELi5EfEEv20rocsparse_direction_iiPKiS3_PT2_S3_PiS3_S6_21rocsparse_index_base_.has_dyn_sized_stack, 0
	.set _ZN9rocsparseL26bsric0_2_8_unrolled_kernelILi25ELi32ELi5EfEEv20rocsparse_direction_iiPKiS3_PT2_S3_PiS3_S6_21rocsparse_index_base_.has_recursion, 0
	.set _ZN9rocsparseL26bsric0_2_8_unrolled_kernelILi25ELi32ELi5EfEEv20rocsparse_direction_iiPKiS3_PT2_S3_PiS3_S6_21rocsparse_index_base_.has_indirect_call, 0
	.section	.AMDGPU.csdata,"",@progbits
; Kernel info:
; codeLenInByte = 5432
; TotalNumSgprs: 44
; NumVgprs: 46
; ScratchSize: 0
; MemoryBound: 0
; FloatMode: 240
; IeeeMode: 1
; LDSByteSize: 888 bytes/workgroup (compile time only)
; SGPRBlocks: 5
; VGPRBlocks: 11
; NumSGPRsForWavesPerEU: 44
; NumVGPRsForWavesPerEU: 46
; Occupancy: 5
; WaveLimiterHint : 1
; COMPUTE_PGM_RSRC2:SCRATCH_EN: 0
; COMPUTE_PGM_RSRC2:USER_SGPR: 6
; COMPUTE_PGM_RSRC2:TRAP_HANDLER: 0
; COMPUTE_PGM_RSRC2:TGID_X_EN: 1
; COMPUTE_PGM_RSRC2:TGID_Y_EN: 0
; COMPUTE_PGM_RSRC2:TGID_Z_EN: 0
; COMPUTE_PGM_RSRC2:TIDIG_COMP_CNT: 1
	.section	.text._ZN9rocsparseL26bsric0_2_8_unrolled_kernelILi36ELi32ELi6EfEEv20rocsparse_direction_iiPKiS3_PT2_S3_PiS3_S6_21rocsparse_index_base_,"axG",@progbits,_ZN9rocsparseL26bsric0_2_8_unrolled_kernelILi36ELi32ELi6EfEEv20rocsparse_direction_iiPKiS3_PT2_S3_PiS3_S6_21rocsparse_index_base_,comdat
	.globl	_ZN9rocsparseL26bsric0_2_8_unrolled_kernelILi36ELi32ELi6EfEEv20rocsparse_direction_iiPKiS3_PT2_S3_PiS3_S6_21rocsparse_index_base_ ; -- Begin function _ZN9rocsparseL26bsric0_2_8_unrolled_kernelILi36ELi32ELi6EfEEv20rocsparse_direction_iiPKiS3_PT2_S3_PiS3_S6_21rocsparse_index_base_
	.p2align	8
	.type	_ZN9rocsparseL26bsric0_2_8_unrolled_kernelILi36ELi32ELi6EfEEv20rocsparse_direction_iiPKiS3_PT2_S3_PiS3_S6_21rocsparse_index_base_,@function
_ZN9rocsparseL26bsric0_2_8_unrolled_kernelILi36ELi32ELi6EfEEv20rocsparse_direction_iiPKiS3_PT2_S3_PiS3_S6_21rocsparse_index_base_: ; @_ZN9rocsparseL26bsric0_2_8_unrolled_kernelILi36ELi32ELi6EfEEv20rocsparse_direction_iiPKiS3_PT2_S3_PiS3_S6_21rocsparse_index_base_
; %bb.0:
	s_load_dwordx8 s[8:15], s[4:5], 0x28
	s_mov_b32 s7, 0
	s_lshl_b64 s[0:1], s[6:7], 2
	s_waitcnt lgkmcnt(0)
	s_add_u32 s0, s12, s0
	s_addc_u32 s1, s13, s1
	s_load_dword s12, s[0:1], 0x0
	s_waitcnt lgkmcnt(0)
	s_ashr_i32 s13, s12, 31
	s_lshl_b64 s[6:7], s[12:13], 2
	s_add_u32 s0, s8, s6
	s_addc_u32 s1, s9, s7
	s_load_dword s30, s[0:1], 0x0
	s_load_dword s13, s[4:5], 0x48
	s_waitcnt lgkmcnt(0)
	s_cmp_lg_u32 s30, -1
	s_cbranch_scc0 .LBB7_111
; %bb.1:
	s_load_dwordx4 s[16:19], s[4:5], 0x10
	s_load_dwordx2 s[20:21], s[4:5], 0x20
	v_mad_u32_u24 v7, v1, 6, v0
	s_waitcnt lgkmcnt(0)
	s_add_u32 s0, s16, s6
	s_addc_u32 s1, s17, s7
	s_load_dword s0, s[0:1], 0x0
	s_waitcnt lgkmcnt(0)
	s_sub_i32 s31, s0, s13
	v_add_u32_e32 v2, s31, v7
	v_cmp_ge_i32_e32 vcc, s30, v2
	s_and_saveexec_b64 s[0:1], vcc
	s_cbranch_execz .LBB7_4
; %bb.2:
	v_mov_b32_e32 v3, 0x3c0
	v_lshl_add_u32 v5, v7, 2, v3
	v_ashrrev_i32_e32 v3, 31, v2
	v_lshlrev_b64 v[3:4], 2, v[2:3]
	v_mov_b32_e32 v6, s19
	v_add_co_u32_e32 v3, vcc, s18, v3
	v_addc_co_u32_e32 v4, vcc, v6, v4, vcc
	s_mov_b64 s[2:3], 0
.LBB7_3:                                ; =>This Inner Loop Header: Depth=1
	global_load_dword v6, v[3:4], off
	v_add_co_u32_e32 v3, vcc, 0x90, v3
	v_add_u32_e32 v2, 36, v2
	v_addc_co_u32_e32 v4, vcc, 0, v4, vcc
	v_cmp_lt_i32_e32 vcc, s30, v2
	s_or_b64 s[2:3], vcc, s[2:3]
	s_waitcnt vmcnt(0)
	v_subrev_u32_e32 v6, s13, v6
	ds_write_b32 v5, v6
	v_add_u32_e32 v5, 0x90, v5
	s_andn2_b64 exec, exec, s[2:3]
	s_cbranch_execnz .LBB7_3
.LBB7_4:
	s_or_b64 exec, exec, s[0:1]
	s_load_dword s33, s[4:5], 0x0
	v_mov_b32_e32 v2, 0x210
	v_mad_u32_u24 v9, v1, 28, v2
	v_mul_u32_u24_e32 v10, 6, v1
	v_lshl_add_u32 v8, v0, 2, v9
	v_mov_b32_e32 v11, 0
	s_cmp_ge_i32 s31, s30
	ds_write_b32 v8, v11
	s_waitcnt lgkmcnt(0)
	s_cbranch_scc1 .LBB7_55
; %bb.5:
	s_cmp_lg_u32 s33, 0
	s_cselect_b64 s[2:3], -1, 0
	s_cmp_eq_u32 s33, 0
	v_mov_b32_e32 v3, 0x160
	v_mov_b32_e32 v5, 0xb0
	v_mad_u32_u24 v2, v0, 6, v1
	v_mad_u32_u24 v13, v1, 28, v3
	v_lshlrev_b32_e32 v4, 2, v0
	v_mad_u32_u24 v16, v1, 28, v5
	v_mad_u32_u24 v18, v0, 28, v3
	v_or_b32_e32 v3, v0, v1
	s_cselect_b64 vcc, -1, 0
	v_mul_u32_u24_e32 v12, 6, v0
	v_add_u32_e32 v14, v13, v4
	v_mad_u32_u24 v15, v1, 28, v4
	v_add_u32_e32 v17, v16, v4
	v_cmp_ne_u32_e64 s[0:1], 0, v3
	v_cndmask_b32_e32 v2, v2, v7, vcc
	s_mov_b32 s4, s31
	s_branch .LBB7_8
.LBB7_6:                                ;   in Loop: Header=BB7_8 Depth=1
	s_or_b64 exec, exec, s[24:25]
	v_mov_b32_e32 v6, 1.0
.LBB7_7:                                ;   in Loop: Header=BB7_8 Depth=1
	s_or_b64 exec, exec, s[22:23]
	ds_read2_b32 v[19:20], v13 offset1:1
	ds_read_b32 v27, v16 offset:20
	ds_read2_b32 v[21:22], v11 offset0:35 offset1:36
	ds_read2_b32 v[23:24], v11 offset0:37 offset1:38
	ds_read2_b32 v[25:26], v13 offset0:2 offset1:3
	ds_read_b32 v28, v13 offset:16
	ds_read_b32 v29, v11 offset:156
	s_waitcnt lgkmcnt(4)
	v_fmac_f32_e32 v27, v21, v19
	v_fmac_f32_e32 v27, v22, v20
	s_waitcnt lgkmcnt(2)
	v_fmac_f32_e32 v27, v23, v25
	v_fmac_f32_e32 v27, v24, v26
	s_waitcnt lgkmcnt(0)
	v_fmac_f32_e32 v27, v29, v28
	v_sub_f32_e32 v5, v5, v27
	v_div_scale_f32 v19, s[22:23], v6, v6, v5
	v_div_scale_f32 v20, vcc, v5, v6, v5
	s_add_i32 s4, s4, 1
	s_cmp_ge_i32 s4, s30
	s_cselect_b64 s[22:23], -1, 0
	v_rcp_f32_e32 v21, v19
	v_fma_f32 v22, -v19, v21, 1.0
	v_fmac_f32_e32 v21, v22, v21
	v_mul_f32_e32 v22, v20, v21
	v_fma_f32 v23, -v19, v22, v20
	v_fmac_f32_e32 v22, v23, v21
	v_fma_f32 v19, -v19, v22, v20
	v_div_fmas_f32 v19, v19, v21, v22
	v_div_fixup_f32 v5, v19, v6, v5
	ds_write_b32 v13, v5 offset:20
	s_waitcnt lgkmcnt(0)
	ds_read_b32 v6, v18 offset:20
	ds_read_b32 v19, v8
	s_waitcnt lgkmcnt(0)
	v_fmac_f32_e32 v19, v5, v6
	ds_write_b32 v8, v19
	s_waitcnt lgkmcnt(0)
	ds_read_b32 v5, v14
	s_waitcnt lgkmcnt(0)
	global_store_dword v[3:4], v5, off
	s_waitcnt vmcnt(0)
	buffer_wbinvl1_vol
	s_and_b64 vcc, exec, s[22:23]
	s_cbranch_vccnz .LBB7_55
.LBB7_8:                                ; =>This Loop Header: Depth=1
                                        ;     Child Loop BB7_11 Depth 2
                                        ;     Child Loop BB7_22 Depth 2
	;; [unrolled: 1-line block ×3, first 2 shown]
	s_ashr_i32 s5, s4, 31
	s_lshl_b64 s[22:23], s[4:5], 2
	s_add_u32 s22, s18, s22
	s_addc_u32 s23, s19, s23
	s_load_dword s5, s[22:23], 0x0
	s_waitcnt lgkmcnt(0)
	s_sub_i32 s24, s5, s13
	s_ashr_i32 s25, s24, 31
	s_lshl_b64 s[22:23], s[24:25], 2
	s_add_u32 s26, s8, s22
	s_addc_u32 s27, s9, s23
	s_load_dword s25, s[26:27], 0x0
	s_waitcnt lgkmcnt(0)
	s_cmp_eq_u32 s25, -1
	s_cbranch_scc1 .LBB7_54
; %bb.9:                                ;   in Loop: Header=BB7_8 Depth=1
	v_mad_u64_u32 v[3:4], s[26:27], s4, 36, v[2:3]
	v_mov_b32_e32 v5, s21
	s_add_u32 s26, s16, s22
	v_ashrrev_i32_e32 v4, 31, v3
	v_lshlrev_b64 v[3:4], 2, v[3:4]
	s_addc_u32 s27, s17, s23
	v_add_co_u32_e32 v3, vcc, s20, v3
	v_addc_co_u32_e32 v4, vcc, v5, v4, vcc
	global_load_dword v5, v[3:4], off
	s_load_dword s26, s[26:27], 0x0
	ds_read_b32 v6, v11 offset:960
	s_mov_b32 s27, 0
	s_waitcnt lgkmcnt(0)
	s_sub_i32 s26, s26, s13
	s_cmp_le_i32 s26, s25
	v_cmp_ge_i32_e32 vcc, s24, v6
	s_cselect_b64 s[28:29], -1, 0
	s_and_b64 s[28:29], s[28:29], vcc
	s_andn2_b64 vcc, exec, s[28:29]
	s_waitcnt vmcnt(0)
	ds_write_b32 v14, v5
	s_cbranch_vccnz .LBB7_21
; %bb.10:                               ;   in Loop: Header=BB7_8 Depth=1
	s_mov_b32 s34, 0
	s_mov_b32 s35, 0
.LBB7_11:                               ;   Parent Loop BB7_8 Depth=1
                                        ; =>  This Inner Loop Header: Depth=2
	s_ashr_i32 s27, s26, 31
	s_lshl_b64 s[28:29], s[26:27], 2
	s_add_u32 s28, s18, s28
	s_addc_u32 s29, s19, s29
	s_load_dword s27, s[28:29], 0x0
	s_lshl_b32 s28, s35, 2
	v_mov_b32_e32 v5, s28
	ds_read_b32 v5, v5 offset:960
	s_mov_b64 s[28:29], -1
	s_waitcnt lgkmcnt(0)
	s_sub_i32 s39, s27, s13
                                        ; implicit-def: $sgpr27
                                        ; implicit-def: $sgpr38
                                        ; implicit-def: $sgpr37
	v_cmp_ge_i32_e32 vcc, s39, v5
	v_readfirstlane_b32 s36, v5
	s_cbranch_vccz .LBB7_17
; %bb.12:                               ;   in Loop: Header=BB7_11 Depth=2
	s_cmp_le_i32 s39, s36
                                        ; implicit-def: $sgpr27
                                        ; implicit-def: $sgpr38
                                        ; implicit-def: $sgpr37
	s_cbranch_scc0 .LBB7_14
; %bb.13:                               ;   in Loop: Header=BB7_11 Depth=2
	s_add_i32 s27, s35, s31
	s_mul_i32 s27, s27, 36
	s_lshl_b32 s28, s34, 2
	v_mov_b32_e32 v6, s27
	s_mul_i32 s27, s26, 36
	v_mov_b32_e32 v5, s28
	v_mov_b32_e32 v19, s27
	ds_write2_b32 v5, v19, v6 offset0:176 offset1:208
	s_add_i32 s37, s35, 1
	s_add_i32 s38, s26, 1
	;; [unrolled: 1-line block ×3, first 2 shown]
	s_mov_b64 s[28:29], 0
.LBB7_14:                               ;   in Loop: Header=BB7_11 Depth=2
	s_andn2_b64 vcc, exec, s[28:29]
	s_cbranch_vccnz .LBB7_16
; %bb.15:                               ;   in Loop: Header=BB7_11 Depth=2
	s_add_i32 s37, s35, 1
	s_mov_b32 s27, s34
	s_mov_b32 s38, s26
.LBB7_16:                               ;   in Loop: Header=BB7_11 Depth=2
	s_mov_b64 s[28:29], 0
.LBB7_17:                               ;   in Loop: Header=BB7_11 Depth=2
	s_andn2_b64 vcc, exec, s[28:29]
	s_cbranch_vccnz .LBB7_19
; %bb.18:                               ;   in Loop: Header=BB7_11 Depth=2
	s_add_i32 s38, s26, 1
	s_mov_b32 s37, s35
	s_mov_b32 s27, s34
.LBB7_19:                               ;   in Loop: Header=BB7_11 Depth=2
	s_cmp_le_i32 s38, s25
	s_cselect_b64 s[28:29], -1, 0
	s_cmp_le_i32 s36, s24
	s_cselect_b64 s[34:35], -1, 0
	s_and_b64 s[28:29], s[28:29], s[34:35]
	s_and_b64 vcc, exec, s[28:29]
	s_cbranch_vccz .LBB7_21
; %bb.20:                               ;   in Loop: Header=BB7_11 Depth=2
	s_mov_b32 s34, s27
	s_mov_b32 s26, s38
	;; [unrolled: 1-line block ×3, first 2 shown]
	s_branch .LBB7_11
.LBB7_21:                               ;   in Loop: Header=BB7_8 Depth=1
	s_add_u32 s22, s10, s22
	s_addc_u32 s23, s11, s23
	s_waitcnt lgkmcnt(0)
.LBB7_22:                               ;   Parent Loop BB7_8 Depth=1
                                        ; =>  This Inner Loop Header: Depth=2
	global_load_dword v5, v11, s[22:23] glc
	s_waitcnt vmcnt(0)
	v_cmp_eq_u32_e32 vcc, 0, v5
	s_cbranch_vccnz .LBB7_22
; %bb.23:                               ;   in Loop: Header=BB7_8 Depth=1
	v_mad_u64_u32 v[5:6], s[22:23], s25, 36, v[2:3]
	v_mov_b32_e32 v19, s21
	buffer_wbinvl1_vol
	v_ashrrev_i32_e32 v6, 31, v5
	v_lshlrev_b64 v[5:6], 2, v[5:6]
	s_cmp_lt_i32 s27, 2
	v_add_co_u32_e32 v5, vcc, s20, v5
	v_addc_co_u32_e32 v6, vcc, v19, v6, vcc
	global_load_dword v5, v[5:6], off
	v_mov_b32_e32 v20, 0
	s_waitcnt vmcnt(0)
	ds_write_b32 v15, v5
	s_waitcnt lgkmcnt(0)
	s_cbranch_scc1 .LBB7_31
; %bb.24:                               ;   in Loop: Header=BB7_8 Depth=1
	s_add_i32 s24, s27, -1
	v_mov_b32_e32 v19, 0
	s_movk_i32 s25, 0x2c0
.LBB7_25:                               ;   Parent Loop BB7_8 Depth=1
                                        ; =>  This Inner Loop Header: Depth=2
	s_waitcnt lgkmcnt(0)
	v_mov_b32_e32 v5, s25
	ds_read2_b32 v[5:6], v5 offset1:32
	s_mov_b64 s[22:23], -1
	s_and_b64 vcc, exec, s[2:3]
                                        ; implicit-def: $vgpr20
	s_cbranch_vccz .LBB7_28
; %bb.26:                               ;   in Loop: Header=BB7_25 Depth=2
	s_waitcnt lgkmcnt(0)
	v_add_u32_e32 v20, v5, v0
	v_ashrrev_i32_e32 v21, 31, v20
	v_lshlrev_b64 v[21:22], 2, v[20:21]
	v_mov_b32_e32 v23, s21
	v_add_co_u32_e32 v21, vcc, s20, v21
	v_addc_co_u32_e32 v22, vcc, v23, v22, vcc
	v_add_u32_e32 v23, v6, v1
	v_ashrrev_i32_e32 v24, 31, v23
	v_lshlrev_b64 v[24:25], 2, v[23:24]
	v_mov_b32_e32 v26, s21
	v_add_co_u32_e32 v24, vcc, s20, v24
	v_addc_co_u32_e32 v25, vcc, v26, v25, vcc
	;; [unrolled: 6-line block ×8, first 2 shown]
	global_load_dword v38, v[21:22], off
	global_load_dword v39, v[24:25], off
	;; [unrolled: 1-line block ×8, first 2 shown]
	v_add_u32_e32 v21, 24, v20
	v_ashrrev_i32_e32 v22, 31, v21
	v_lshlrev_b64 v[21:22], 2, v[21:22]
	v_mov_b32_e32 v24, s21
	v_add_co_u32_e32 v21, vcc, s20, v21
	v_addc_co_u32_e32 v22, vcc, v24, v22, vcc
	v_add_u32_e32 v24, 24, v23
	v_ashrrev_i32_e32 v25, 31, v24
	v_lshlrev_b64 v[24:25], 2, v[24:25]
	v_mov_b32_e32 v26, s21
	v_add_co_u32_e32 v24, vcc, s20, v24
	v_addc_co_u32_e32 v25, vcc, v26, v25, vcc
	v_add_u32_e32 v26, 30, v20
	v_ashrrev_i32_e32 v27, 31, v26
	v_lshlrev_b64 v[26:27], 2, v[26:27]
	v_add_u32_e32 v28, 30, v23
	v_ashrrev_i32_e32 v29, 31, v28
	v_mov_b32_e32 v20, s21
	v_add_co_u32_e32 v26, vcc, s20, v26
	v_lshlrev_b64 v[28:29], 2, v[28:29]
	v_addc_co_u32_e32 v27, vcc, v20, v27, vcc
	v_add_co_u32_e32 v28, vcc, s20, v28
	v_addc_co_u32_e32 v29, vcc, v20, v29, vcc
	global_load_dword v23, v[21:22], off
	global_load_dword v30, v[24:25], off
	global_load_dword v31, v[26:27], off
	global_load_dword v32, v[28:29], off
	s_waitcnt vmcnt(10)
	v_fma_f32 v20, v38, v39, v19
	s_waitcnt vmcnt(8)
	v_fmac_f32_e32 v20, v40, v41
	s_waitcnt vmcnt(6)
	v_fmac_f32_e32 v20, v42, v43
	;; [unrolled: 2-line block ×5, first 2 shown]
	s_cbranch_execz .LBB7_29
.LBB7_27:                               ;   in Loop: Header=BB7_25 Depth=2
	s_add_i32 s24, s24, -1
	s_add_i32 s25, s25, 4
	s_cmp_eq_u32 s24, 0
	s_cbranch_scc0 .LBB7_30
	s_branch .LBB7_31
.LBB7_28:                               ;   in Loop: Header=BB7_25 Depth=2
	s_andn2_b64 vcc, exec, s[22:23]
	s_cbranch_vccnz .LBB7_27
.LBB7_29:                               ;   in Loop: Header=BB7_25 Depth=2
	s_waitcnt lgkmcnt(0)
	v_add_u32_e32 v20, v5, v12
	v_ashrrev_i32_e32 v21, 31, v20
	v_lshlrev_b64 v[20:21], 2, v[20:21]
	v_mov_b32_e32 v5, s21
	v_add_co_u32_e32 v28, vcc, s20, v20
	v_addc_co_u32_e32 v29, vcc, v5, v21, vcc
	v_add_u32_e32 v5, v6, v10
	v_ashrrev_i32_e32 v6, 31, v5
	v_lshlrev_b64 v[5:6], 2, v[5:6]
	v_mov_b32_e32 v20, s21
	v_add_co_u32_e32 v5, vcc, s20, v5
	v_addc_co_u32_e32 v6, vcc, v20, v6, vcc
	global_load_dwordx4 v[20:23], v[5:6], off
	global_load_dwordx4 v[24:27], v[28:29], off
	global_load_dwordx2 v[30:31], v[28:29], off offset:16
	global_load_dwordx2 v[32:33], v[5:6], off offset:16
	s_waitcnt vmcnt(2)
	v_fmac_f32_e32 v19, v24, v20
	v_fmac_f32_e32 v19, v25, v21
	;; [unrolled: 1-line block ×4, first 2 shown]
	s_waitcnt vmcnt(0)
	v_fmac_f32_e32 v19, v30, v32
	v_fmac_f32_e32 v19, v31, v33
	v_mov_b32_e32 v20, v19
	s_add_i32 s24, s24, -1
	s_add_i32 s25, s25, 4
	s_cmp_eq_u32 s24, 0
	s_cbranch_scc1 .LBB7_31
.LBB7_30:                               ;   in Loop: Header=BB7_25 Depth=2
	v_mov_b32_e32 v19, v20
	s_branch .LBB7_25
.LBB7_31:                               ;   in Loop: Header=BB7_8 Depth=1
	ds_write_b32 v17, v20
	s_waitcnt lgkmcnt(0)
	ds_read_b32 v6, v11
	ds_read_b32 v5, v13
	s_waitcnt lgkmcnt(1)
	v_cmp_neq_f32_e32 vcc, 0, v6
	v_cndmask_b32_e32 v6, 1.0, v6, vcc
	s_nor_b64 s[24:25], vcc, s[0:1]
	s_and_saveexec_b64 s[22:23], s[24:25]
	s_cbranch_execz .LBB7_35
; %bb.32:                               ;   in Loop: Header=BB7_8 Depth=1
	v_mbcnt_lo_u32_b32 v6, exec_lo, 0
	v_mbcnt_hi_u32_b32 v6, exec_hi, v6
	v_cmp_eq_u32_e32 vcc, 0, v6
	s_and_saveexec_b64 s[24:25], vcc
	s_cbranch_execz .LBB7_34
; %bb.33:                               ;   in Loop: Header=BB7_8 Depth=1
	v_mov_b32_e32 v6, s5
	global_atomic_smin v11, v6, s[14:15]
.LBB7_34:                               ;   in Loop: Header=BB7_8 Depth=1
	s_or_b64 exec, exec, s[24:25]
	v_mov_b32_e32 v6, 1.0
.LBB7_35:                               ;   in Loop: Header=BB7_8 Depth=1
	s_or_b64 exec, exec, s[22:23]
	ds_read_b32 v19, v16
	s_waitcnt lgkmcnt(0)
	v_sub_f32_e32 v5, v5, v19
	v_div_scale_f32 v19, s[22:23], v6, v6, v5
	v_div_scale_f32 v20, vcc, v5, v6, v5
	v_rcp_f32_e32 v21, v19
	v_fma_f32 v22, -v19, v21, 1.0
	v_fmac_f32_e32 v21, v22, v21
	v_mul_f32_e32 v22, v20, v21
	v_fma_f32 v23, -v19, v22, v20
	v_fmac_f32_e32 v22, v23, v21
	v_fma_f32 v19, -v19, v22, v20
	v_div_fmas_f32 v19, v19, v21, v22
	v_div_fixup_f32 v5, v19, v6, v5
	ds_write_b32 v13, v5
	s_waitcnt lgkmcnt(0)
	ds_read_b32 v6, v18
	ds_read_b32 v19, v8
	s_waitcnt lgkmcnt(0)
	v_fmac_f32_e32 v19, v5, v6
	ds_write_b32 v8, v19
	s_waitcnt lgkmcnt(0)
	ds_read_b32 v6, v11 offset:32
	ds_read_b32 v5, v13 offset:4
	s_waitcnt lgkmcnt(1)
	v_cmp_neq_f32_e32 vcc, 0, v6
	v_cndmask_b32_e32 v6, 1.0, v6, vcc
	s_nor_b64 s[24:25], vcc, s[0:1]
	s_and_saveexec_b64 s[22:23], s[24:25]
	s_cbranch_execz .LBB7_39
; %bb.36:                               ;   in Loop: Header=BB7_8 Depth=1
	v_mbcnt_lo_u32_b32 v6, exec_lo, 0
	v_mbcnt_hi_u32_b32 v6, exec_hi, v6
	v_cmp_eq_u32_e32 vcc, 0, v6
	s_and_saveexec_b64 s[24:25], vcc
	s_cbranch_execz .LBB7_38
; %bb.37:                               ;   in Loop: Header=BB7_8 Depth=1
	v_mov_b32_e32 v6, s5
	global_atomic_smin v11, v6, s[14:15]
.LBB7_38:                               ;   in Loop: Header=BB7_8 Depth=1
	s_or_b64 exec, exec, s[24:25]
	v_mov_b32_e32 v6, 1.0
.LBB7_39:                               ;   in Loop: Header=BB7_8 Depth=1
	s_or_b64 exec, exec, s[22:23]
	ds_read_b32 v19, v11 offset:28
	ds_read_b32 v20, v13
	ds_read_b32 v21, v16 offset:4
	s_waitcnt lgkmcnt(0)
	v_fmac_f32_e32 v21, v19, v20
	v_sub_f32_e32 v5, v5, v21
	v_div_scale_f32 v19, s[22:23], v6, v6, v5
	v_div_scale_f32 v20, vcc, v5, v6, v5
	v_rcp_f32_e32 v21, v19
	v_fma_f32 v22, -v19, v21, 1.0
	v_fmac_f32_e32 v21, v22, v21
	v_mul_f32_e32 v22, v20, v21
	v_fma_f32 v23, -v19, v22, v20
	v_fmac_f32_e32 v22, v23, v21
	v_fma_f32 v19, -v19, v22, v20
	v_div_fmas_f32 v19, v19, v21, v22
	v_div_fixup_f32 v5, v19, v6, v5
	ds_write_b32 v13, v5 offset:4
	s_waitcnt lgkmcnt(0)
	ds_read_b32 v6, v18 offset:4
	ds_read_b32 v19, v8
	s_waitcnt lgkmcnt(0)
	v_fmac_f32_e32 v19, v5, v6
	ds_write_b32 v8, v19
	s_waitcnt lgkmcnt(0)
	ds_read_b32 v6, v11 offset:64
	ds_read_b32 v5, v13 offset:8
	s_waitcnt lgkmcnt(1)
	v_cmp_neq_f32_e32 vcc, 0, v6
	v_cndmask_b32_e32 v6, 1.0, v6, vcc
	s_nor_b64 s[24:25], vcc, s[0:1]
	s_and_saveexec_b64 s[22:23], s[24:25]
	s_cbranch_execz .LBB7_43
; %bb.40:                               ;   in Loop: Header=BB7_8 Depth=1
	v_mbcnt_lo_u32_b32 v6, exec_lo, 0
	v_mbcnt_hi_u32_b32 v6, exec_hi, v6
	v_cmp_eq_u32_e32 vcc, 0, v6
	s_and_saveexec_b64 s[24:25], vcc
	s_cbranch_execz .LBB7_42
; %bb.41:                               ;   in Loop: Header=BB7_8 Depth=1
	v_mov_b32_e32 v6, s5
	global_atomic_smin v11, v6, s[14:15]
.LBB7_42:                               ;   in Loop: Header=BB7_8 Depth=1
	s_or_b64 exec, exec, s[24:25]
	v_mov_b32_e32 v6, 1.0
.LBB7_43:                               ;   in Loop: Header=BB7_8 Depth=1
	s_or_b64 exec, exec, s[22:23]
	ds_read_b64 v[19:20], v11 offset:56
	ds_read2_b32 v[21:22], v13 offset1:1
	ds_read_b32 v23, v16 offset:8
	s_waitcnt lgkmcnt(0)
	v_fmac_f32_e32 v23, v19, v21
	v_fmac_f32_e32 v23, v20, v22
	v_sub_f32_e32 v5, v5, v23
	v_div_scale_f32 v19, s[22:23], v6, v6, v5
	v_div_scale_f32 v20, vcc, v5, v6, v5
	v_rcp_f32_e32 v21, v19
	v_fma_f32 v22, -v19, v21, 1.0
	v_fmac_f32_e32 v21, v22, v21
	v_mul_f32_e32 v22, v20, v21
	v_fma_f32 v23, -v19, v22, v20
	v_fmac_f32_e32 v22, v23, v21
	v_fma_f32 v19, -v19, v22, v20
	v_div_fmas_f32 v19, v19, v21, v22
	v_div_fixup_f32 v5, v19, v6, v5
	ds_write_b32 v13, v5 offset:8
	s_waitcnt lgkmcnt(0)
	ds_read_b32 v6, v18 offset:8
	ds_read_b32 v19, v8
	s_waitcnt lgkmcnt(0)
	v_fmac_f32_e32 v19, v5, v6
	ds_write_b32 v8, v19
	s_waitcnt lgkmcnt(0)
	ds_read_b32 v6, v11 offset:96
	ds_read_b32 v5, v13 offset:12
	s_waitcnt lgkmcnt(1)
	v_cmp_neq_f32_e32 vcc, 0, v6
	v_cndmask_b32_e32 v6, 1.0, v6, vcc
	s_nor_b64 s[24:25], vcc, s[0:1]
	s_and_saveexec_b64 s[22:23], s[24:25]
	s_cbranch_execz .LBB7_47
; %bb.44:                               ;   in Loop: Header=BB7_8 Depth=1
	v_mbcnt_lo_u32_b32 v6, exec_lo, 0
	v_mbcnt_hi_u32_b32 v6, exec_hi, v6
	v_cmp_eq_u32_e32 vcc, 0, v6
	s_and_saveexec_b64 s[24:25], vcc
	s_cbranch_execz .LBB7_46
; %bb.45:                               ;   in Loop: Header=BB7_8 Depth=1
	v_mov_b32_e32 v6, s5
	global_atomic_smin v11, v6, s[14:15]
.LBB7_46:                               ;   in Loop: Header=BB7_8 Depth=1
	s_or_b64 exec, exec, s[24:25]
	v_mov_b32_e32 v6, 1.0
.LBB7_47:                               ;   in Loop: Header=BB7_8 Depth=1
	s_or_b64 exec, exec, s[22:23]
	ds_read2_b32 v[19:20], v11 offset0:21 offset1:22
	ds_read_b32 v23, v16 offset:12
	ds_read2_b32 v[21:22], v13 offset1:1
	ds_read_b32 v24, v13 offset:8
	ds_read_b32 v25, v11 offset:92
	s_waitcnt lgkmcnt(2)
	v_fmac_f32_e32 v23, v19, v21
	v_fmac_f32_e32 v23, v20, v22
	s_waitcnt lgkmcnt(0)
	v_fmac_f32_e32 v23, v25, v24
	v_sub_f32_e32 v5, v5, v23
	v_div_scale_f32 v19, s[22:23], v6, v6, v5
	v_div_scale_f32 v20, vcc, v5, v6, v5
	v_rcp_f32_e32 v21, v19
	v_fma_f32 v22, -v19, v21, 1.0
	v_fmac_f32_e32 v21, v22, v21
	v_mul_f32_e32 v22, v20, v21
	v_fma_f32 v23, -v19, v22, v20
	v_fmac_f32_e32 v22, v23, v21
	v_fma_f32 v19, -v19, v22, v20
	v_div_fmas_f32 v19, v19, v21, v22
	v_div_fixup_f32 v5, v19, v6, v5
	ds_write_b32 v13, v5 offset:12
	s_waitcnt lgkmcnt(0)
	ds_read_b32 v6, v18 offset:12
	ds_read_b32 v19, v8
	s_waitcnt lgkmcnt(0)
	v_fmac_f32_e32 v19, v5, v6
	ds_write_b32 v8, v19
	s_waitcnt lgkmcnt(0)
	ds_read_b32 v6, v11 offset:128
	ds_read_b32 v5, v13 offset:16
	s_waitcnt lgkmcnt(1)
	v_cmp_neq_f32_e32 vcc, 0, v6
	v_cndmask_b32_e32 v6, 1.0, v6, vcc
	s_nor_b64 s[24:25], vcc, s[0:1]
	s_and_saveexec_b64 s[22:23], s[24:25]
	s_cbranch_execz .LBB7_51
; %bb.48:                               ;   in Loop: Header=BB7_8 Depth=1
	v_mbcnt_lo_u32_b32 v6, exec_lo, 0
	v_mbcnt_hi_u32_b32 v6, exec_hi, v6
	v_cmp_eq_u32_e32 vcc, 0, v6
	s_and_saveexec_b64 s[24:25], vcc
	s_cbranch_execz .LBB7_50
; %bb.49:                               ;   in Loop: Header=BB7_8 Depth=1
	v_mov_b32_e32 v6, s5
	global_atomic_smin v11, v6, s[14:15]
.LBB7_50:                               ;   in Loop: Header=BB7_8 Depth=1
	s_or_b64 exec, exec, s[24:25]
	v_mov_b32_e32 v6, 1.0
.LBB7_51:                               ;   in Loop: Header=BB7_8 Depth=1
	s_or_b64 exec, exec, s[22:23]
	ds_read_b128 v[19:22], v11 offset:112
	ds_read_b32 v27, v16 offset:16
	ds_read2_b32 v[23:24], v13 offset1:1
	ds_read2_b32 v[25:26], v13 offset0:2 offset1:3
	s_waitcnt lgkmcnt(1)
	v_fmac_f32_e32 v27, v19, v23
	v_fmac_f32_e32 v27, v20, v24
	s_waitcnt lgkmcnt(0)
	v_fmac_f32_e32 v27, v21, v25
	v_fmac_f32_e32 v27, v22, v26
	v_sub_f32_e32 v5, v5, v27
	v_div_scale_f32 v19, s[22:23], v6, v6, v5
	v_div_scale_f32 v20, vcc, v5, v6, v5
	v_rcp_f32_e32 v21, v19
	v_fma_f32 v22, -v19, v21, 1.0
	v_fmac_f32_e32 v21, v22, v21
	v_mul_f32_e32 v22, v20, v21
	v_fma_f32 v23, -v19, v22, v20
	v_fmac_f32_e32 v22, v23, v21
	v_fma_f32 v19, -v19, v22, v20
	v_div_fmas_f32 v19, v19, v21, v22
	v_div_fixup_f32 v5, v19, v6, v5
	ds_write_b32 v13, v5 offset:16
	s_waitcnt lgkmcnt(0)
	ds_read_b32 v6, v18 offset:16
	ds_read_b32 v19, v8
	s_waitcnt lgkmcnt(0)
	v_fmac_f32_e32 v19, v5, v6
	ds_write_b32 v8, v19
	s_waitcnt lgkmcnt(0)
	ds_read_b32 v6, v11 offset:160
	ds_read_b32 v5, v13 offset:20
	s_waitcnt lgkmcnt(1)
	v_cmp_neq_f32_e32 vcc, 0, v6
	v_cndmask_b32_e32 v6, 1.0, v6, vcc
	s_nor_b64 s[24:25], vcc, s[0:1]
	s_and_saveexec_b64 s[22:23], s[24:25]
	s_cbranch_execz .LBB7_7
; %bb.52:                               ;   in Loop: Header=BB7_8 Depth=1
	v_mbcnt_lo_u32_b32 v6, exec_lo, 0
	v_mbcnt_hi_u32_b32 v6, exec_hi, v6
	v_cmp_eq_u32_e32 vcc, 0, v6
	s_and_saveexec_b64 s[24:25], vcc
	s_cbranch_execz .LBB7_6
; %bb.53:                               ;   in Loop: Header=BB7_8 Depth=1
	v_mov_b32_e32 v6, s5
	global_atomic_smin v11, v6, s[14:15]
	s_branch .LBB7_6
.LBB7_54:                               ;   in Loop: Header=BB7_8 Depth=1
                                        ; implicit-def: $sgpr4
	s_cbranch_execz .LBB7_8
.LBB7_55:
	s_cmp_lg_u32 s33, 0
	s_cselect_b64 s[4:5], -1, 0
	s_cmp_eq_u32 s33, 0
	v_mov_b32_e32 v2, v7
	s_cbranch_scc1 .LBB7_57
; %bb.56:
	v_mad_u32_u24 v2, v0, 6, v1
.LBB7_57:
	s_mul_i32 s30, s30, 36
	v_add_u32_e32 v2, s30, v2
	v_ashrrev_i32_e32 v3, 31, v2
	v_lshlrev_b64 v[2:3], 2, v[2:3]
	v_mov_b32_e32 v4, s21
	v_add_co_u32_e32 v2, vcc, s20, v2
	v_addc_co_u32_e32 v3, vcc, v4, v3, vcc
	global_load_dword v4, v[2:3], off
	v_mov_b32_e32 v2, 0x160
	v_mad_u32_u24 v3, v1, 28, v2
	v_cmp_ne_u32_e32 vcc, 0, v1
	v_lshl_add_u32 v2, v0, 2, v3
	v_cmp_eq_u32_e64 s[0:1], 0, v1
	s_waitcnt vmcnt(0)
	ds_write_b32 v2, v4
	s_waitcnt lgkmcnt(0)
	s_and_saveexec_b64 s[8:9], s[0:1]
	s_cbranch_execz .LBB7_59
; %bb.58:
	v_mov_b32_e32 v6, 0
	ds_read2_b32 v[4:5], v6 offset0:88 offset1:132
	s_mov_b32 s2, 0xf800000
	s_waitcnt lgkmcnt(0)
	v_sub_f32_e32 v4, v4, v5
	v_cmp_gt_f32_e64 s[0:1], 0, v4
	v_cndmask_b32_e64 v4, v4, -v4, s[0:1]
	v_mul_f32_e32 v5, 0x4f800000, v4
	v_cmp_gt_f32_e64 s[0:1], s2, v4
	v_cndmask_b32_e64 v4, v4, v5, s[0:1]
	v_sqrt_f32_e32 v5, v4
	v_add_u32_e32 v10, -1, v5
	v_add_u32_e32 v11, 1, v5
	v_fma_f32 v12, -v10, v5, v4
	v_fma_f32 v13, -v11, v5, v4
	v_cmp_ge_f32_e64 s[2:3], 0, v12
	v_cndmask_b32_e64 v5, v5, v10, s[2:3]
	v_cmp_lt_f32_e64 s[2:3], 0, v13
	v_cndmask_b32_e64 v5, v5, v11, s[2:3]
	v_mul_f32_e32 v10, 0x37800000, v5
	v_cndmask_b32_e64 v5, v5, v10, s[0:1]
	v_mov_b32_e32 v10, 0x260
	v_cmp_class_f32_e64 s[0:1], v4, v10
	v_cndmask_b32_e64 v4, v5, v4, s[0:1]
	ds_write_b32 v6, v4 offset:352
.LBB7_59:
	s_or_b64 exec, exec, s[8:9]
	v_mov_b32_e32 v4, 0
	s_waitcnt lgkmcnt(0)
	ds_read_b32 v5, v4 offset:352
	v_or_b32_e32 v4, v0, v1
	v_cmp_ne_u32_e64 s[0:1], 0, v4
	s_add_i32 s18, s12, s13
	s_waitcnt lgkmcnt(0)
	v_cmp_neq_f32_e64 s[2:3], 0, v5
	v_cndmask_b32_e64 v6, 1.0, v5, s[2:3]
	s_nor_b64 s[2:3], s[2:3], s[0:1]
	s_and_saveexec_b64 s[8:9], s[2:3]
	s_cbranch_execz .LBB7_63
; %bb.60:
	v_mbcnt_lo_u32_b32 v5, exec_lo, 0
	v_mbcnt_hi_u32_b32 v5, exec_hi, v5
	v_cmp_eq_u32_e64 s[2:3], 0, v5
	s_and_saveexec_b64 s[16:17], s[2:3]
	s_cbranch_execz .LBB7_62
; %bb.61:
	v_mov_b32_e32 v5, 0
	v_mov_b32_e32 v6, s18
	global_atomic_smin v5, v6, s[14:15]
.LBB7_62:
	s_or_b64 exec, exec, s[16:17]
	v_mov_b32_e32 v6, 1.0
.LBB7_63:
	s_or_b64 exec, exec, s[8:9]
	v_mov_b32_e32 v5, 0x160
	v_mad_u32_u24 v5, v0, 28, v5
	s_and_saveexec_b64 s[2:3], vcc
	s_cbranch_execz .LBB7_65
; %bb.64:
	ds_read_b32 v10, v3
	ds_read_b32 v11, v9
	s_waitcnt lgkmcnt(0)
	v_sub_f32_e32 v10, v10, v11
	v_div_scale_f32 v11, s[8:9], v6, v6, v10
	v_div_scale_f32 v12, vcc, v10, v6, v10
	v_rcp_f32_e32 v13, v11
	v_fma_f32 v14, -v11, v13, 1.0
	v_fmac_f32_e32 v13, v14, v13
	v_mul_f32_e32 v14, v12, v13
	v_fma_f32 v15, -v11, v14, v12
	v_fmac_f32_e32 v14, v15, v13
	v_fma_f32 v11, -v11, v14, v12
	v_div_fmas_f32 v11, v11, v13, v14
	v_div_fixup_f32 v6, v11, v6, v10
	ds_write_b32 v3, v6
	s_waitcnt lgkmcnt(0)
	ds_read_b32 v10, v5
	ds_read_b32 v11, v8
	s_waitcnt lgkmcnt(0)
	v_fmac_f32_e32 v11, v6, v10
	ds_write_b32 v8, v11
.LBB7_65:
	s_or_b64 exec, exec, s[2:3]
	v_cmp_eq_u32_e32 vcc, 1, v1
	s_waitcnt lgkmcnt(0)
	s_and_saveexec_b64 s[8:9], vcc
	s_cbranch_execz .LBB7_67
; %bb.66:
	v_mov_b32_e32 v6, 0
	ds_read2_b32 v[10:11], v6 offset0:96 offset1:140
	s_mov_b32 s2, 0xf800000
	s_waitcnt lgkmcnt(0)
	v_sub_f32_e32 v10, v10, v11
	v_cmp_gt_f32_e32 vcc, 0, v10
	v_cndmask_b32_e64 v10, v10, -v10, vcc
	v_mul_f32_e32 v11, 0x4f800000, v10
	v_cmp_gt_f32_e32 vcc, s2, v10
	v_cndmask_b32_e32 v10, v10, v11, vcc
	v_sqrt_f32_e32 v11, v10
	v_add_u32_e32 v12, -1, v11
	v_add_u32_e32 v13, 1, v11
	v_fma_f32 v14, -v12, v11, v10
	v_fma_f32 v15, -v13, v11, v10
	v_cmp_ge_f32_e64 s[2:3], 0, v14
	v_cndmask_b32_e64 v11, v11, v12, s[2:3]
	v_cmp_lt_f32_e64 s[2:3], 0, v15
	v_cndmask_b32_e64 v11, v11, v13, s[2:3]
	v_mul_f32_e32 v12, 0x37800000, v11
	v_cndmask_b32_e32 v11, v11, v12, vcc
	v_mov_b32_e32 v12, 0x260
	v_cmp_class_f32_e32 vcc, v10, v12
	v_cndmask_b32_e32 v10, v11, v10, vcc
	ds_write_b32 v6, v10 offset:384
.LBB7_67:
	s_or_b64 exec, exec, s[8:9]
	v_mov_b32_e32 v6, 0
	s_waitcnt lgkmcnt(0)
	ds_read_b32 v6, v6 offset:384
	s_waitcnt lgkmcnt(0)
	v_cmp_neq_f32_e32 vcc, 0, v6
	v_cndmask_b32_e32 v6, 1.0, v6, vcc
	s_nor_b64 s[8:9], vcc, s[0:1]
	s_and_saveexec_b64 s[2:3], s[8:9]
	s_cbranch_execz .LBB7_71
; %bb.68:
	v_mbcnt_lo_u32_b32 v6, exec_lo, 0
	v_mbcnt_hi_u32_b32 v6, exec_hi, v6
	v_cmp_eq_u32_e32 vcc, 0, v6
	s_and_saveexec_b64 s[8:9], vcc
	s_cbranch_execz .LBB7_70
; %bb.69:
	v_mov_b32_e32 v6, 0
	v_mov_b32_e32 v10, s18
	global_atomic_smin v6, v10, s[14:15]
.LBB7_70:
	s_or_b64 exec, exec, s[8:9]
	v_mov_b32_e32 v6, 1.0
.LBB7_71:
	s_or_b64 exec, exec, s[2:3]
	v_cmp_lt_u32_e32 vcc, 1, v1
	s_and_saveexec_b64 s[2:3], vcc
	s_cbranch_execz .LBB7_73
; %bb.72:
	ds_read_b32 v10, v3 offset:4
	ds_read_b32 v11, v9 offset:4
	s_waitcnt lgkmcnt(0)
	v_sub_f32_e32 v10, v10, v11
	v_div_scale_f32 v11, s[8:9], v6, v6, v10
	v_div_scale_f32 v12, vcc, v10, v6, v10
	v_rcp_f32_e32 v13, v11
	v_fma_f32 v14, -v11, v13, 1.0
	v_fmac_f32_e32 v13, v14, v13
	v_mul_f32_e32 v14, v12, v13
	v_fma_f32 v15, -v11, v14, v12
	v_fmac_f32_e32 v14, v15, v13
	v_fma_f32 v11, -v11, v14, v12
	v_div_fmas_f32 v11, v11, v13, v14
	v_div_fixup_f32 v6, v11, v6, v10
	ds_write_b32 v3, v6 offset:4
	s_waitcnt lgkmcnt(0)
	ds_read_b32 v10, v5 offset:4
	ds_read_b32 v11, v8
	s_waitcnt lgkmcnt(0)
	v_fmac_f32_e32 v11, v6, v10
	ds_write_b32 v8, v11
.LBB7_73:
	s_or_b64 exec, exec, s[2:3]
	v_cmp_eq_u32_e32 vcc, 2, v1
	s_waitcnt lgkmcnt(0)
	s_and_saveexec_b64 s[8:9], vcc
	s_cbranch_execz .LBB7_75
; %bb.74:
	v_mov_b32_e32 v6, 0
	ds_read2_b32 v[10:11], v6 offset0:104 offset1:148
	s_mov_b32 s2, 0xf800000
	s_waitcnt lgkmcnt(0)
	v_sub_f32_e32 v10, v10, v11
	v_cmp_gt_f32_e32 vcc, 0, v10
	v_cndmask_b32_e64 v10, v10, -v10, vcc
	v_mul_f32_e32 v11, 0x4f800000, v10
	v_cmp_gt_f32_e32 vcc, s2, v10
	v_cndmask_b32_e32 v10, v10, v11, vcc
	v_sqrt_f32_e32 v11, v10
	v_add_u32_e32 v12, -1, v11
	v_add_u32_e32 v13, 1, v11
	v_fma_f32 v14, -v12, v11, v10
	v_fma_f32 v15, -v13, v11, v10
	v_cmp_ge_f32_e64 s[2:3], 0, v14
	v_cndmask_b32_e64 v11, v11, v12, s[2:3]
	v_cmp_lt_f32_e64 s[2:3], 0, v15
	v_cndmask_b32_e64 v11, v11, v13, s[2:3]
	v_mul_f32_e32 v12, 0x37800000, v11
	v_cndmask_b32_e32 v11, v11, v12, vcc
	v_mov_b32_e32 v12, 0x260
	v_cmp_class_f32_e32 vcc, v10, v12
	v_cndmask_b32_e32 v10, v11, v10, vcc
	ds_write_b32 v6, v10 offset:416
.LBB7_75:
	s_or_b64 exec, exec, s[8:9]
	v_mov_b32_e32 v6, 0
	s_waitcnt lgkmcnt(0)
	ds_read_b32 v6, v6 offset:416
	s_waitcnt lgkmcnt(0)
	v_cmp_neq_f32_e32 vcc, 0, v6
	v_cndmask_b32_e32 v6, 1.0, v6, vcc
	s_nor_b64 s[8:9], vcc, s[0:1]
	s_and_saveexec_b64 s[2:3], s[8:9]
	s_cbranch_execz .LBB7_79
; %bb.76:
	v_mbcnt_lo_u32_b32 v6, exec_lo, 0
	v_mbcnt_hi_u32_b32 v6, exec_hi, v6
	v_cmp_eq_u32_e32 vcc, 0, v6
	s_and_saveexec_b64 s[8:9], vcc
	s_cbranch_execz .LBB7_78
; %bb.77:
	v_mov_b32_e32 v6, 0
	v_mov_b32_e32 v10, s18
	global_atomic_smin v6, v10, s[14:15]
.LBB7_78:
	s_or_b64 exec, exec, s[8:9]
	v_mov_b32_e32 v6, 1.0
.LBB7_79:
	s_or_b64 exec, exec, s[2:3]
	v_cmp_lt_u32_e32 vcc, 2, v1
	s_and_saveexec_b64 s[2:3], vcc
	s_cbranch_execz .LBB7_81
; %bb.80:
	ds_read_b32 v10, v3 offset:8
	ds_read_b32 v11, v9 offset:8
	s_waitcnt lgkmcnt(0)
	v_sub_f32_e32 v10, v10, v11
	v_div_scale_f32 v11, s[8:9], v6, v6, v10
	v_div_scale_f32 v12, vcc, v10, v6, v10
	v_rcp_f32_e32 v13, v11
	v_fma_f32 v14, -v11, v13, 1.0
	v_fmac_f32_e32 v13, v14, v13
	v_mul_f32_e32 v14, v12, v13
	v_fma_f32 v15, -v11, v14, v12
	v_fmac_f32_e32 v14, v15, v13
	v_fma_f32 v11, -v11, v14, v12
	v_div_fmas_f32 v11, v11, v13, v14
	v_div_fixup_f32 v6, v11, v6, v10
	ds_write_b32 v3, v6 offset:8
	s_waitcnt lgkmcnt(0)
	ds_read_b32 v10, v5 offset:8
	ds_read_b32 v11, v8
	s_waitcnt lgkmcnt(0)
	v_fmac_f32_e32 v11, v6, v10
	ds_write_b32 v8, v11
.LBB7_81:
	s_or_b64 exec, exec, s[2:3]
	v_cmp_eq_u32_e32 vcc, 3, v1
	s_waitcnt lgkmcnt(0)
	s_and_saveexec_b64 s[8:9], vcc
	s_cbranch_execz .LBB7_83
; %bb.82:
	v_mov_b32_e32 v6, 0
	ds_read2_b32 v[10:11], v6 offset0:112 offset1:156
	s_mov_b32 s2, 0xf800000
	s_waitcnt lgkmcnt(0)
	v_sub_f32_e32 v10, v10, v11
	v_cmp_gt_f32_e32 vcc, 0, v10
	v_cndmask_b32_e64 v10, v10, -v10, vcc
	v_mul_f32_e32 v11, 0x4f800000, v10
	v_cmp_gt_f32_e32 vcc, s2, v10
	v_cndmask_b32_e32 v10, v10, v11, vcc
	v_sqrt_f32_e32 v11, v10
	v_add_u32_e32 v12, -1, v11
	v_add_u32_e32 v13, 1, v11
	v_fma_f32 v14, -v12, v11, v10
	v_fma_f32 v15, -v13, v11, v10
	v_cmp_ge_f32_e64 s[2:3], 0, v14
	v_cndmask_b32_e64 v11, v11, v12, s[2:3]
	v_cmp_lt_f32_e64 s[2:3], 0, v15
	v_cndmask_b32_e64 v11, v11, v13, s[2:3]
	v_mul_f32_e32 v12, 0x37800000, v11
	v_cndmask_b32_e32 v11, v11, v12, vcc
	v_mov_b32_e32 v12, 0x260
	v_cmp_class_f32_e32 vcc, v10, v12
	v_cndmask_b32_e32 v10, v11, v10, vcc
	ds_write_b32 v6, v10 offset:448
.LBB7_83:
	s_or_b64 exec, exec, s[8:9]
	v_mov_b32_e32 v6, 0
	s_waitcnt lgkmcnt(0)
	ds_read_b32 v6, v6 offset:448
	s_waitcnt lgkmcnt(0)
	v_cmp_neq_f32_e32 vcc, 0, v6
	v_cndmask_b32_e32 v6, 1.0, v6, vcc
	s_nor_b64 s[8:9], vcc, s[0:1]
	s_and_saveexec_b64 s[2:3], s[8:9]
	s_cbranch_execz .LBB7_87
; %bb.84:
	v_mbcnt_lo_u32_b32 v6, exec_lo, 0
	v_mbcnt_hi_u32_b32 v6, exec_hi, v6
	v_cmp_eq_u32_e32 vcc, 0, v6
	s_and_saveexec_b64 s[8:9], vcc
	s_cbranch_execz .LBB7_86
; %bb.85:
	v_mov_b32_e32 v6, 0
	v_mov_b32_e32 v10, s18
	global_atomic_smin v6, v10, s[14:15]
.LBB7_86:
	s_or_b64 exec, exec, s[8:9]
	v_mov_b32_e32 v6, 1.0
.LBB7_87:
	s_or_b64 exec, exec, s[2:3]
	v_cmp_lt_u32_e32 vcc, 3, v1
	s_and_saveexec_b64 s[2:3], vcc
	s_cbranch_execz .LBB7_89
; %bb.88:
	ds_read_b32 v10, v3 offset:12
	ds_read_b32 v11, v9 offset:12
	s_waitcnt lgkmcnt(0)
	v_sub_f32_e32 v10, v10, v11
	v_div_scale_f32 v11, s[8:9], v6, v6, v10
	v_div_scale_f32 v12, vcc, v10, v6, v10
	v_rcp_f32_e32 v13, v11
	v_fma_f32 v14, -v11, v13, 1.0
	v_fmac_f32_e32 v13, v14, v13
	v_mul_f32_e32 v14, v12, v13
	v_fma_f32 v15, -v11, v14, v12
	v_fmac_f32_e32 v14, v15, v13
	v_fma_f32 v11, -v11, v14, v12
	v_div_fmas_f32 v11, v11, v13, v14
	v_div_fixup_f32 v6, v11, v6, v10
	ds_write_b32 v3, v6 offset:12
	s_waitcnt lgkmcnt(0)
	ds_read_b32 v10, v5 offset:12
	ds_read_b32 v11, v8
	s_waitcnt lgkmcnt(0)
	v_fmac_f32_e32 v11, v6, v10
	ds_write_b32 v8, v11
.LBB7_89:
	s_or_b64 exec, exec, s[2:3]
	v_cmp_eq_u32_e32 vcc, 4, v1
	s_waitcnt lgkmcnt(0)
	s_and_saveexec_b64 s[8:9], vcc
	s_cbranch_execz .LBB7_91
; %bb.90:
	v_mov_b32_e32 v6, 0
	ds_read2_b32 v[10:11], v6 offset0:120 offset1:164
	s_mov_b32 s2, 0xf800000
	s_waitcnt lgkmcnt(0)
	v_sub_f32_e32 v10, v10, v11
	v_cmp_gt_f32_e32 vcc, 0, v10
	v_cndmask_b32_e64 v10, v10, -v10, vcc
	v_mul_f32_e32 v11, 0x4f800000, v10
	v_cmp_gt_f32_e32 vcc, s2, v10
	v_cndmask_b32_e32 v10, v10, v11, vcc
	v_sqrt_f32_e32 v11, v10
	v_add_u32_e32 v12, -1, v11
	v_add_u32_e32 v13, 1, v11
	v_fma_f32 v14, -v12, v11, v10
	v_fma_f32 v15, -v13, v11, v10
	v_cmp_ge_f32_e64 s[2:3], 0, v14
	v_cndmask_b32_e64 v11, v11, v12, s[2:3]
	v_cmp_lt_f32_e64 s[2:3], 0, v15
	v_cndmask_b32_e64 v11, v11, v13, s[2:3]
	v_mul_f32_e32 v12, 0x37800000, v11
	v_cndmask_b32_e32 v11, v11, v12, vcc
	v_mov_b32_e32 v12, 0x260
	v_cmp_class_f32_e32 vcc, v10, v12
	v_cndmask_b32_e32 v10, v11, v10, vcc
	ds_write_b32 v6, v10 offset:480
.LBB7_91:
	s_or_b64 exec, exec, s[8:9]
	v_mov_b32_e32 v6, 0
	s_waitcnt lgkmcnt(0)
	ds_read_b32 v6, v6 offset:480
	s_waitcnt lgkmcnt(0)
	v_cmp_neq_f32_e32 vcc, 0, v6
	v_cndmask_b32_e32 v6, 1.0, v6, vcc
	s_nor_b64 s[8:9], vcc, s[0:1]
	s_and_saveexec_b64 s[2:3], s[8:9]
	s_cbranch_execz .LBB7_95
; %bb.92:
	v_mbcnt_lo_u32_b32 v6, exec_lo, 0
	v_mbcnt_hi_u32_b32 v6, exec_hi, v6
	v_cmp_eq_u32_e32 vcc, 0, v6
	s_and_saveexec_b64 s[8:9], vcc
	s_cbranch_execz .LBB7_94
; %bb.93:
	v_mov_b32_e32 v6, 0
	v_mov_b32_e32 v10, s18
	global_atomic_smin v6, v10, s[14:15]
.LBB7_94:
	s_or_b64 exec, exec, s[8:9]
	v_mov_b32_e32 v6, 1.0
.LBB7_95:
	s_or_b64 exec, exec, s[2:3]
	v_cmp_lt_u32_e32 vcc, 4, v1
	s_and_saveexec_b64 s[2:3], vcc
	s_cbranch_execz .LBB7_97
; %bb.96:
	ds_read_b32 v10, v3 offset:16
	ds_read_b32 v11, v9 offset:16
	s_waitcnt lgkmcnt(0)
	v_sub_f32_e32 v10, v10, v11
	v_div_scale_f32 v11, s[8:9], v6, v6, v10
	v_div_scale_f32 v12, vcc, v10, v6, v10
	v_rcp_f32_e32 v13, v11
	v_fma_f32 v14, -v11, v13, 1.0
	v_fmac_f32_e32 v13, v14, v13
	v_mul_f32_e32 v14, v12, v13
	v_fma_f32 v15, -v11, v14, v12
	v_fmac_f32_e32 v14, v15, v13
	v_fma_f32 v11, -v11, v14, v12
	v_div_fmas_f32 v11, v11, v13, v14
	v_div_fixup_f32 v6, v11, v6, v10
	ds_write_b32 v3, v6 offset:16
	s_waitcnt lgkmcnt(0)
	ds_read_b32 v10, v5 offset:16
	ds_read_b32 v11, v8
	s_waitcnt lgkmcnt(0)
	v_fmac_f32_e32 v11, v6, v10
	ds_write_b32 v8, v11
.LBB7_97:
	s_or_b64 exec, exec, s[2:3]
	v_cmp_eq_u32_e32 vcc, 5, v1
	s_waitcnt lgkmcnt(0)
	s_and_saveexec_b64 s[8:9], vcc
	s_cbranch_execz .LBB7_99
; %bb.98:
	v_mov_b32_e32 v6, 0
	ds_read2_b32 v[10:11], v6 offset0:128 offset1:172
	s_mov_b32 s2, 0xf800000
	s_waitcnt lgkmcnt(0)
	v_sub_f32_e32 v10, v10, v11
	v_cmp_gt_f32_e32 vcc, 0, v10
	v_cndmask_b32_e64 v10, v10, -v10, vcc
	v_mul_f32_e32 v11, 0x4f800000, v10
	v_cmp_gt_f32_e32 vcc, s2, v10
	v_cndmask_b32_e32 v10, v10, v11, vcc
	v_sqrt_f32_e32 v11, v10
	v_add_u32_e32 v12, -1, v11
	v_add_u32_e32 v13, 1, v11
	v_fma_f32 v14, -v12, v11, v10
	v_fma_f32 v15, -v13, v11, v10
	v_cmp_ge_f32_e64 s[2:3], 0, v14
	v_cndmask_b32_e64 v11, v11, v12, s[2:3]
	v_cmp_lt_f32_e64 s[2:3], 0, v15
	v_cndmask_b32_e64 v11, v11, v13, s[2:3]
	v_mul_f32_e32 v12, 0x37800000, v11
	v_cndmask_b32_e32 v11, v11, v12, vcc
	v_mov_b32_e32 v12, 0x260
	v_cmp_class_f32_e32 vcc, v10, v12
	v_cndmask_b32_e32 v10, v11, v10, vcc
	ds_write_b32 v6, v10 offset:512
.LBB7_99:
	s_or_b64 exec, exec, s[8:9]
	v_mov_b32_e32 v6, 0
	s_waitcnt lgkmcnt(0)
	ds_read_b32 v6, v6 offset:512
	s_waitcnt lgkmcnt(0)
	v_cmp_neq_f32_e32 vcc, 0, v6
	v_cndmask_b32_e32 v6, 1.0, v6, vcc
	s_nor_b64 s[2:3], vcc, s[0:1]
	s_and_saveexec_b64 s[0:1], s[2:3]
	s_cbranch_execz .LBB7_103
; %bb.100:
	v_mbcnt_lo_u32_b32 v6, exec_lo, 0
	v_mbcnt_hi_u32_b32 v6, exec_hi, v6
	v_cmp_eq_u32_e32 vcc, 0, v6
	s_and_saveexec_b64 s[2:3], vcc
	s_cbranch_execz .LBB7_102
; %bb.101:
	v_mov_b32_e32 v6, 0
	v_mov_b32_e32 v10, s18
	global_atomic_smin v6, v10, s[14:15]
.LBB7_102:
	s_or_b64 exec, exec, s[2:3]
	v_mov_b32_e32 v6, 1.0
.LBB7_103:
	s_or_b64 exec, exec, s[0:1]
	v_cmp_lt_u32_e32 vcc, 5, v1
	s_and_saveexec_b64 s[0:1], vcc
	s_cbranch_execz .LBB7_105
; %bb.104:
	ds_read_b32 v10, v3 offset:20
	ds_read_b32 v9, v9 offset:20
	s_waitcnt lgkmcnt(0)
	v_sub_f32_e32 v9, v10, v9
	v_div_scale_f32 v10, s[2:3], v6, v6, v9
	v_div_scale_f32 v11, vcc, v9, v6, v9
	v_rcp_f32_e32 v12, v10
	v_fma_f32 v13, -v10, v12, 1.0
	v_fmac_f32_e32 v12, v13, v12
	v_mul_f32_e32 v13, v11, v12
	v_fma_f32 v14, -v10, v13, v11
	v_fmac_f32_e32 v13, v14, v12
	v_fma_f32 v10, -v10, v13, v11
	v_div_fmas_f32 v10, v10, v12, v13
	v_div_fixup_f32 v6, v10, v6, v9
	ds_write_b32 v3, v6 offset:20
	s_waitcnt lgkmcnt(0)
	ds_read_b32 v3, v5 offset:20
	ds_read_b32 v5, v8
	s_waitcnt lgkmcnt(0)
	v_fmac_f32_e32 v5, v6, v3
	ds_write_b32 v8, v5
.LBB7_105:
	s_or_b64 exec, exec, s[0:1]
	s_waitcnt lgkmcnt(0)
	ds_read_b32 v2, v2
	s_andn2_b64 vcc, exec, s[4:5]
	s_cbranch_vccnz .LBB7_107
; %bb.106:
	v_mad_u32_u24 v7, v0, 6, v1
.LBB7_107:
	v_add_u32_e32 v5, s30, v7
	v_ashrrev_i32_e32 v6, 31, v5
	v_lshlrev_b64 v[5:6], 2, v[5:6]
	v_mov_b32_e32 v3, s21
	v_add_co_u32_e32 v5, vcc, s20, v5
	v_addc_co_u32_e32 v6, vcc, v3, v6, vcc
	v_cmp_eq_u32_e32 vcc, 0, v4
	s_waitcnt lgkmcnt(0)
	global_store_dword v[5:6], v2, off
	s_and_saveexec_b64 s[0:1], vcc
	s_cbranch_execz .LBB7_109
; %bb.108:
	s_add_u32 s2, s10, s6
	s_addc_u32 s3, s11, s7
	v_mov_b32_e32 v2, 0
	v_mov_b32_e32 v3, 1
	s_waitcnt vmcnt(0)
	global_store_dword v2, v3, s[2:3]
.LBB7_109:
	s_or_b64 exec, exec, s[0:1]
.LBB7_110:
	s_endpgm
.LBB7_111:
	s_cbranch_execz .LBB7_110
; %bb.112:
	v_or_b32_e32 v0, v0, v1
	v_cmp_eq_u32_e32 vcc, 0, v0
	s_and_saveexec_b64 s[0:1], vcc
	s_cbranch_execz .LBB7_110
; %bb.113:
	v_mbcnt_lo_u32_b32 v0, exec_lo, 0
	v_mbcnt_hi_u32_b32 v0, exec_hi, v0
	v_cmp_eq_u32_e32 vcc, 0, v0
	s_and_saveexec_b64 s[0:1], vcc
	s_cbranch_execz .LBB7_115
; %bb.114:
	s_add_i32 s2, s12, s13
	v_mov_b32_e32 v0, 0
	v_mov_b32_e32 v1, s2
	global_atomic_smin v0, v1, s[14:15]
.LBB7_115:
	s_or_b64 exec, exec, s[0:1]
	s_add_u32 s0, s10, s6
	s_addc_u32 s1, s11, s7
	v_mov_b32_e32 v0, 0
	v_mov_b32_e32 v1, 1
	s_waitcnt vmcnt(0)
	global_store_dword v0, v1, s[0:1]
	s_endpgm
	.section	.rodata,"a",@progbits
	.p2align	6, 0x0
	.amdhsa_kernel _ZN9rocsparseL26bsric0_2_8_unrolled_kernelILi36ELi32ELi6EfEEv20rocsparse_direction_iiPKiS3_PT2_S3_PiS3_S6_21rocsparse_index_base_
		.amdhsa_group_segment_fixed_size 1088
		.amdhsa_private_segment_fixed_size 0
		.amdhsa_kernarg_size 76
		.amdhsa_user_sgpr_count 6
		.amdhsa_user_sgpr_private_segment_buffer 1
		.amdhsa_user_sgpr_dispatch_ptr 0
		.amdhsa_user_sgpr_queue_ptr 0
		.amdhsa_user_sgpr_kernarg_segment_ptr 1
		.amdhsa_user_sgpr_dispatch_id 0
		.amdhsa_user_sgpr_flat_scratch_init 0
		.amdhsa_user_sgpr_private_segment_size 0
		.amdhsa_uses_dynamic_stack 0
		.amdhsa_system_sgpr_private_segment_wavefront_offset 0
		.amdhsa_system_sgpr_workgroup_id_x 1
		.amdhsa_system_sgpr_workgroup_id_y 0
		.amdhsa_system_sgpr_workgroup_id_z 0
		.amdhsa_system_sgpr_workgroup_info 0
		.amdhsa_system_vgpr_workitem_id 1
		.amdhsa_next_free_vgpr 46
		.amdhsa_next_free_sgpr 40
		.amdhsa_reserve_vcc 1
		.amdhsa_reserve_flat_scratch 0
		.amdhsa_float_round_mode_32 0
		.amdhsa_float_round_mode_16_64 0
		.amdhsa_float_denorm_mode_32 3
		.amdhsa_float_denorm_mode_16_64 3
		.amdhsa_dx10_clamp 1
		.amdhsa_ieee_mode 1
		.amdhsa_fp16_overflow 0
		.amdhsa_exception_fp_ieee_invalid_op 0
		.amdhsa_exception_fp_denorm_src 0
		.amdhsa_exception_fp_ieee_div_zero 0
		.amdhsa_exception_fp_ieee_overflow 0
		.amdhsa_exception_fp_ieee_underflow 0
		.amdhsa_exception_fp_ieee_inexact 0
		.amdhsa_exception_int_div_zero 0
	.end_amdhsa_kernel
	.section	.text._ZN9rocsparseL26bsric0_2_8_unrolled_kernelILi36ELi32ELi6EfEEv20rocsparse_direction_iiPKiS3_PT2_S3_PiS3_S6_21rocsparse_index_base_,"axG",@progbits,_ZN9rocsparseL26bsric0_2_8_unrolled_kernelILi36ELi32ELi6EfEEv20rocsparse_direction_iiPKiS3_PT2_S3_PiS3_S6_21rocsparse_index_base_,comdat
.Lfunc_end7:
	.size	_ZN9rocsparseL26bsric0_2_8_unrolled_kernelILi36ELi32ELi6EfEEv20rocsparse_direction_iiPKiS3_PT2_S3_PiS3_S6_21rocsparse_index_base_, .Lfunc_end7-_ZN9rocsparseL26bsric0_2_8_unrolled_kernelILi36ELi32ELi6EfEEv20rocsparse_direction_iiPKiS3_PT2_S3_PiS3_S6_21rocsparse_index_base_
                                        ; -- End function
	.set _ZN9rocsparseL26bsric0_2_8_unrolled_kernelILi36ELi32ELi6EfEEv20rocsparse_direction_iiPKiS3_PT2_S3_PiS3_S6_21rocsparse_index_base_.num_vgpr, 46
	.set _ZN9rocsparseL26bsric0_2_8_unrolled_kernelILi36ELi32ELi6EfEEv20rocsparse_direction_iiPKiS3_PT2_S3_PiS3_S6_21rocsparse_index_base_.num_agpr, 0
	.set _ZN9rocsparseL26bsric0_2_8_unrolled_kernelILi36ELi32ELi6EfEEv20rocsparse_direction_iiPKiS3_PT2_S3_PiS3_S6_21rocsparse_index_base_.numbered_sgpr, 40
	.set _ZN9rocsparseL26bsric0_2_8_unrolled_kernelILi36ELi32ELi6EfEEv20rocsparse_direction_iiPKiS3_PT2_S3_PiS3_S6_21rocsparse_index_base_.num_named_barrier, 0
	.set _ZN9rocsparseL26bsric0_2_8_unrolled_kernelILi36ELi32ELi6EfEEv20rocsparse_direction_iiPKiS3_PT2_S3_PiS3_S6_21rocsparse_index_base_.private_seg_size, 0
	.set _ZN9rocsparseL26bsric0_2_8_unrolled_kernelILi36ELi32ELi6EfEEv20rocsparse_direction_iiPKiS3_PT2_S3_PiS3_S6_21rocsparse_index_base_.uses_vcc, 1
	.set _ZN9rocsparseL26bsric0_2_8_unrolled_kernelILi36ELi32ELi6EfEEv20rocsparse_direction_iiPKiS3_PT2_S3_PiS3_S6_21rocsparse_index_base_.uses_flat_scratch, 0
	.set _ZN9rocsparseL26bsric0_2_8_unrolled_kernelILi36ELi32ELi6EfEEv20rocsparse_direction_iiPKiS3_PT2_S3_PiS3_S6_21rocsparse_index_base_.has_dyn_sized_stack, 0
	.set _ZN9rocsparseL26bsric0_2_8_unrolled_kernelILi36ELi32ELi6EfEEv20rocsparse_direction_iiPKiS3_PT2_S3_PiS3_S6_21rocsparse_index_base_.has_recursion, 0
	.set _ZN9rocsparseL26bsric0_2_8_unrolled_kernelILi36ELi32ELi6EfEEv20rocsparse_direction_iiPKiS3_PT2_S3_PiS3_S6_21rocsparse_index_base_.has_indirect_call, 0
	.section	.AMDGPU.csdata,"",@progbits
; Kernel info:
; codeLenInByte = 6244
; TotalNumSgprs: 44
; NumVgprs: 46
; ScratchSize: 0
; MemoryBound: 0
; FloatMode: 240
; IeeeMode: 1
; LDSByteSize: 1088 bytes/workgroup (compile time only)
; SGPRBlocks: 5
; VGPRBlocks: 11
; NumSGPRsForWavesPerEU: 44
; NumVGPRsForWavesPerEU: 46
; Occupancy: 5
; WaveLimiterHint : 1
; COMPUTE_PGM_RSRC2:SCRATCH_EN: 0
; COMPUTE_PGM_RSRC2:USER_SGPR: 6
; COMPUTE_PGM_RSRC2:TRAP_HANDLER: 0
; COMPUTE_PGM_RSRC2:TGID_X_EN: 1
; COMPUTE_PGM_RSRC2:TGID_Y_EN: 0
; COMPUTE_PGM_RSRC2:TGID_Z_EN: 0
; COMPUTE_PGM_RSRC2:TIDIG_COMP_CNT: 1
	.section	.text._ZN9rocsparseL26bsric0_2_8_unrolled_kernelILi49ELi32ELi7EfEEv20rocsparse_direction_iiPKiS3_PT2_S3_PiS3_S6_21rocsparse_index_base_,"axG",@progbits,_ZN9rocsparseL26bsric0_2_8_unrolled_kernelILi49ELi32ELi7EfEEv20rocsparse_direction_iiPKiS3_PT2_S3_PiS3_S6_21rocsparse_index_base_,comdat
	.globl	_ZN9rocsparseL26bsric0_2_8_unrolled_kernelILi49ELi32ELi7EfEEv20rocsparse_direction_iiPKiS3_PT2_S3_PiS3_S6_21rocsparse_index_base_ ; -- Begin function _ZN9rocsparseL26bsric0_2_8_unrolled_kernelILi49ELi32ELi7EfEEv20rocsparse_direction_iiPKiS3_PT2_S3_PiS3_S6_21rocsparse_index_base_
	.p2align	8
	.type	_ZN9rocsparseL26bsric0_2_8_unrolled_kernelILi49ELi32ELi7EfEEv20rocsparse_direction_iiPKiS3_PT2_S3_PiS3_S6_21rocsparse_index_base_,@function
_ZN9rocsparseL26bsric0_2_8_unrolled_kernelILi49ELi32ELi7EfEEv20rocsparse_direction_iiPKiS3_PT2_S3_PiS3_S6_21rocsparse_index_base_: ; @_ZN9rocsparseL26bsric0_2_8_unrolled_kernelILi49ELi32ELi7EfEEv20rocsparse_direction_iiPKiS3_PT2_S3_PiS3_S6_21rocsparse_index_base_
; %bb.0:
	s_load_dwordx8 s[8:15], s[4:5], 0x28
	s_mov_b32 s7, 0
	s_lshl_b64 s[0:1], s[6:7], 2
	s_waitcnt lgkmcnt(0)
	s_add_u32 s0, s12, s0
	s_addc_u32 s1, s13, s1
	s_load_dword s12, s[0:1], 0x0
	s_waitcnt lgkmcnt(0)
	s_ashr_i32 s13, s12, 31
	s_lshl_b64 s[6:7], s[12:13], 2
	s_add_u32 s0, s8, s6
	s_addc_u32 s1, s9, s7
	s_load_dword s30, s[0:1], 0x0
	s_load_dword s13, s[4:5], 0x48
	s_waitcnt lgkmcnt(0)
	s_cmp_lg_u32 s30, -1
	s_cbranch_scc0 .LBB8_123
; %bb.1:
	s_load_dwordx4 s[16:19], s[4:5], 0x10
	s_load_dwordx2 s[20:21], s[4:5], 0x20
	v_mad_u32_u24 v7, v1, 7, v0
	s_waitcnt lgkmcnt(0)
	s_add_u32 s0, s16, s6
	s_addc_u32 s1, s17, s7
	s_load_dword s0, s[0:1], 0x0
	s_waitcnt lgkmcnt(0)
	s_sub_i32 s31, s0, s13
	v_add_u32_e32 v2, s31, v7
	v_cmp_ge_i32_e32 vcc, s30, v2
	s_and_saveexec_b64 s[0:1], vcc
	s_cbranch_execz .LBB8_4
; %bb.2:
	v_mov_b32_e32 v3, 0x480
	v_lshl_add_u32 v5, v7, 2, v3
	v_ashrrev_i32_e32 v3, 31, v2
	v_lshlrev_b64 v[3:4], 2, v[2:3]
	v_mov_b32_e32 v6, s19
	v_add_co_u32_e32 v3, vcc, s18, v3
	v_addc_co_u32_e32 v4, vcc, v6, v4, vcc
	s_mov_b64 s[2:3], 0
.LBB8_3:                                ; =>This Inner Loop Header: Depth=1
	global_load_dword v6, v[3:4], off
	v_add_co_u32_e32 v3, vcc, 0xc4, v3
	v_add_u32_e32 v2, 49, v2
	v_addc_co_u32_e32 v4, vcc, 0, v4, vcc
	v_cmp_lt_i32_e32 vcc, s30, v2
	s_or_b64 s[2:3], vcc, s[2:3]
	s_waitcnt vmcnt(0)
	v_subrev_u32_e32 v6, s13, v6
	ds_write_b32 v5, v6
	v_add_u32_e32 v5, 0xc4, v5
	s_andn2_b64 exec, exec, s[2:3]
	s_cbranch_execnz .LBB8_3
.LBB8_4:
	s_or_b64 exec, exec, s[0:1]
	s_load_dword s33, s[4:5], 0x0
	v_mov_b32_e32 v2, 0x2a0
	v_lshl_add_u32 v9, v1, 5, v2
	v_lshl_add_u32 v8, v0, 2, v9
	v_mov_b32_e32 v10, 0
	s_cmp_ge_i32 s31, s30
	ds_write_b32 v8, v10
	s_waitcnt lgkmcnt(0)
	s_cbranch_scc1 .LBB8_59
; %bb.5:
	s_cmp_lg_u32 s33, 0
	v_lshlrev_b32_e32 v3, 5, v1
	v_lshlrev_b32_e32 v4, 2, v0
	s_cselect_b64 s[2:3], -1, 0
	s_cmp_eq_u32 s33, 0
	v_add_u32_e32 v11, 0x1c0, v3
	v_add_u32_e32 v13, v3, v4
	v_add_u32_e32 v14, 0xe0, v3
	v_mov_b32_e32 v3, 0x1c0
	v_mad_u32_u24 v2, v0, 7, v1
	v_lshl_add_u32 v16, v0, 5, v3
	v_or_b32_e32 v3, v0, v1
	s_cselect_b64 vcc, -1, 0
	v_add_u32_e32 v12, v11, v4
	v_add_u32_e32 v15, v14, v4
	v_cmp_ne_u32_e64 s[0:1], 0, v3
	v_cndmask_b32_e32 v2, v2, v7, vcc
	s_mov_b32 s4, s31
	s_branch .LBB8_8
.LBB8_6:                                ;   in Loop: Header=BB8_8 Depth=1
	s_or_b64 exec, exec, s[24:25]
	v_mov_b32_e32 v6, 1.0
.LBB8_7:                                ;   in Loop: Header=BB8_8 Depth=1
	s_or_b64 exec, exec, s[22:23]
	ds_read_b128 v[17:20], v11
	ds_read_b128 v[21:24], v10 offset:192
	ds_read_b32 v29, v14 offset:24
	ds_read_b64 v[25:26], v10 offset:208
	ds_read_b64 v[27:28], v11 offset:16
	s_add_i32 s4, s4, 1
	s_cmp_ge_i32 s4, s30
	s_waitcnt lgkmcnt(2)
	v_fmac_f32_e32 v29, v21, v17
	v_fmac_f32_e32 v29, v22, v18
	;; [unrolled: 1-line block ×4, first 2 shown]
	s_waitcnt lgkmcnt(0)
	v_fmac_f32_e32 v29, v25, v27
	v_fmac_f32_e32 v29, v26, v28
	v_sub_f32_e32 v5, v5, v29
	v_div_scale_f32 v17, s[22:23], v6, v6, v5
	v_div_scale_f32 v18, vcc, v5, v6, v5
	s_cselect_b64 s[22:23], -1, 0
	v_rcp_f32_e32 v19, v17
	v_fma_f32 v20, -v17, v19, 1.0
	v_fmac_f32_e32 v19, v20, v19
	v_mul_f32_e32 v20, v18, v19
	v_fma_f32 v21, -v17, v20, v18
	v_fmac_f32_e32 v20, v21, v19
	v_fma_f32 v17, -v17, v20, v18
	v_div_fmas_f32 v17, v17, v19, v20
	v_div_fixup_f32 v5, v17, v6, v5
	ds_write_b32 v11, v5 offset:24
	s_waitcnt lgkmcnt(0)
	ds_read_b32 v6, v16 offset:24
	ds_read_b32 v17, v8
	s_waitcnt lgkmcnt(0)
	v_fmac_f32_e32 v17, v5, v6
	ds_write_b32 v8, v17
	s_waitcnt lgkmcnt(0)
	ds_read_b32 v5, v12
	s_waitcnt lgkmcnt(0)
	global_store_dword v[3:4], v5, off
	s_waitcnt vmcnt(0)
	buffer_wbinvl1_vol
	s_and_b64 vcc, exec, s[22:23]
	s_cbranch_vccnz .LBB8_59
.LBB8_8:                                ; =>This Loop Header: Depth=1
                                        ;     Child Loop BB8_11 Depth 2
                                        ;     Child Loop BB8_22 Depth 2
	;; [unrolled: 1-line block ×3, first 2 shown]
	s_ashr_i32 s5, s4, 31
	s_lshl_b64 s[22:23], s[4:5], 2
	s_add_u32 s22, s18, s22
	s_addc_u32 s23, s19, s23
	s_load_dword s5, s[22:23], 0x0
	s_waitcnt lgkmcnt(0)
	s_sub_i32 s24, s5, s13
	s_ashr_i32 s25, s24, 31
	s_lshl_b64 s[22:23], s[24:25], 2
	s_add_u32 s26, s8, s22
	s_addc_u32 s27, s9, s23
	s_load_dword s25, s[26:27], 0x0
	s_waitcnt lgkmcnt(0)
	s_cmp_eq_u32 s25, -1
	s_cbranch_scc1 .LBB8_58
; %bb.9:                                ;   in Loop: Header=BB8_8 Depth=1
	v_mad_u64_u32 v[3:4], s[26:27], s4, 49, v[2:3]
	v_mov_b32_e32 v5, s21
	s_add_u32 s26, s16, s22
	v_ashrrev_i32_e32 v4, 31, v3
	v_lshlrev_b64 v[3:4], 2, v[3:4]
	s_addc_u32 s27, s17, s23
	v_add_co_u32_e32 v3, vcc, s20, v3
	v_addc_co_u32_e32 v4, vcc, v5, v4, vcc
	global_load_dword v5, v[3:4], off
	s_load_dword s26, s[26:27], 0x0
	ds_read_b32 v6, v10 offset:1152
	s_mov_b32 s27, 0
	s_waitcnt lgkmcnt(0)
	s_sub_i32 s26, s26, s13
	s_cmp_le_i32 s26, s25
	v_cmp_ge_i32_e32 vcc, s24, v6
	s_cselect_b64 s[28:29], -1, 0
	s_and_b64 s[28:29], s[28:29], vcc
	s_andn2_b64 vcc, exec, s[28:29]
	s_waitcnt vmcnt(0)
	ds_write_b32 v12, v5
	s_cbranch_vccnz .LBB8_21
; %bb.10:                               ;   in Loop: Header=BB8_8 Depth=1
	s_mov_b32 s34, 0
	s_mov_b32 s35, 0
.LBB8_11:                               ;   Parent Loop BB8_8 Depth=1
                                        ; =>  This Inner Loop Header: Depth=2
	s_ashr_i32 s27, s26, 31
	s_lshl_b64 s[28:29], s[26:27], 2
	s_add_u32 s28, s18, s28
	s_addc_u32 s29, s19, s29
	s_load_dword s27, s[28:29], 0x0
	s_lshl_b32 s28, s35, 2
	v_mov_b32_e32 v5, s28
	ds_read_b32 v5, v5 offset:1152
	s_mov_b64 s[28:29], -1
	s_waitcnt lgkmcnt(0)
	s_sub_i32 s39, s27, s13
                                        ; implicit-def: $sgpr27
                                        ; implicit-def: $sgpr38
                                        ; implicit-def: $sgpr37
	v_cmp_ge_i32_e32 vcc, s39, v5
	v_readfirstlane_b32 s36, v5
	s_cbranch_vccz .LBB8_17
; %bb.12:                               ;   in Loop: Header=BB8_11 Depth=2
	s_cmp_le_i32 s39, s36
                                        ; implicit-def: $sgpr27
                                        ; implicit-def: $sgpr38
                                        ; implicit-def: $sgpr37
	s_cbranch_scc0 .LBB8_14
; %bb.13:                               ;   in Loop: Header=BB8_11 Depth=2
	s_add_i32 s27, s35, s31
	s_mul_i32 s27, s27, 49
	s_lshl_b32 s28, s34, 2
	v_mov_b32_e32 v5, s28
	v_mov_b32_e32 v6, s27
	s_mul_i32 s27, s26, 49
	v_mov_b32_e32 v17, s27
	v_add_u32_e32 v5, 0x200, v5
	ds_write2_b32 v5, v17, v6 offset0:96 offset1:128
	s_add_i32 s37, s35, 1
	s_add_i32 s38, s26, 1
	s_add_i32 s27, s34, 1
	s_mov_b64 s[28:29], 0
.LBB8_14:                               ;   in Loop: Header=BB8_11 Depth=2
	s_andn2_b64 vcc, exec, s[28:29]
	s_cbranch_vccnz .LBB8_16
; %bb.15:                               ;   in Loop: Header=BB8_11 Depth=2
	s_add_i32 s37, s35, 1
	s_mov_b32 s27, s34
	s_mov_b32 s38, s26
.LBB8_16:                               ;   in Loop: Header=BB8_11 Depth=2
	s_mov_b64 s[28:29], 0
.LBB8_17:                               ;   in Loop: Header=BB8_11 Depth=2
	s_andn2_b64 vcc, exec, s[28:29]
	s_cbranch_vccnz .LBB8_19
; %bb.18:                               ;   in Loop: Header=BB8_11 Depth=2
	s_add_i32 s38, s26, 1
	s_mov_b32 s37, s35
	s_mov_b32 s27, s34
.LBB8_19:                               ;   in Loop: Header=BB8_11 Depth=2
	s_cmp_le_i32 s38, s25
	s_cselect_b64 s[28:29], -1, 0
	s_cmp_le_i32 s36, s24
	s_cselect_b64 s[34:35], -1, 0
	s_and_b64 s[28:29], s[28:29], s[34:35]
	s_and_b64 vcc, exec, s[28:29]
	s_cbranch_vccz .LBB8_21
; %bb.20:                               ;   in Loop: Header=BB8_11 Depth=2
	s_mov_b32 s34, s27
	s_mov_b32 s26, s38
	;; [unrolled: 1-line block ×3, first 2 shown]
	s_branch .LBB8_11
.LBB8_21:                               ;   in Loop: Header=BB8_8 Depth=1
	s_add_u32 s22, s10, s22
	s_addc_u32 s23, s11, s23
	s_waitcnt lgkmcnt(0)
.LBB8_22:                               ;   Parent Loop BB8_8 Depth=1
                                        ; =>  This Inner Loop Header: Depth=2
	global_load_dword v5, v10, s[22:23] glc
	s_waitcnt vmcnt(0)
	v_cmp_eq_u32_e32 vcc, 0, v5
	s_cbranch_vccnz .LBB8_22
; %bb.23:                               ;   in Loop: Header=BB8_8 Depth=1
	v_mad_u64_u32 v[5:6], s[22:23], s25, 49, v[2:3]
	v_mov_b32_e32 v17, s21
	buffer_wbinvl1_vol
	v_ashrrev_i32_e32 v6, 31, v5
	v_lshlrev_b64 v[5:6], 2, v[5:6]
	s_cmp_lt_i32 s27, 2
	v_add_co_u32_e32 v5, vcc, s20, v5
	v_addc_co_u32_e32 v6, vcc, v17, v6, vcc
	global_load_dword v5, v[5:6], off
	v_mov_b32_e32 v18, 0
	s_waitcnt vmcnt(0)
	ds_write_b32 v13, v5
	s_waitcnt lgkmcnt(0)
	s_cbranch_scc1 .LBB8_31
; %bb.24:                               ;   in Loop: Header=BB8_8 Depth=1
	s_add_i32 s24, s27, -1
	v_mov_b32_e32 v17, 0
	s_movk_i32 s25, 0x380
.LBB8_25:                               ;   Parent Loop BB8_8 Depth=1
                                        ; =>  This Inner Loop Header: Depth=2
	s_waitcnt lgkmcnt(0)
	v_mov_b32_e32 v5, s25
	ds_read2_b32 v[5:6], v5 offset1:32
	s_mov_b64 s[22:23], -1
	s_and_b64 vcc, exec, s[2:3]
                                        ; implicit-def: $vgpr18
	s_cbranch_vccz .LBB8_28
; %bb.26:                               ;   in Loop: Header=BB8_25 Depth=2
	s_waitcnt lgkmcnt(0)
	v_add_u32_e32 v18, v5, v0
	v_ashrrev_i32_e32 v19, 31, v18
	v_lshlrev_b64 v[19:20], 2, v[18:19]
	v_mov_b32_e32 v21, s21
	v_add_co_u32_e32 v19, vcc, s20, v19
	v_addc_co_u32_e32 v20, vcc, v21, v20, vcc
	v_add_u32_e32 v21, v6, v1
	v_ashrrev_i32_e32 v22, 31, v21
	v_lshlrev_b64 v[22:23], 2, v[21:22]
	v_mov_b32_e32 v24, s21
	v_add_co_u32_e32 v22, vcc, s20, v22
	v_addc_co_u32_e32 v23, vcc, v24, v23, vcc
	;; [unrolled: 6-line block ×8, first 2 shown]
	global_load_dword v36, v[19:20], off
	global_load_dword v37, v[22:23], off
	;; [unrolled: 1-line block ×8, first 2 shown]
	v_add_u32_e32 v19, 28, v18
	v_ashrrev_i32_e32 v20, 31, v19
	v_lshlrev_b64 v[19:20], 2, v[19:20]
	v_mov_b32_e32 v22, s21
	v_add_co_u32_e32 v19, vcc, s20, v19
	v_addc_co_u32_e32 v20, vcc, v22, v20, vcc
	v_add_u32_e32 v22, 28, v21
	v_ashrrev_i32_e32 v23, 31, v22
	v_lshlrev_b64 v[22:23], 2, v[22:23]
	v_mov_b32_e32 v24, s21
	v_add_co_u32_e32 v22, vcc, s20, v22
	v_addc_co_u32_e32 v23, vcc, v24, v23, vcc
	;; [unrolled: 6-line block ×4, first 2 shown]
	v_add_u32_e32 v28, 42, v18
	v_ashrrev_i32_e32 v29, 31, v28
	v_lshlrev_b64 v[28:29], 2, v[28:29]
	v_add_u32_e32 v30, 42, v21
	v_ashrrev_i32_e32 v31, 31, v30
	v_mov_b32_e32 v18, s21
	v_add_co_u32_e32 v28, vcc, s20, v28
	v_lshlrev_b64 v[30:31], 2, v[30:31]
	v_addc_co_u32_e32 v29, vcc, v18, v29, vcc
	v_add_co_u32_e32 v30, vcc, s20, v30
	v_addc_co_u32_e32 v31, vcc, v18, v31, vcc
	global_load_dword v21, v[19:20], off
	global_load_dword v32, v[22:23], off
	;; [unrolled: 1-line block ×6, first 2 shown]
	s_waitcnt vmcnt(12)
	v_fma_f32 v18, v36, v37, v17
	s_waitcnt vmcnt(10)
	v_fmac_f32_e32 v18, v38, v39
	s_waitcnt vmcnt(8)
	v_fmac_f32_e32 v18, v40, v41
	;; [unrolled: 2-line block ×6, first 2 shown]
	s_cbranch_execz .LBB8_29
.LBB8_27:                               ;   in Loop: Header=BB8_25 Depth=2
	s_add_i32 s24, s24, -1
	s_add_i32 s25, s25, 4
	s_cmp_eq_u32 s24, 0
	s_cbranch_scc0 .LBB8_30
	s_branch .LBB8_31
.LBB8_28:                               ;   in Loop: Header=BB8_25 Depth=2
	s_andn2_b64 vcc, exec, s[22:23]
	s_cbranch_vccnz .LBB8_27
.LBB8_29:                               ;   in Loop: Header=BB8_25 Depth=2
	v_mul_u32_u24_e32 v18, 7, v0
	s_waitcnt lgkmcnt(0)
	v_add_u32_e32 v18, v5, v18
	v_ashrrev_i32_e32 v19, 31, v18
	v_lshlrev_b64 v[18:19], 2, v[18:19]
	v_mov_b32_e32 v5, s21
	v_add_co_u32_e32 v32, vcc, s20, v18
	v_addc_co_u32_e32 v33, vcc, v5, v19, vcc
	v_mul_u32_u24_e32 v5, 7, v1
	v_add_u32_e32 v5, v6, v5
	v_ashrrev_i32_e32 v6, 31, v5
	v_lshlrev_b64 v[5:6], 2, v[5:6]
	v_mov_b32_e32 v18, s21
	v_add_co_u32_e32 v5, vcc, s20, v5
	v_addc_co_u32_e32 v6, vcc, v18, v6, vcc
	global_load_dwordx4 v[18:21], v[5:6], off
	global_load_dwordx4 v[22:25], v[32:33], off
	global_load_dwordx3 v[26:28], v[32:33], off offset:16
	global_load_dwordx3 v[29:31], v[5:6], off offset:16
	s_waitcnt vmcnt(2)
	v_fmac_f32_e32 v17, v22, v18
	v_fmac_f32_e32 v17, v23, v19
	;; [unrolled: 1-line block ×4, first 2 shown]
	s_waitcnt vmcnt(0)
	v_fmac_f32_e32 v17, v26, v29
	v_fmac_f32_e32 v17, v27, v30
	;; [unrolled: 1-line block ×3, first 2 shown]
	v_mov_b32_e32 v18, v17
	s_add_i32 s24, s24, -1
	s_add_i32 s25, s25, 4
	s_cmp_eq_u32 s24, 0
	s_cbranch_scc1 .LBB8_31
.LBB8_30:                               ;   in Loop: Header=BB8_25 Depth=2
	v_mov_b32_e32 v17, v18
	s_branch .LBB8_25
.LBB8_31:                               ;   in Loop: Header=BB8_8 Depth=1
	ds_write_b32 v15, v18
	s_waitcnt lgkmcnt(0)
	ds_read_b32 v6, v10
	ds_read_b32 v5, v11
	s_waitcnt lgkmcnt(1)
	v_cmp_neq_f32_e32 vcc, 0, v6
	v_cndmask_b32_e32 v6, 1.0, v6, vcc
	s_nor_b64 s[24:25], vcc, s[0:1]
	s_and_saveexec_b64 s[22:23], s[24:25]
	s_cbranch_execz .LBB8_35
; %bb.32:                               ;   in Loop: Header=BB8_8 Depth=1
	v_mbcnt_lo_u32_b32 v6, exec_lo, 0
	v_mbcnt_hi_u32_b32 v6, exec_hi, v6
	v_cmp_eq_u32_e32 vcc, 0, v6
	s_and_saveexec_b64 s[24:25], vcc
	s_cbranch_execz .LBB8_34
; %bb.33:                               ;   in Loop: Header=BB8_8 Depth=1
	v_mov_b32_e32 v6, s5
	global_atomic_smin v10, v6, s[14:15]
.LBB8_34:                               ;   in Loop: Header=BB8_8 Depth=1
	s_or_b64 exec, exec, s[24:25]
	v_mov_b32_e32 v6, 1.0
.LBB8_35:                               ;   in Loop: Header=BB8_8 Depth=1
	s_or_b64 exec, exec, s[22:23]
	ds_read_b32 v17, v14
	s_waitcnt lgkmcnt(0)
	v_sub_f32_e32 v5, v5, v17
	v_div_scale_f32 v17, s[22:23], v6, v6, v5
	v_div_scale_f32 v18, vcc, v5, v6, v5
	v_rcp_f32_e32 v19, v17
	v_fma_f32 v20, -v17, v19, 1.0
	v_fmac_f32_e32 v19, v20, v19
	v_mul_f32_e32 v20, v18, v19
	v_fma_f32 v21, -v17, v20, v18
	v_fmac_f32_e32 v20, v21, v19
	v_fma_f32 v17, -v17, v20, v18
	v_div_fmas_f32 v17, v17, v19, v20
	v_div_fixup_f32 v5, v17, v6, v5
	ds_write_b32 v11, v5
	s_waitcnt lgkmcnt(0)
	ds_read_b32 v6, v16
	ds_read_b32 v17, v8
	s_waitcnt lgkmcnt(0)
	v_fmac_f32_e32 v17, v5, v6
	ds_write_b32 v8, v17
	s_waitcnt lgkmcnt(0)
	ds_read_b32 v6, v10 offset:36
	ds_read_b32 v5, v11 offset:4
	s_waitcnt lgkmcnt(1)
	v_cmp_neq_f32_e32 vcc, 0, v6
	v_cndmask_b32_e32 v6, 1.0, v6, vcc
	s_nor_b64 s[24:25], vcc, s[0:1]
	s_and_saveexec_b64 s[22:23], s[24:25]
	s_cbranch_execz .LBB8_39
; %bb.36:                               ;   in Loop: Header=BB8_8 Depth=1
	v_mbcnt_lo_u32_b32 v6, exec_lo, 0
	v_mbcnt_hi_u32_b32 v6, exec_hi, v6
	v_cmp_eq_u32_e32 vcc, 0, v6
	s_and_saveexec_b64 s[24:25], vcc
	s_cbranch_execz .LBB8_38
; %bb.37:                               ;   in Loop: Header=BB8_8 Depth=1
	v_mov_b32_e32 v6, s5
	global_atomic_smin v10, v6, s[14:15]
.LBB8_38:                               ;   in Loop: Header=BB8_8 Depth=1
	s_or_b64 exec, exec, s[24:25]
	v_mov_b32_e32 v6, 1.0
.LBB8_39:                               ;   in Loop: Header=BB8_8 Depth=1
	s_or_b64 exec, exec, s[22:23]
	ds_read_b32 v17, v10 offset:32
	ds_read_b32 v18, v11
	ds_read_b32 v19, v14 offset:4
	s_waitcnt lgkmcnt(0)
	v_fmac_f32_e32 v19, v17, v18
	v_sub_f32_e32 v5, v5, v19
	v_div_scale_f32 v17, s[22:23], v6, v6, v5
	v_div_scale_f32 v18, vcc, v5, v6, v5
	v_rcp_f32_e32 v19, v17
	v_fma_f32 v20, -v17, v19, 1.0
	v_fmac_f32_e32 v19, v20, v19
	v_mul_f32_e32 v20, v18, v19
	v_fma_f32 v21, -v17, v20, v18
	v_fmac_f32_e32 v20, v21, v19
	v_fma_f32 v17, -v17, v20, v18
	v_div_fmas_f32 v17, v17, v19, v20
	v_div_fixup_f32 v5, v17, v6, v5
	ds_write_b32 v11, v5 offset:4
	s_waitcnt lgkmcnt(0)
	ds_read_b32 v6, v16 offset:4
	ds_read_b32 v17, v8
	s_waitcnt lgkmcnt(0)
	v_fmac_f32_e32 v17, v5, v6
	ds_write_b32 v8, v17
	s_waitcnt lgkmcnt(0)
	ds_read_b32 v6, v10 offset:72
	ds_read_b32 v5, v11 offset:8
	s_waitcnt lgkmcnt(1)
	v_cmp_neq_f32_e32 vcc, 0, v6
	v_cndmask_b32_e32 v6, 1.0, v6, vcc
	s_nor_b64 s[24:25], vcc, s[0:1]
	s_and_saveexec_b64 s[22:23], s[24:25]
	s_cbranch_execz .LBB8_43
; %bb.40:                               ;   in Loop: Header=BB8_8 Depth=1
	v_mbcnt_lo_u32_b32 v6, exec_lo, 0
	v_mbcnt_hi_u32_b32 v6, exec_hi, v6
	v_cmp_eq_u32_e32 vcc, 0, v6
	s_and_saveexec_b64 s[24:25], vcc
	s_cbranch_execz .LBB8_42
; %bb.41:                               ;   in Loop: Header=BB8_8 Depth=1
	v_mov_b32_e32 v6, s5
	global_atomic_smin v10, v6, s[14:15]
.LBB8_42:                               ;   in Loop: Header=BB8_8 Depth=1
	s_or_b64 exec, exec, s[24:25]
	v_mov_b32_e32 v6, 1.0
.LBB8_43:                               ;   in Loop: Header=BB8_8 Depth=1
	s_or_b64 exec, exec, s[22:23]
	ds_read_b64 v[17:18], v10 offset:64
	ds_read_b64 v[19:20], v11
	ds_read_b32 v21, v14 offset:8
	s_waitcnt lgkmcnt(0)
	v_fmac_f32_e32 v21, v17, v19
	v_fmac_f32_e32 v21, v18, v20
	v_sub_f32_e32 v5, v5, v21
	v_div_scale_f32 v17, s[22:23], v6, v6, v5
	v_div_scale_f32 v18, vcc, v5, v6, v5
	v_rcp_f32_e32 v19, v17
	v_fma_f32 v20, -v17, v19, 1.0
	v_fmac_f32_e32 v19, v20, v19
	v_mul_f32_e32 v20, v18, v19
	v_fma_f32 v21, -v17, v20, v18
	v_fmac_f32_e32 v20, v21, v19
	v_fma_f32 v17, -v17, v20, v18
	v_div_fmas_f32 v17, v17, v19, v20
	v_div_fixup_f32 v5, v17, v6, v5
	ds_write_b32 v11, v5 offset:8
	s_waitcnt lgkmcnt(0)
	ds_read_b32 v6, v16 offset:8
	ds_read_b32 v17, v8
	s_waitcnt lgkmcnt(0)
	v_fmac_f32_e32 v17, v5, v6
	ds_write_b32 v8, v17
	s_waitcnt lgkmcnt(0)
	ds_read_b32 v6, v10 offset:108
	ds_read_b32 v5, v11 offset:12
	s_waitcnt lgkmcnt(1)
	v_cmp_neq_f32_e32 vcc, 0, v6
	v_cndmask_b32_e32 v6, 1.0, v6, vcc
	s_nor_b64 s[24:25], vcc, s[0:1]
	s_and_saveexec_b64 s[22:23], s[24:25]
	s_cbranch_execz .LBB8_47
; %bb.44:                               ;   in Loop: Header=BB8_8 Depth=1
	v_mbcnt_lo_u32_b32 v6, exec_lo, 0
	v_mbcnt_hi_u32_b32 v6, exec_hi, v6
	v_cmp_eq_u32_e32 vcc, 0, v6
	s_and_saveexec_b64 s[24:25], vcc
	s_cbranch_execz .LBB8_46
; %bb.45:                               ;   in Loop: Header=BB8_8 Depth=1
	v_mov_b32_e32 v6, s5
	global_atomic_smin v10, v6, s[14:15]
.LBB8_46:                               ;   in Loop: Header=BB8_8 Depth=1
	s_or_b64 exec, exec, s[24:25]
	v_mov_b32_e32 v6, 1.0
.LBB8_47:                               ;   in Loop: Header=BB8_8 Depth=1
	s_or_b64 exec, exec, s[22:23]
	ds_read_b96 v[17:19], v10 offset:96
	ds_read_b96 v[20:22], v11
	ds_read_b32 v23, v14 offset:12
	s_waitcnt lgkmcnt(0)
	v_fmac_f32_e32 v23, v17, v20
	v_fmac_f32_e32 v23, v18, v21
	;; [unrolled: 1-line block ×3, first 2 shown]
	v_sub_f32_e32 v5, v5, v23
	v_div_scale_f32 v17, s[22:23], v6, v6, v5
	v_div_scale_f32 v18, vcc, v5, v6, v5
	v_rcp_f32_e32 v19, v17
	v_fma_f32 v20, -v17, v19, 1.0
	v_fmac_f32_e32 v19, v20, v19
	v_mul_f32_e32 v20, v18, v19
	v_fma_f32 v21, -v17, v20, v18
	v_fmac_f32_e32 v20, v21, v19
	v_fma_f32 v17, -v17, v20, v18
	v_div_fmas_f32 v17, v17, v19, v20
	v_div_fixup_f32 v5, v17, v6, v5
	ds_write_b32 v11, v5 offset:12
	s_waitcnt lgkmcnt(0)
	ds_read_b32 v6, v16 offset:12
	ds_read_b32 v17, v8
	s_waitcnt lgkmcnt(0)
	v_fmac_f32_e32 v17, v5, v6
	ds_write_b32 v8, v17
	s_waitcnt lgkmcnt(0)
	ds_read_b32 v6, v10 offset:144
	ds_read_b32 v5, v11 offset:16
	s_waitcnt lgkmcnt(1)
	v_cmp_neq_f32_e32 vcc, 0, v6
	v_cndmask_b32_e32 v6, 1.0, v6, vcc
	s_nor_b64 s[24:25], vcc, s[0:1]
	s_and_saveexec_b64 s[22:23], s[24:25]
	s_cbranch_execz .LBB8_51
; %bb.48:                               ;   in Loop: Header=BB8_8 Depth=1
	v_mbcnt_lo_u32_b32 v6, exec_lo, 0
	v_mbcnt_hi_u32_b32 v6, exec_hi, v6
	v_cmp_eq_u32_e32 vcc, 0, v6
	s_and_saveexec_b64 s[24:25], vcc
	s_cbranch_execz .LBB8_50
; %bb.49:                               ;   in Loop: Header=BB8_8 Depth=1
	v_mov_b32_e32 v6, s5
	global_atomic_smin v10, v6, s[14:15]
.LBB8_50:                               ;   in Loop: Header=BB8_8 Depth=1
	s_or_b64 exec, exec, s[24:25]
	v_mov_b32_e32 v6, 1.0
.LBB8_51:                               ;   in Loop: Header=BB8_8 Depth=1
	s_or_b64 exec, exec, s[22:23]
	ds_read_b128 v[17:20], v10 offset:128
	ds_read_b128 v[21:24], v11
	ds_read_b32 v25, v14 offset:16
	s_waitcnt lgkmcnt(0)
	v_fmac_f32_e32 v25, v17, v21
	v_fmac_f32_e32 v25, v18, v22
	;; [unrolled: 1-line block ×4, first 2 shown]
	v_sub_f32_e32 v5, v5, v25
	v_div_scale_f32 v17, s[22:23], v6, v6, v5
	v_div_scale_f32 v18, vcc, v5, v6, v5
	v_rcp_f32_e32 v19, v17
	v_fma_f32 v20, -v17, v19, 1.0
	v_fmac_f32_e32 v19, v20, v19
	v_mul_f32_e32 v20, v18, v19
	v_fma_f32 v21, -v17, v20, v18
	v_fmac_f32_e32 v20, v21, v19
	v_fma_f32 v17, -v17, v20, v18
	v_div_fmas_f32 v17, v17, v19, v20
	v_div_fixup_f32 v5, v17, v6, v5
	ds_write_b32 v11, v5 offset:16
	s_waitcnt lgkmcnt(0)
	ds_read_b32 v6, v16 offset:16
	ds_read_b32 v17, v8
	s_waitcnt lgkmcnt(0)
	v_fmac_f32_e32 v17, v5, v6
	ds_write_b32 v8, v17
	s_waitcnt lgkmcnt(0)
	ds_read_b32 v6, v10 offset:180
	ds_read_b32 v5, v11 offset:20
	s_waitcnt lgkmcnt(1)
	v_cmp_neq_f32_e32 vcc, 0, v6
	v_cndmask_b32_e32 v6, 1.0, v6, vcc
	s_nor_b64 s[24:25], vcc, s[0:1]
	s_and_saveexec_b64 s[22:23], s[24:25]
	s_cbranch_execz .LBB8_55
; %bb.52:                               ;   in Loop: Header=BB8_8 Depth=1
	v_mbcnt_lo_u32_b32 v6, exec_lo, 0
	v_mbcnt_hi_u32_b32 v6, exec_hi, v6
	v_cmp_eq_u32_e32 vcc, 0, v6
	s_and_saveexec_b64 s[24:25], vcc
	s_cbranch_execz .LBB8_54
; %bb.53:                               ;   in Loop: Header=BB8_8 Depth=1
	v_mov_b32_e32 v6, s5
	global_atomic_smin v10, v6, s[14:15]
.LBB8_54:                               ;   in Loop: Header=BB8_8 Depth=1
	s_or_b64 exec, exec, s[24:25]
	v_mov_b32_e32 v6, 1.0
.LBB8_55:                               ;   in Loop: Header=BB8_8 Depth=1
	s_or_b64 exec, exec, s[22:23]
	ds_read_b128 v[17:20], v10 offset:160
	ds_read_b128 v[21:24], v11
	ds_read_b32 v25, v14 offset:20
	ds_read_b32 v26, v11 offset:16
	;; [unrolled: 1-line block ×3, first 2 shown]
	s_waitcnt lgkmcnt(2)
	v_fmac_f32_e32 v25, v17, v21
	v_fmac_f32_e32 v25, v18, v22
	;; [unrolled: 1-line block ×4, first 2 shown]
	s_waitcnt lgkmcnt(0)
	v_fmac_f32_e32 v25, v27, v26
	v_sub_f32_e32 v5, v5, v25
	v_div_scale_f32 v17, s[22:23], v6, v6, v5
	v_div_scale_f32 v18, vcc, v5, v6, v5
	v_rcp_f32_e32 v19, v17
	v_fma_f32 v20, -v17, v19, 1.0
	v_fmac_f32_e32 v19, v20, v19
	v_mul_f32_e32 v20, v18, v19
	v_fma_f32 v21, -v17, v20, v18
	v_fmac_f32_e32 v20, v21, v19
	v_fma_f32 v17, -v17, v20, v18
	v_div_fmas_f32 v17, v17, v19, v20
	v_div_fixup_f32 v5, v17, v6, v5
	ds_write_b32 v11, v5 offset:20
	s_waitcnt lgkmcnt(0)
	ds_read_b32 v6, v16 offset:20
	ds_read_b32 v17, v8
	s_waitcnt lgkmcnt(0)
	v_fmac_f32_e32 v17, v5, v6
	ds_write_b32 v8, v17
	s_waitcnt lgkmcnt(0)
	ds_read_b32 v6, v10 offset:216
	ds_read_b32 v5, v11 offset:24
	s_waitcnt lgkmcnt(1)
	v_cmp_neq_f32_e32 vcc, 0, v6
	v_cndmask_b32_e32 v6, 1.0, v6, vcc
	s_nor_b64 s[24:25], vcc, s[0:1]
	s_and_saveexec_b64 s[22:23], s[24:25]
	s_cbranch_execz .LBB8_7
; %bb.56:                               ;   in Loop: Header=BB8_8 Depth=1
	v_mbcnt_lo_u32_b32 v6, exec_lo, 0
	v_mbcnt_hi_u32_b32 v6, exec_hi, v6
	v_cmp_eq_u32_e32 vcc, 0, v6
	s_and_saveexec_b64 s[24:25], vcc
	s_cbranch_execz .LBB8_6
; %bb.57:                               ;   in Loop: Header=BB8_8 Depth=1
	v_mov_b32_e32 v6, s5
	global_atomic_smin v10, v6, s[14:15]
	s_branch .LBB8_6
.LBB8_58:                               ;   in Loop: Header=BB8_8 Depth=1
                                        ; implicit-def: $sgpr4
	s_cbranch_execz .LBB8_8
.LBB8_59:
	s_cmp_lg_u32 s33, 0
	s_cselect_b64 s[4:5], -1, 0
	s_cmp_eq_u32 s33, 0
	v_mov_b32_e32 v2, v7
	s_cbranch_scc1 .LBB8_61
; %bb.60:
	v_mad_u32_u24 v2, v0, 7, v1
.LBB8_61:
	s_mul_i32 s30, s30, 49
	v_add_u32_e32 v2, s30, v2
	v_ashrrev_i32_e32 v3, 31, v2
	v_lshlrev_b64 v[2:3], 2, v[2:3]
	v_mov_b32_e32 v4, s21
	v_add_co_u32_e32 v2, vcc, s20, v2
	v_addc_co_u32_e32 v3, vcc, v4, v3, vcc
	global_load_dword v4, v[2:3], off
	v_mov_b32_e32 v2, 0x1c0
	v_lshl_add_u32 v3, v1, 5, v2
	v_cmp_ne_u32_e32 vcc, 0, v1
	v_lshl_add_u32 v2, v0, 2, v3
	v_cmp_eq_u32_e64 s[0:1], 0, v1
	s_waitcnt vmcnt(0)
	ds_write_b32 v2, v4
	s_waitcnt lgkmcnt(0)
	s_and_saveexec_b64 s[8:9], s[0:1]
	s_cbranch_execz .LBB8_63
; %bb.62:
	v_mov_b32_e32 v6, 0
	ds_read2_b32 v[4:5], v6 offset0:112 offset1:168
	s_mov_b32 s2, 0xf800000
	s_waitcnt lgkmcnt(0)
	v_sub_f32_e32 v4, v4, v5
	v_cmp_gt_f32_e64 s[0:1], 0, v4
	v_cndmask_b32_e64 v4, v4, -v4, s[0:1]
	v_mul_f32_e32 v5, 0x4f800000, v4
	v_cmp_gt_f32_e64 s[0:1], s2, v4
	v_cndmask_b32_e64 v4, v4, v5, s[0:1]
	v_sqrt_f32_e32 v5, v4
	v_add_u32_e32 v10, -1, v5
	v_add_u32_e32 v11, 1, v5
	v_fma_f32 v12, -v10, v5, v4
	v_fma_f32 v13, -v11, v5, v4
	v_cmp_ge_f32_e64 s[2:3], 0, v12
	v_cndmask_b32_e64 v5, v5, v10, s[2:3]
	v_cmp_lt_f32_e64 s[2:3], 0, v13
	v_cndmask_b32_e64 v5, v5, v11, s[2:3]
	v_mul_f32_e32 v10, 0x37800000, v5
	v_cndmask_b32_e64 v5, v5, v10, s[0:1]
	v_mov_b32_e32 v10, 0x260
	v_cmp_class_f32_e64 s[0:1], v4, v10
	v_cndmask_b32_e64 v4, v5, v4, s[0:1]
	ds_write_b32 v6, v4 offset:448
.LBB8_63:
	s_or_b64 exec, exec, s[8:9]
	v_mov_b32_e32 v4, 0
	s_waitcnt lgkmcnt(0)
	ds_read_b32 v5, v4 offset:448
	v_or_b32_e32 v4, v0, v1
	v_cmp_ne_u32_e64 s[0:1], 0, v4
	s_add_i32 s18, s12, s13
	s_waitcnt lgkmcnt(0)
	v_cmp_neq_f32_e64 s[2:3], 0, v5
	v_cndmask_b32_e64 v6, 1.0, v5, s[2:3]
	s_nor_b64 s[2:3], s[2:3], s[0:1]
	s_and_saveexec_b64 s[8:9], s[2:3]
	s_cbranch_execz .LBB8_67
; %bb.64:
	v_mbcnt_lo_u32_b32 v5, exec_lo, 0
	v_mbcnt_hi_u32_b32 v5, exec_hi, v5
	v_cmp_eq_u32_e64 s[2:3], 0, v5
	s_and_saveexec_b64 s[16:17], s[2:3]
	s_cbranch_execz .LBB8_66
; %bb.65:
	v_mov_b32_e32 v5, 0
	v_mov_b32_e32 v6, s18
	global_atomic_smin v5, v6, s[14:15]
.LBB8_66:
	s_or_b64 exec, exec, s[16:17]
	v_mov_b32_e32 v6, 1.0
.LBB8_67:
	s_or_b64 exec, exec, s[8:9]
	v_mov_b32_e32 v5, 0x1c0
	v_lshl_add_u32 v5, v0, 5, v5
	s_and_saveexec_b64 s[2:3], vcc
	s_cbranch_execz .LBB8_69
; %bb.68:
	ds_read_b32 v10, v3
	ds_read_b32 v11, v9
	s_waitcnt lgkmcnt(0)
	v_sub_f32_e32 v10, v10, v11
	v_div_scale_f32 v11, s[8:9], v6, v6, v10
	v_div_scale_f32 v12, vcc, v10, v6, v10
	v_rcp_f32_e32 v13, v11
	v_fma_f32 v14, -v11, v13, 1.0
	v_fmac_f32_e32 v13, v14, v13
	v_mul_f32_e32 v14, v12, v13
	v_fma_f32 v15, -v11, v14, v12
	v_fmac_f32_e32 v14, v15, v13
	v_fma_f32 v11, -v11, v14, v12
	v_div_fmas_f32 v11, v11, v13, v14
	v_div_fixup_f32 v6, v11, v6, v10
	ds_write_b32 v3, v6
	s_waitcnt lgkmcnt(0)
	ds_read_b32 v10, v5
	ds_read_b32 v11, v8
	s_waitcnt lgkmcnt(0)
	v_fmac_f32_e32 v11, v6, v10
	ds_write_b32 v8, v11
.LBB8_69:
	s_or_b64 exec, exec, s[2:3]
	v_cmp_eq_u32_e32 vcc, 1, v1
	s_waitcnt lgkmcnt(0)
	s_and_saveexec_b64 s[8:9], vcc
	s_cbranch_execz .LBB8_71
; %bb.70:
	v_mov_b32_e32 v6, 0
	ds_read2_b32 v[10:11], v6 offset0:121 offset1:177
	s_mov_b32 s2, 0xf800000
	s_waitcnt lgkmcnt(0)
	v_sub_f32_e32 v10, v10, v11
	v_cmp_gt_f32_e32 vcc, 0, v10
	v_cndmask_b32_e64 v10, v10, -v10, vcc
	v_mul_f32_e32 v11, 0x4f800000, v10
	v_cmp_gt_f32_e32 vcc, s2, v10
	v_cndmask_b32_e32 v10, v10, v11, vcc
	v_sqrt_f32_e32 v11, v10
	v_add_u32_e32 v12, -1, v11
	v_add_u32_e32 v13, 1, v11
	v_fma_f32 v14, -v12, v11, v10
	v_fma_f32 v15, -v13, v11, v10
	v_cmp_ge_f32_e64 s[2:3], 0, v14
	v_cndmask_b32_e64 v11, v11, v12, s[2:3]
	v_cmp_lt_f32_e64 s[2:3], 0, v15
	v_cndmask_b32_e64 v11, v11, v13, s[2:3]
	v_mul_f32_e32 v12, 0x37800000, v11
	v_cndmask_b32_e32 v11, v11, v12, vcc
	v_mov_b32_e32 v12, 0x260
	v_cmp_class_f32_e32 vcc, v10, v12
	v_cndmask_b32_e32 v10, v11, v10, vcc
	ds_write_b32 v6, v10 offset:484
.LBB8_71:
	s_or_b64 exec, exec, s[8:9]
	v_mov_b32_e32 v6, 0
	s_waitcnt lgkmcnt(0)
	ds_read_b32 v6, v6 offset:484
	s_waitcnt lgkmcnt(0)
	v_cmp_neq_f32_e32 vcc, 0, v6
	v_cndmask_b32_e32 v6, 1.0, v6, vcc
	s_nor_b64 s[8:9], vcc, s[0:1]
	s_and_saveexec_b64 s[2:3], s[8:9]
	s_cbranch_execz .LBB8_75
; %bb.72:
	v_mbcnt_lo_u32_b32 v6, exec_lo, 0
	v_mbcnt_hi_u32_b32 v6, exec_hi, v6
	v_cmp_eq_u32_e32 vcc, 0, v6
	s_and_saveexec_b64 s[8:9], vcc
	s_cbranch_execz .LBB8_74
; %bb.73:
	v_mov_b32_e32 v6, 0
	v_mov_b32_e32 v10, s18
	global_atomic_smin v6, v10, s[14:15]
.LBB8_74:
	s_or_b64 exec, exec, s[8:9]
	v_mov_b32_e32 v6, 1.0
.LBB8_75:
	s_or_b64 exec, exec, s[2:3]
	v_cmp_lt_u32_e32 vcc, 1, v1
	s_and_saveexec_b64 s[2:3], vcc
	s_cbranch_execz .LBB8_77
; %bb.76:
	ds_read_b32 v10, v3 offset:4
	ds_read_b32 v11, v9 offset:4
	s_waitcnt lgkmcnt(0)
	v_sub_f32_e32 v10, v10, v11
	v_div_scale_f32 v11, s[8:9], v6, v6, v10
	v_div_scale_f32 v12, vcc, v10, v6, v10
	v_rcp_f32_e32 v13, v11
	v_fma_f32 v14, -v11, v13, 1.0
	v_fmac_f32_e32 v13, v14, v13
	v_mul_f32_e32 v14, v12, v13
	v_fma_f32 v15, -v11, v14, v12
	v_fmac_f32_e32 v14, v15, v13
	v_fma_f32 v11, -v11, v14, v12
	v_div_fmas_f32 v11, v11, v13, v14
	v_div_fixup_f32 v6, v11, v6, v10
	ds_write_b32 v3, v6 offset:4
	s_waitcnt lgkmcnt(0)
	ds_read_b32 v10, v5 offset:4
	ds_read_b32 v11, v8
	s_waitcnt lgkmcnt(0)
	v_fmac_f32_e32 v11, v6, v10
	ds_write_b32 v8, v11
.LBB8_77:
	s_or_b64 exec, exec, s[2:3]
	v_cmp_eq_u32_e32 vcc, 2, v1
	s_waitcnt lgkmcnt(0)
	s_and_saveexec_b64 s[8:9], vcc
	s_cbranch_execz .LBB8_79
; %bb.78:
	v_mov_b32_e32 v6, 0
	ds_read2_b32 v[10:11], v6 offset0:130 offset1:186
	s_mov_b32 s2, 0xf800000
	s_waitcnt lgkmcnt(0)
	v_sub_f32_e32 v10, v10, v11
	v_cmp_gt_f32_e32 vcc, 0, v10
	v_cndmask_b32_e64 v10, v10, -v10, vcc
	v_mul_f32_e32 v11, 0x4f800000, v10
	v_cmp_gt_f32_e32 vcc, s2, v10
	v_cndmask_b32_e32 v10, v10, v11, vcc
	v_sqrt_f32_e32 v11, v10
	v_add_u32_e32 v12, -1, v11
	v_add_u32_e32 v13, 1, v11
	v_fma_f32 v14, -v12, v11, v10
	v_fma_f32 v15, -v13, v11, v10
	v_cmp_ge_f32_e64 s[2:3], 0, v14
	v_cndmask_b32_e64 v11, v11, v12, s[2:3]
	v_cmp_lt_f32_e64 s[2:3], 0, v15
	v_cndmask_b32_e64 v11, v11, v13, s[2:3]
	v_mul_f32_e32 v12, 0x37800000, v11
	v_cndmask_b32_e32 v11, v11, v12, vcc
	v_mov_b32_e32 v12, 0x260
	v_cmp_class_f32_e32 vcc, v10, v12
	v_cndmask_b32_e32 v10, v11, v10, vcc
	ds_write_b32 v6, v10 offset:520
.LBB8_79:
	s_or_b64 exec, exec, s[8:9]
	v_mov_b32_e32 v6, 0
	s_waitcnt lgkmcnt(0)
	ds_read_b32 v6, v6 offset:520
	s_waitcnt lgkmcnt(0)
	v_cmp_neq_f32_e32 vcc, 0, v6
	v_cndmask_b32_e32 v6, 1.0, v6, vcc
	s_nor_b64 s[8:9], vcc, s[0:1]
	s_and_saveexec_b64 s[2:3], s[8:9]
	s_cbranch_execz .LBB8_83
; %bb.80:
	v_mbcnt_lo_u32_b32 v6, exec_lo, 0
	v_mbcnt_hi_u32_b32 v6, exec_hi, v6
	v_cmp_eq_u32_e32 vcc, 0, v6
	s_and_saveexec_b64 s[8:9], vcc
	s_cbranch_execz .LBB8_82
; %bb.81:
	v_mov_b32_e32 v6, 0
	v_mov_b32_e32 v10, s18
	global_atomic_smin v6, v10, s[14:15]
.LBB8_82:
	s_or_b64 exec, exec, s[8:9]
	v_mov_b32_e32 v6, 1.0
.LBB8_83:
	s_or_b64 exec, exec, s[2:3]
	v_cmp_lt_u32_e32 vcc, 2, v1
	s_and_saveexec_b64 s[2:3], vcc
	s_cbranch_execz .LBB8_85
; %bb.84:
	ds_read_b32 v10, v3 offset:8
	ds_read_b32 v11, v9 offset:8
	s_waitcnt lgkmcnt(0)
	v_sub_f32_e32 v10, v10, v11
	v_div_scale_f32 v11, s[8:9], v6, v6, v10
	v_div_scale_f32 v12, vcc, v10, v6, v10
	v_rcp_f32_e32 v13, v11
	v_fma_f32 v14, -v11, v13, 1.0
	v_fmac_f32_e32 v13, v14, v13
	v_mul_f32_e32 v14, v12, v13
	v_fma_f32 v15, -v11, v14, v12
	v_fmac_f32_e32 v14, v15, v13
	v_fma_f32 v11, -v11, v14, v12
	v_div_fmas_f32 v11, v11, v13, v14
	v_div_fixup_f32 v6, v11, v6, v10
	ds_write_b32 v3, v6 offset:8
	s_waitcnt lgkmcnt(0)
	ds_read_b32 v10, v5 offset:8
	ds_read_b32 v11, v8
	s_waitcnt lgkmcnt(0)
	v_fmac_f32_e32 v11, v6, v10
	ds_write_b32 v8, v11
.LBB8_85:
	s_or_b64 exec, exec, s[2:3]
	v_cmp_eq_u32_e32 vcc, 3, v1
	s_waitcnt lgkmcnt(0)
	s_and_saveexec_b64 s[8:9], vcc
	s_cbranch_execz .LBB8_87
; %bb.86:
	v_mov_b32_e32 v6, 0
	ds_read2_b32 v[10:11], v6 offset0:139 offset1:195
	s_mov_b32 s2, 0xf800000
	s_waitcnt lgkmcnt(0)
	v_sub_f32_e32 v10, v10, v11
	v_cmp_gt_f32_e32 vcc, 0, v10
	v_cndmask_b32_e64 v10, v10, -v10, vcc
	v_mul_f32_e32 v11, 0x4f800000, v10
	v_cmp_gt_f32_e32 vcc, s2, v10
	v_cndmask_b32_e32 v10, v10, v11, vcc
	v_sqrt_f32_e32 v11, v10
	v_add_u32_e32 v12, -1, v11
	v_add_u32_e32 v13, 1, v11
	v_fma_f32 v14, -v12, v11, v10
	v_fma_f32 v15, -v13, v11, v10
	v_cmp_ge_f32_e64 s[2:3], 0, v14
	v_cndmask_b32_e64 v11, v11, v12, s[2:3]
	v_cmp_lt_f32_e64 s[2:3], 0, v15
	v_cndmask_b32_e64 v11, v11, v13, s[2:3]
	v_mul_f32_e32 v12, 0x37800000, v11
	v_cndmask_b32_e32 v11, v11, v12, vcc
	v_mov_b32_e32 v12, 0x260
	v_cmp_class_f32_e32 vcc, v10, v12
	v_cndmask_b32_e32 v10, v11, v10, vcc
	ds_write_b32 v6, v10 offset:556
.LBB8_87:
	s_or_b64 exec, exec, s[8:9]
	v_mov_b32_e32 v6, 0
	s_waitcnt lgkmcnt(0)
	ds_read_b32 v6, v6 offset:556
	s_waitcnt lgkmcnt(0)
	v_cmp_neq_f32_e32 vcc, 0, v6
	v_cndmask_b32_e32 v6, 1.0, v6, vcc
	s_nor_b64 s[8:9], vcc, s[0:1]
	s_and_saveexec_b64 s[2:3], s[8:9]
	s_cbranch_execz .LBB8_91
; %bb.88:
	v_mbcnt_lo_u32_b32 v6, exec_lo, 0
	v_mbcnt_hi_u32_b32 v6, exec_hi, v6
	v_cmp_eq_u32_e32 vcc, 0, v6
	s_and_saveexec_b64 s[8:9], vcc
	s_cbranch_execz .LBB8_90
; %bb.89:
	v_mov_b32_e32 v6, 0
	v_mov_b32_e32 v10, s18
	global_atomic_smin v6, v10, s[14:15]
.LBB8_90:
	s_or_b64 exec, exec, s[8:9]
	v_mov_b32_e32 v6, 1.0
.LBB8_91:
	s_or_b64 exec, exec, s[2:3]
	v_cmp_lt_u32_e32 vcc, 3, v1
	s_and_saveexec_b64 s[2:3], vcc
	s_cbranch_execz .LBB8_93
; %bb.92:
	ds_read_b32 v10, v3 offset:12
	ds_read_b32 v11, v9 offset:12
	s_waitcnt lgkmcnt(0)
	v_sub_f32_e32 v10, v10, v11
	v_div_scale_f32 v11, s[8:9], v6, v6, v10
	v_div_scale_f32 v12, vcc, v10, v6, v10
	v_rcp_f32_e32 v13, v11
	v_fma_f32 v14, -v11, v13, 1.0
	v_fmac_f32_e32 v13, v14, v13
	v_mul_f32_e32 v14, v12, v13
	v_fma_f32 v15, -v11, v14, v12
	v_fmac_f32_e32 v14, v15, v13
	v_fma_f32 v11, -v11, v14, v12
	v_div_fmas_f32 v11, v11, v13, v14
	v_div_fixup_f32 v6, v11, v6, v10
	ds_write_b32 v3, v6 offset:12
	s_waitcnt lgkmcnt(0)
	ds_read_b32 v10, v5 offset:12
	ds_read_b32 v11, v8
	s_waitcnt lgkmcnt(0)
	v_fmac_f32_e32 v11, v6, v10
	ds_write_b32 v8, v11
.LBB8_93:
	s_or_b64 exec, exec, s[2:3]
	v_cmp_eq_u32_e32 vcc, 4, v1
	s_waitcnt lgkmcnt(0)
	s_and_saveexec_b64 s[8:9], vcc
	s_cbranch_execz .LBB8_95
; %bb.94:
	v_mov_b32_e32 v6, 0
	ds_read2_b32 v[10:11], v6 offset0:148 offset1:204
	s_mov_b32 s2, 0xf800000
	s_waitcnt lgkmcnt(0)
	v_sub_f32_e32 v10, v10, v11
	v_cmp_gt_f32_e32 vcc, 0, v10
	v_cndmask_b32_e64 v10, v10, -v10, vcc
	v_mul_f32_e32 v11, 0x4f800000, v10
	v_cmp_gt_f32_e32 vcc, s2, v10
	v_cndmask_b32_e32 v10, v10, v11, vcc
	v_sqrt_f32_e32 v11, v10
	v_add_u32_e32 v12, -1, v11
	v_add_u32_e32 v13, 1, v11
	v_fma_f32 v14, -v12, v11, v10
	v_fma_f32 v15, -v13, v11, v10
	v_cmp_ge_f32_e64 s[2:3], 0, v14
	v_cndmask_b32_e64 v11, v11, v12, s[2:3]
	v_cmp_lt_f32_e64 s[2:3], 0, v15
	v_cndmask_b32_e64 v11, v11, v13, s[2:3]
	v_mul_f32_e32 v12, 0x37800000, v11
	v_cndmask_b32_e32 v11, v11, v12, vcc
	v_mov_b32_e32 v12, 0x260
	v_cmp_class_f32_e32 vcc, v10, v12
	v_cndmask_b32_e32 v10, v11, v10, vcc
	ds_write_b32 v6, v10 offset:592
.LBB8_95:
	s_or_b64 exec, exec, s[8:9]
	v_mov_b32_e32 v6, 0
	s_waitcnt lgkmcnt(0)
	ds_read_b32 v6, v6 offset:592
	s_waitcnt lgkmcnt(0)
	v_cmp_neq_f32_e32 vcc, 0, v6
	v_cndmask_b32_e32 v6, 1.0, v6, vcc
	s_nor_b64 s[8:9], vcc, s[0:1]
	s_and_saveexec_b64 s[2:3], s[8:9]
	s_cbranch_execz .LBB8_99
; %bb.96:
	v_mbcnt_lo_u32_b32 v6, exec_lo, 0
	v_mbcnt_hi_u32_b32 v6, exec_hi, v6
	v_cmp_eq_u32_e32 vcc, 0, v6
	s_and_saveexec_b64 s[8:9], vcc
	s_cbranch_execz .LBB8_98
; %bb.97:
	v_mov_b32_e32 v6, 0
	v_mov_b32_e32 v10, s18
	global_atomic_smin v6, v10, s[14:15]
.LBB8_98:
	s_or_b64 exec, exec, s[8:9]
	v_mov_b32_e32 v6, 1.0
.LBB8_99:
	s_or_b64 exec, exec, s[2:3]
	v_cmp_lt_u32_e32 vcc, 4, v1
	s_and_saveexec_b64 s[2:3], vcc
	s_cbranch_execz .LBB8_101
; %bb.100:
	ds_read_b32 v10, v3 offset:16
	ds_read_b32 v11, v9 offset:16
	s_waitcnt lgkmcnt(0)
	v_sub_f32_e32 v10, v10, v11
	v_div_scale_f32 v11, s[8:9], v6, v6, v10
	v_div_scale_f32 v12, vcc, v10, v6, v10
	v_rcp_f32_e32 v13, v11
	v_fma_f32 v14, -v11, v13, 1.0
	v_fmac_f32_e32 v13, v14, v13
	v_mul_f32_e32 v14, v12, v13
	v_fma_f32 v15, -v11, v14, v12
	v_fmac_f32_e32 v14, v15, v13
	v_fma_f32 v11, -v11, v14, v12
	v_div_fmas_f32 v11, v11, v13, v14
	v_div_fixup_f32 v6, v11, v6, v10
	ds_write_b32 v3, v6 offset:16
	s_waitcnt lgkmcnt(0)
	ds_read_b32 v10, v5 offset:16
	ds_read_b32 v11, v8
	s_waitcnt lgkmcnt(0)
	v_fmac_f32_e32 v11, v6, v10
	ds_write_b32 v8, v11
.LBB8_101:
	s_or_b64 exec, exec, s[2:3]
	v_cmp_eq_u32_e32 vcc, 5, v1
	s_waitcnt lgkmcnt(0)
	s_and_saveexec_b64 s[8:9], vcc
	s_cbranch_execz .LBB8_103
; %bb.102:
	v_mov_b32_e32 v6, 0
	ds_read2_b32 v[10:11], v6 offset0:157 offset1:213
	s_mov_b32 s2, 0xf800000
	s_waitcnt lgkmcnt(0)
	v_sub_f32_e32 v10, v10, v11
	v_cmp_gt_f32_e32 vcc, 0, v10
	v_cndmask_b32_e64 v10, v10, -v10, vcc
	v_mul_f32_e32 v11, 0x4f800000, v10
	v_cmp_gt_f32_e32 vcc, s2, v10
	v_cndmask_b32_e32 v10, v10, v11, vcc
	v_sqrt_f32_e32 v11, v10
	v_add_u32_e32 v12, -1, v11
	v_add_u32_e32 v13, 1, v11
	v_fma_f32 v14, -v12, v11, v10
	v_fma_f32 v15, -v13, v11, v10
	v_cmp_ge_f32_e64 s[2:3], 0, v14
	v_cndmask_b32_e64 v11, v11, v12, s[2:3]
	v_cmp_lt_f32_e64 s[2:3], 0, v15
	v_cndmask_b32_e64 v11, v11, v13, s[2:3]
	v_mul_f32_e32 v12, 0x37800000, v11
	v_cndmask_b32_e32 v11, v11, v12, vcc
	v_mov_b32_e32 v12, 0x260
	v_cmp_class_f32_e32 vcc, v10, v12
	v_cndmask_b32_e32 v10, v11, v10, vcc
	ds_write_b32 v6, v10 offset:628
.LBB8_103:
	s_or_b64 exec, exec, s[8:9]
	v_mov_b32_e32 v6, 0
	s_waitcnt lgkmcnt(0)
	ds_read_b32 v6, v6 offset:628
	s_waitcnt lgkmcnt(0)
	v_cmp_neq_f32_e32 vcc, 0, v6
	v_cndmask_b32_e32 v6, 1.0, v6, vcc
	s_nor_b64 s[8:9], vcc, s[0:1]
	s_and_saveexec_b64 s[2:3], s[8:9]
	s_cbranch_execz .LBB8_107
; %bb.104:
	v_mbcnt_lo_u32_b32 v6, exec_lo, 0
	v_mbcnt_hi_u32_b32 v6, exec_hi, v6
	v_cmp_eq_u32_e32 vcc, 0, v6
	s_and_saveexec_b64 s[8:9], vcc
	s_cbranch_execz .LBB8_106
; %bb.105:
	v_mov_b32_e32 v6, 0
	v_mov_b32_e32 v10, s18
	global_atomic_smin v6, v10, s[14:15]
.LBB8_106:
	s_or_b64 exec, exec, s[8:9]
	v_mov_b32_e32 v6, 1.0
.LBB8_107:
	s_or_b64 exec, exec, s[2:3]
	v_cmp_lt_u32_e32 vcc, 5, v1
	s_and_saveexec_b64 s[2:3], vcc
	s_cbranch_execz .LBB8_109
; %bb.108:
	ds_read_b32 v10, v3 offset:20
	ds_read_b32 v11, v9 offset:20
	s_waitcnt lgkmcnt(0)
	v_sub_f32_e32 v10, v10, v11
	v_div_scale_f32 v11, s[8:9], v6, v6, v10
	v_div_scale_f32 v12, vcc, v10, v6, v10
	v_rcp_f32_e32 v13, v11
	v_fma_f32 v14, -v11, v13, 1.0
	v_fmac_f32_e32 v13, v14, v13
	v_mul_f32_e32 v14, v12, v13
	v_fma_f32 v15, -v11, v14, v12
	v_fmac_f32_e32 v14, v15, v13
	v_fma_f32 v11, -v11, v14, v12
	v_div_fmas_f32 v11, v11, v13, v14
	v_div_fixup_f32 v6, v11, v6, v10
	ds_write_b32 v3, v6 offset:20
	s_waitcnt lgkmcnt(0)
	ds_read_b32 v10, v5 offset:20
	ds_read_b32 v11, v8
	s_waitcnt lgkmcnt(0)
	v_fmac_f32_e32 v11, v6, v10
	ds_write_b32 v8, v11
.LBB8_109:
	s_or_b64 exec, exec, s[2:3]
	v_cmp_eq_u32_e32 vcc, 6, v1
	s_waitcnt lgkmcnt(0)
	s_and_saveexec_b64 s[8:9], vcc
	s_cbranch_execz .LBB8_111
; %bb.110:
	v_mov_b32_e32 v6, 0
	ds_read2_b32 v[10:11], v6 offset0:166 offset1:222
	s_mov_b32 s2, 0xf800000
	s_waitcnt lgkmcnt(0)
	v_sub_f32_e32 v10, v10, v11
	v_cmp_gt_f32_e32 vcc, 0, v10
	v_cndmask_b32_e64 v10, v10, -v10, vcc
	v_mul_f32_e32 v11, 0x4f800000, v10
	v_cmp_gt_f32_e32 vcc, s2, v10
	v_cndmask_b32_e32 v10, v10, v11, vcc
	v_sqrt_f32_e32 v11, v10
	v_add_u32_e32 v12, -1, v11
	v_add_u32_e32 v13, 1, v11
	v_fma_f32 v14, -v12, v11, v10
	v_fma_f32 v15, -v13, v11, v10
	v_cmp_ge_f32_e64 s[2:3], 0, v14
	v_cndmask_b32_e64 v11, v11, v12, s[2:3]
	v_cmp_lt_f32_e64 s[2:3], 0, v15
	v_cndmask_b32_e64 v11, v11, v13, s[2:3]
	v_mul_f32_e32 v12, 0x37800000, v11
	v_cndmask_b32_e32 v11, v11, v12, vcc
	v_mov_b32_e32 v12, 0x260
	v_cmp_class_f32_e32 vcc, v10, v12
	v_cndmask_b32_e32 v10, v11, v10, vcc
	ds_write_b32 v6, v10 offset:664
.LBB8_111:
	s_or_b64 exec, exec, s[8:9]
	v_mov_b32_e32 v6, 0
	s_waitcnt lgkmcnt(0)
	ds_read_b32 v6, v6 offset:664
	s_waitcnt lgkmcnt(0)
	v_cmp_neq_f32_e32 vcc, 0, v6
	v_cndmask_b32_e32 v6, 1.0, v6, vcc
	s_nor_b64 s[2:3], vcc, s[0:1]
	s_and_saveexec_b64 s[0:1], s[2:3]
	s_cbranch_execz .LBB8_115
; %bb.112:
	v_mbcnt_lo_u32_b32 v6, exec_lo, 0
	v_mbcnt_hi_u32_b32 v6, exec_hi, v6
	v_cmp_eq_u32_e32 vcc, 0, v6
	s_and_saveexec_b64 s[2:3], vcc
	s_cbranch_execz .LBB8_114
; %bb.113:
	v_mov_b32_e32 v6, 0
	v_mov_b32_e32 v10, s18
	global_atomic_smin v6, v10, s[14:15]
.LBB8_114:
	s_or_b64 exec, exec, s[2:3]
	v_mov_b32_e32 v6, 1.0
.LBB8_115:
	s_or_b64 exec, exec, s[0:1]
	v_cmp_lt_u32_e32 vcc, 6, v1
	s_and_saveexec_b64 s[0:1], vcc
	s_cbranch_execz .LBB8_117
; %bb.116:
	ds_read_b32 v10, v3 offset:24
	ds_read_b32 v9, v9 offset:24
	s_waitcnt lgkmcnt(0)
	v_sub_f32_e32 v9, v10, v9
	v_div_scale_f32 v10, s[2:3], v6, v6, v9
	v_div_scale_f32 v11, vcc, v9, v6, v9
	v_rcp_f32_e32 v12, v10
	v_fma_f32 v13, -v10, v12, 1.0
	v_fmac_f32_e32 v12, v13, v12
	v_mul_f32_e32 v13, v11, v12
	v_fma_f32 v14, -v10, v13, v11
	v_fmac_f32_e32 v13, v14, v12
	v_fma_f32 v10, -v10, v13, v11
	v_div_fmas_f32 v10, v10, v12, v13
	v_div_fixup_f32 v6, v10, v6, v9
	ds_write_b32 v3, v6 offset:24
	s_waitcnt lgkmcnt(0)
	ds_read_b32 v3, v5 offset:24
	ds_read_b32 v5, v8
	s_waitcnt lgkmcnt(0)
	v_fmac_f32_e32 v5, v6, v3
	ds_write_b32 v8, v5
.LBB8_117:
	s_or_b64 exec, exec, s[0:1]
	s_waitcnt lgkmcnt(0)
	ds_read_b32 v2, v2
	s_andn2_b64 vcc, exec, s[4:5]
	s_cbranch_vccnz .LBB8_119
; %bb.118:
	v_mad_u32_u24 v7, v0, 7, v1
.LBB8_119:
	v_add_u32_e32 v5, s30, v7
	v_ashrrev_i32_e32 v6, 31, v5
	v_lshlrev_b64 v[5:6], 2, v[5:6]
	v_mov_b32_e32 v3, s21
	v_add_co_u32_e32 v5, vcc, s20, v5
	v_addc_co_u32_e32 v6, vcc, v3, v6, vcc
	v_cmp_eq_u32_e32 vcc, 0, v4
	s_waitcnt lgkmcnt(0)
	global_store_dword v[5:6], v2, off
	s_and_saveexec_b64 s[0:1], vcc
	s_cbranch_execz .LBB8_121
; %bb.120:
	s_add_u32 s2, s10, s6
	s_addc_u32 s3, s11, s7
	v_mov_b32_e32 v2, 0
	v_mov_b32_e32 v3, 1
	s_waitcnt vmcnt(0)
	global_store_dword v2, v3, s[2:3]
.LBB8_121:
	s_or_b64 exec, exec, s[0:1]
.LBB8_122:
	s_endpgm
.LBB8_123:
	s_cbranch_execz .LBB8_122
; %bb.124:
	v_or_b32_e32 v0, v0, v1
	v_cmp_eq_u32_e32 vcc, 0, v0
	s_and_saveexec_b64 s[0:1], vcc
	s_cbranch_execz .LBB8_122
; %bb.125:
	v_mbcnt_lo_u32_b32 v0, exec_lo, 0
	v_mbcnt_hi_u32_b32 v0, exec_hi, v0
	v_cmp_eq_u32_e32 vcc, 0, v0
	s_and_saveexec_b64 s[0:1], vcc
	s_cbranch_execz .LBB8_127
; %bb.126:
	s_add_i32 s2, s12, s13
	v_mov_b32_e32 v0, 0
	v_mov_b32_e32 v1, s2
	global_atomic_smin v0, v1, s[14:15]
.LBB8_127:
	s_or_b64 exec, exec, s[0:1]
	s_add_u32 s0, s10, s6
	s_addc_u32 s1, s11, s7
	v_mov_b32_e32 v0, 0
	v_mov_b32_e32 v1, 1
	s_waitcnt vmcnt(0)
	global_store_dword v0, v1, s[0:1]
	s_endpgm
	.section	.rodata,"a",@progbits
	.p2align	6, 0x0
	.amdhsa_kernel _ZN9rocsparseL26bsric0_2_8_unrolled_kernelILi49ELi32ELi7EfEEv20rocsparse_direction_iiPKiS3_PT2_S3_PiS3_S6_21rocsparse_index_base_
		.amdhsa_group_segment_fixed_size 1280
		.amdhsa_private_segment_fixed_size 0
		.amdhsa_kernarg_size 76
		.amdhsa_user_sgpr_count 6
		.amdhsa_user_sgpr_private_segment_buffer 1
		.amdhsa_user_sgpr_dispatch_ptr 0
		.amdhsa_user_sgpr_queue_ptr 0
		.amdhsa_user_sgpr_kernarg_segment_ptr 1
		.amdhsa_user_sgpr_dispatch_id 0
		.amdhsa_user_sgpr_flat_scratch_init 0
		.amdhsa_user_sgpr_private_segment_size 0
		.amdhsa_uses_dynamic_stack 0
		.amdhsa_system_sgpr_private_segment_wavefront_offset 0
		.amdhsa_system_sgpr_workgroup_id_x 1
		.amdhsa_system_sgpr_workgroup_id_y 0
		.amdhsa_system_sgpr_workgroup_id_z 0
		.amdhsa_system_sgpr_workgroup_info 0
		.amdhsa_system_vgpr_workitem_id 1
		.amdhsa_next_free_vgpr 45
		.amdhsa_next_free_sgpr 40
		.amdhsa_reserve_vcc 1
		.amdhsa_reserve_flat_scratch 0
		.amdhsa_float_round_mode_32 0
		.amdhsa_float_round_mode_16_64 0
		.amdhsa_float_denorm_mode_32 3
		.amdhsa_float_denorm_mode_16_64 3
		.amdhsa_dx10_clamp 1
		.amdhsa_ieee_mode 1
		.amdhsa_fp16_overflow 0
		.amdhsa_exception_fp_ieee_invalid_op 0
		.amdhsa_exception_fp_denorm_src 0
		.amdhsa_exception_fp_ieee_div_zero 0
		.amdhsa_exception_fp_ieee_overflow 0
		.amdhsa_exception_fp_ieee_underflow 0
		.amdhsa_exception_fp_ieee_inexact 0
		.amdhsa_exception_int_div_zero 0
	.end_amdhsa_kernel
	.section	.text._ZN9rocsparseL26bsric0_2_8_unrolled_kernelILi49ELi32ELi7EfEEv20rocsparse_direction_iiPKiS3_PT2_S3_PiS3_S6_21rocsparse_index_base_,"axG",@progbits,_ZN9rocsparseL26bsric0_2_8_unrolled_kernelILi49ELi32ELi7EfEEv20rocsparse_direction_iiPKiS3_PT2_S3_PiS3_S6_21rocsparse_index_base_,comdat
.Lfunc_end8:
	.size	_ZN9rocsparseL26bsric0_2_8_unrolled_kernelILi49ELi32ELi7EfEEv20rocsparse_direction_iiPKiS3_PT2_S3_PiS3_S6_21rocsparse_index_base_, .Lfunc_end8-_ZN9rocsparseL26bsric0_2_8_unrolled_kernelILi49ELi32ELi7EfEEv20rocsparse_direction_iiPKiS3_PT2_S3_PiS3_S6_21rocsparse_index_base_
                                        ; -- End function
	.set _ZN9rocsparseL26bsric0_2_8_unrolled_kernelILi49ELi32ELi7EfEEv20rocsparse_direction_iiPKiS3_PT2_S3_PiS3_S6_21rocsparse_index_base_.num_vgpr, 45
	.set _ZN9rocsparseL26bsric0_2_8_unrolled_kernelILi49ELi32ELi7EfEEv20rocsparse_direction_iiPKiS3_PT2_S3_PiS3_S6_21rocsparse_index_base_.num_agpr, 0
	.set _ZN9rocsparseL26bsric0_2_8_unrolled_kernelILi49ELi32ELi7EfEEv20rocsparse_direction_iiPKiS3_PT2_S3_PiS3_S6_21rocsparse_index_base_.numbered_sgpr, 40
	.set _ZN9rocsparseL26bsric0_2_8_unrolled_kernelILi49ELi32ELi7EfEEv20rocsparse_direction_iiPKiS3_PT2_S3_PiS3_S6_21rocsparse_index_base_.num_named_barrier, 0
	.set _ZN9rocsparseL26bsric0_2_8_unrolled_kernelILi49ELi32ELi7EfEEv20rocsparse_direction_iiPKiS3_PT2_S3_PiS3_S6_21rocsparse_index_base_.private_seg_size, 0
	.set _ZN9rocsparseL26bsric0_2_8_unrolled_kernelILi49ELi32ELi7EfEEv20rocsparse_direction_iiPKiS3_PT2_S3_PiS3_S6_21rocsparse_index_base_.uses_vcc, 1
	.set _ZN9rocsparseL26bsric0_2_8_unrolled_kernelILi49ELi32ELi7EfEEv20rocsparse_direction_iiPKiS3_PT2_S3_PiS3_S6_21rocsparse_index_base_.uses_flat_scratch, 0
	.set _ZN9rocsparseL26bsric0_2_8_unrolled_kernelILi49ELi32ELi7EfEEv20rocsparse_direction_iiPKiS3_PT2_S3_PiS3_S6_21rocsparse_index_base_.has_dyn_sized_stack, 0
	.set _ZN9rocsparseL26bsric0_2_8_unrolled_kernelILi49ELi32ELi7EfEEv20rocsparse_direction_iiPKiS3_PT2_S3_PiS3_S6_21rocsparse_index_base_.has_recursion, 0
	.set _ZN9rocsparseL26bsric0_2_8_unrolled_kernelILi49ELi32ELi7EfEEv20rocsparse_direction_iiPKiS3_PT2_S3_PiS3_S6_21rocsparse_index_base_.has_indirect_call, 0
	.section	.AMDGPU.csdata,"",@progbits
; Kernel info:
; codeLenInByte = 6988
; TotalNumSgprs: 44
; NumVgprs: 45
; ScratchSize: 0
; MemoryBound: 0
; FloatMode: 240
; IeeeMode: 1
; LDSByteSize: 1280 bytes/workgroup (compile time only)
; SGPRBlocks: 5
; VGPRBlocks: 11
; NumSGPRsForWavesPerEU: 44
; NumVGPRsForWavesPerEU: 45
; Occupancy: 5
; WaveLimiterHint : 1
; COMPUTE_PGM_RSRC2:SCRATCH_EN: 0
; COMPUTE_PGM_RSRC2:USER_SGPR: 6
; COMPUTE_PGM_RSRC2:TRAP_HANDLER: 0
; COMPUTE_PGM_RSRC2:TGID_X_EN: 1
; COMPUTE_PGM_RSRC2:TGID_Y_EN: 0
; COMPUTE_PGM_RSRC2:TGID_Z_EN: 0
; COMPUTE_PGM_RSRC2:TIDIG_COMP_CNT: 1
	.section	.text._ZN9rocsparseL26bsric0_2_8_unrolled_kernelILi64ELi32ELi8EfEEv20rocsparse_direction_iiPKiS3_PT2_S3_PiS3_S6_21rocsparse_index_base_,"axG",@progbits,_ZN9rocsparseL26bsric0_2_8_unrolled_kernelILi64ELi32ELi8EfEEv20rocsparse_direction_iiPKiS3_PT2_S3_PiS3_S6_21rocsparse_index_base_,comdat
	.globl	_ZN9rocsparseL26bsric0_2_8_unrolled_kernelILi64ELi32ELi8EfEEv20rocsparse_direction_iiPKiS3_PT2_S3_PiS3_S6_21rocsparse_index_base_ ; -- Begin function _ZN9rocsparseL26bsric0_2_8_unrolled_kernelILi64ELi32ELi8EfEEv20rocsparse_direction_iiPKiS3_PT2_S3_PiS3_S6_21rocsparse_index_base_
	.p2align	8
	.type	_ZN9rocsparseL26bsric0_2_8_unrolled_kernelILi64ELi32ELi8EfEEv20rocsparse_direction_iiPKiS3_PT2_S3_PiS3_S6_21rocsparse_index_base_,@function
_ZN9rocsparseL26bsric0_2_8_unrolled_kernelILi64ELi32ELi8EfEEv20rocsparse_direction_iiPKiS3_PT2_S3_PiS3_S6_21rocsparse_index_base_: ; @_ZN9rocsparseL26bsric0_2_8_unrolled_kernelILi64ELi32ELi8EfEEv20rocsparse_direction_iiPKiS3_PT2_S3_PiS3_S6_21rocsparse_index_base_
; %bb.0:
	s_load_dwordx8 s[8:15], s[4:5], 0x28
	s_mov_b32 s7, 0
	s_lshl_b64 s[0:1], s[6:7], 2
	s_waitcnt lgkmcnt(0)
	s_add_u32 s0, s12, s0
	s_addc_u32 s1, s13, s1
	s_load_dword s12, s[0:1], 0x0
	s_waitcnt lgkmcnt(0)
	s_ashr_i32 s13, s12, 31
	s_lshl_b64 s[6:7], s[12:13], 2
	s_add_u32 s0, s8, s6
	s_addc_u32 s1, s9, s7
	s_load_dword s30, s[0:1], 0x0
	s_load_dword s13, s[4:5], 0x48
	s_waitcnt lgkmcnt(0)
	s_cmp_lg_u32 s30, -1
	s_cbranch_scc0 .LBB9_6
; %bb.1:
	s_load_dwordx4 s[16:19], s[4:5], 0x10
	s_load_dwordx2 s[2:3], s[4:5], 0x20
	v_lshlrev_b32_e32 v10, 3, v1
	v_add_u32_e32 v9, v10, v0
	s_waitcnt lgkmcnt(0)
	s_add_u32 s0, s16, s6
	s_addc_u32 s1, s17, s7
	s_load_dword s0, s[0:1], 0x0
	s_waitcnt lgkmcnt(0)
	s_sub_i32 s31, s0, s13
	v_add_u32_e32 v2, s31, v9
	v_cmp_ge_i32_e32 vcc, s30, v2
	s_and_saveexec_b64 s[0:1], vcc
	s_cbranch_execz .LBB9_4
; %bb.2:
	v_lshlrev_b32_e32 v3, 5, v1
	v_lshlrev_b32_e32 v4, 2, v0
	s_movk_i32 s20, 0x580
	v_add3_u32 v5, v3, v4, s20
	v_ashrrev_i32_e32 v3, 31, v2
	v_lshlrev_b64 v[3:4], 2, v[2:3]
	v_mov_b32_e32 v6, s19
	v_add_co_u32_e32 v3, vcc, s18, v3
	v_addc_co_u32_e32 v4, vcc, v6, v4, vcc
	s_mov_b64 s[20:21], 0
.LBB9_3:                                ; =>This Inner Loop Header: Depth=1
	global_load_dword v6, v[3:4], off
	v_add_co_u32_e32 v3, vcc, 0x100, v3
	v_add_u32_e32 v2, 64, v2
	v_addc_co_u32_e32 v4, vcc, 0, v4, vcc
	v_cmp_lt_i32_e32 vcc, s30, v2
	s_or_b64 s[20:21], vcc, s[20:21]
	s_waitcnt vmcnt(0)
	v_subrev_u32_e32 v6, s13, v6
	ds_write_b32 v5, v6
	v_add_u32_e32 v5, 0x100, v5
	s_andn2_b64 exec, exec, s[20:21]
	s_cbranch_execnz .LBB9_3
.LBB9_4:
	s_or_b64 exec, exec, s[0:1]
	v_mov_b32_e32 v2, 0x360
	v_mad_u32_u24 v8, v1, 36, v2
	v_lshl_add_u32 v6, v0, 2, v8
	v_mov_b32_e32 v2, 0
	s_cmp_lt_i32 s31, s30
	ds_write_b32 v6, v2
	s_waitcnt lgkmcnt(0)
	s_cbranch_scc1 .LBB9_8
; %bb.5:
	v_lshl_add_u32 v11, v0, 3, v1
	v_or_b32_e32 v7, v0, v1
	s_load_dword s33, s[4:5], 0x0
	s_cbranch_execz .LBB9_9
	s_branch .LBB9_67
.LBB9_6:
	s_cbranch_execnz .LBB9_134
.LBB9_7:
	s_endpgm
.LBB9_8:
                                        ; implicit-def: $vgpr11
                                        ; implicit-def: $vgpr7
	s_load_dword s33, s[4:5], 0x0
.LBB9_9:
	s_waitcnt lgkmcnt(0)
	s_cmp_lg_u32 s33, 0
	s_cselect_b64 s[4:5], -1, 0
	s_cmp_eq_u32 s33, 0
	v_lshlrev_b32_e32 v12, 3, v0
	v_mov_b32_e32 v2, 0x240
	v_mov_b32_e32 v4, 0x120
	v_add_u32_e32 v11, v12, v1
	v_mad_u32_u24 v13, v1, 36, v2
	v_lshlrev_b32_e32 v3, 2, v0
	v_mad_u32_u24 v16, v1, 36, v4
	v_or_b32_e32 v7, v0, v1
	s_cselect_b64 vcc, -1, 0
	v_add_u32_e32 v14, v13, v3
	v_mad_u32_u24 v15, v1, 36, v3
	v_add_u32_e32 v17, v16, v3
	v_mad_u32_u24 v18, v0, 36, v2
	v_cmp_ne_u32_e64 s[0:1], 0, v7
	v_cndmask_b32_e32 v19, v11, v9, vcc
	v_mov_b32_e32 v20, 0
	s_mov_b32 s20, s31
	s_branch .LBB9_12
.LBB9_10:                               ;   in Loop: Header=BB9_12 Depth=1
	s_or_b64 exec, exec, s[24:25]
	v_mov_b32_e32 v5, 1.0
.LBB9_11:                               ;   in Loop: Header=BB9_12 Depth=1
	s_or_b64 exec, exec, s[22:23]
	ds_read2_b32 v[21:22], v20 offset0:67 offset1:68
	ds_read2_b32 v[23:24], v20 offset0:65 offset1:66
	ds_read2_b32 v[25:26], v20 offset0:63 offset1:64
	ds_read_b32 v33, v16 offset:28
	ds_read2_b32 v[27:28], v13 offset1:1
	ds_read2_b32 v[29:30], v13 offset0:2 offset1:3
	ds_read_b32 v34, v13 offset:24
	ds_read2_b32 v[31:32], v13 offset0:4 offset1:5
	ds_read_b32 v35, v20 offset:276
	s_waitcnt lgkmcnt(4)
	v_fmac_f32_e32 v33, v25, v27
	v_fmac_f32_e32 v33, v26, v28
	s_waitcnt lgkmcnt(3)
	v_fmac_f32_e32 v33, v23, v29
	v_fmac_f32_e32 v33, v24, v30
	;; [unrolled: 3-line block ×3, first 2 shown]
	s_waitcnt lgkmcnt(0)
	v_fmac_f32_e32 v33, v35, v34
	v_sub_f32_e32 v4, v4, v33
	v_div_scale_f32 v21, s[22:23], v5, v5, v4
	v_div_scale_f32 v22, vcc, v4, v5, v4
	s_add_i32 s20, s20, 1
	s_cmp_ge_i32 s20, s30
	s_cselect_b64 s[22:23], -1, 0
	v_rcp_f32_e32 v23, v21
	v_fma_f32 v24, -v21, v23, 1.0
	v_fmac_f32_e32 v23, v24, v23
	v_mul_f32_e32 v24, v22, v23
	v_fma_f32 v25, -v21, v24, v22
	v_fmac_f32_e32 v24, v25, v23
	v_fma_f32 v21, -v21, v24, v22
	v_div_fmas_f32 v21, v21, v23, v24
	v_div_fixup_f32 v4, v21, v5, v4
	ds_write_b32 v13, v4 offset:28
	s_waitcnt lgkmcnt(0)
	ds_read_b32 v5, v18 offset:28
	ds_read_b32 v21, v6
	s_waitcnt lgkmcnt(0)
	v_fmac_f32_e32 v21, v4, v5
	ds_write_b32 v6, v21
	s_waitcnt lgkmcnt(0)
	ds_read_b32 v4, v14
	s_waitcnt lgkmcnt(0)
	global_store_dword v[2:3], v4, off
	s_waitcnt vmcnt(0)
	buffer_wbinvl1_vol
	s_and_b64 vcc, exec, s[22:23]
	s_cbranch_vccnz .LBB9_67
.LBB9_12:                               ; =>This Loop Header: Depth=1
                                        ;     Child Loop BB9_15 Depth 2
                                        ;     Child Loop BB9_26 Depth 2
	;; [unrolled: 1-line block ×3, first 2 shown]
	s_ashr_i32 s21, s20, 31
	s_lshl_b64 s[22:23], s[20:21], 2
	s_add_u32 s22, s18, s22
	s_addc_u32 s23, s19, s23
	s_load_dword s21, s[22:23], 0x0
	s_waitcnt lgkmcnt(0)
	s_sub_i32 s24, s21, s13
	s_ashr_i32 s25, s24, 31
	s_lshl_b64 s[22:23], s[24:25], 2
	s_add_u32 s26, s8, s22
	s_addc_u32 s27, s9, s23
	s_load_dword s25, s[26:27], 0x0
	s_waitcnt lgkmcnt(0)
	s_cmp_eq_u32 s25, -1
	s_cbranch_scc1 .LBB9_66
; %bb.13:                               ;   in Loop: Header=BB9_12 Depth=1
	v_lshl_add_u32 v2, s20, 6, v19
	v_ashrrev_i32_e32 v3, 31, v2
	v_lshlrev_b64 v[2:3], 2, v[2:3]
	v_mov_b32_e32 v4, s3
	v_add_co_u32_e32 v2, vcc, s2, v2
	v_addc_co_u32_e32 v3, vcc, v4, v3, vcc
	global_load_dword v4, v[2:3], off
	s_add_u32 s26, s16, s22
	s_addc_u32 s27, s17, s23
	s_load_dword s26, s[26:27], 0x0
	ds_read_b32 v5, v20 offset:1408
	s_mov_b32 s27, 0
	s_waitcnt lgkmcnt(0)
	s_sub_i32 s26, s26, s13
	s_cmp_le_i32 s26, s25
	v_cmp_ge_i32_e32 vcc, s24, v5
	s_cselect_b64 s[28:29], -1, 0
	s_and_b64 s[28:29], s[28:29], vcc
	s_andn2_b64 vcc, exec, s[28:29]
	s_waitcnt vmcnt(0)
	ds_write_b32 v14, v4
	s_cbranch_vccnz .LBB9_25
; %bb.14:                               ;   in Loop: Header=BB9_12 Depth=1
	s_mov_b32 s34, 0
	s_mov_b32 s35, 0
.LBB9_15:                               ;   Parent Loop BB9_12 Depth=1
                                        ; =>  This Inner Loop Header: Depth=2
	s_ashr_i32 s27, s26, 31
	s_lshl_b64 s[28:29], s[26:27], 2
	s_add_u32 s28, s18, s28
	s_addc_u32 s29, s19, s29
	s_load_dword s27, s[28:29], 0x0
	s_lshl_b32 s28, s35, 2
	v_mov_b32_e32 v4, s28
	ds_read_b32 v4, v4 offset:1408
	s_mov_b64 s[28:29], -1
	s_waitcnt lgkmcnt(0)
	s_sub_i32 s39, s27, s13
                                        ; implicit-def: $sgpr27
                                        ; implicit-def: $sgpr38
                                        ; implicit-def: $sgpr37
	v_cmp_ge_i32_e32 vcc, s39, v4
	v_readfirstlane_b32 s36, v4
	s_cbranch_vccz .LBB9_21
; %bb.16:                               ;   in Loop: Header=BB9_15 Depth=2
	s_cmp_le_i32 s39, s36
                                        ; implicit-def: $sgpr27
                                        ; implicit-def: $sgpr38
                                        ; implicit-def: $sgpr37
	s_cbranch_scc0 .LBB9_18
; %bb.17:                               ;   in Loop: Header=BB9_15 Depth=2
	s_add_i32 s27, s35, s31
	s_lshl_b32 s27, s27, 6
	s_lshl_b32 s28, s34, 2
	v_mov_b32_e32 v4, s28
	v_mov_b32_e32 v5, s27
	s_lshl_b32 s27, s26, 6
	v_mov_b32_e32 v21, s27
	v_add_u32_e32 v4, 0x400, v4
	ds_write2_b32 v4, v21, v5 offset0:32 offset1:64
	s_add_i32 s37, s35, 1
	s_add_i32 s38, s26, 1
	;; [unrolled: 1-line block ×3, first 2 shown]
	s_mov_b64 s[28:29], 0
.LBB9_18:                               ;   in Loop: Header=BB9_15 Depth=2
	s_andn2_b64 vcc, exec, s[28:29]
	s_cbranch_vccnz .LBB9_20
; %bb.19:                               ;   in Loop: Header=BB9_15 Depth=2
	s_add_i32 s37, s35, 1
	s_mov_b32 s27, s34
	s_mov_b32 s38, s26
.LBB9_20:                               ;   in Loop: Header=BB9_15 Depth=2
	s_mov_b64 s[28:29], 0
.LBB9_21:                               ;   in Loop: Header=BB9_15 Depth=2
	s_andn2_b64 vcc, exec, s[28:29]
	s_cbranch_vccnz .LBB9_23
; %bb.22:                               ;   in Loop: Header=BB9_15 Depth=2
	s_add_i32 s38, s26, 1
	s_mov_b32 s37, s35
	s_mov_b32 s27, s34
.LBB9_23:                               ;   in Loop: Header=BB9_15 Depth=2
	s_cmp_le_i32 s38, s25
	s_cselect_b64 s[28:29], -1, 0
	s_cmp_le_i32 s36, s24
	s_cselect_b64 s[34:35], -1, 0
	s_and_b64 s[28:29], s[28:29], s[34:35]
	s_and_b64 vcc, exec, s[28:29]
	s_cbranch_vccz .LBB9_25
; %bb.24:                               ;   in Loop: Header=BB9_15 Depth=2
	s_mov_b32 s34, s27
	s_mov_b32 s26, s38
	;; [unrolled: 1-line block ×3, first 2 shown]
	s_branch .LBB9_15
.LBB9_25:                               ;   in Loop: Header=BB9_12 Depth=1
	s_add_u32 s22, s10, s22
	s_addc_u32 s23, s11, s23
	s_waitcnt lgkmcnt(0)
.LBB9_26:                               ;   Parent Loop BB9_12 Depth=1
                                        ; =>  This Inner Loop Header: Depth=2
	global_load_dword v4, v20, s[22:23] glc
	s_waitcnt vmcnt(0)
	v_cmp_eq_u32_e32 vcc, 0, v4
	s_cbranch_vccnz .LBB9_26
; %bb.27:                               ;   in Loop: Header=BB9_12 Depth=1
	v_lshl_add_u32 v4, s25, 6, v19
	v_ashrrev_i32_e32 v5, 31, v4
	v_lshlrev_b64 v[4:5], 2, v[4:5]
	v_mov_b32_e32 v21, s3
	v_add_co_u32_e32 v4, vcc, s2, v4
	v_addc_co_u32_e32 v5, vcc, v21, v5, vcc
	buffer_wbinvl1_vol
	global_load_dword v4, v[4:5], off
	s_cmp_lt_i32 s27, 2
	v_mov_b32_e32 v22, 0
	s_waitcnt vmcnt(0)
	ds_write_b32 v15, v4
	s_waitcnt lgkmcnt(0)
	s_cbranch_scc1 .LBB9_35
; %bb.28:                               ;   in Loop: Header=BB9_12 Depth=1
	s_add_i32 s24, s27, -1
	v_mov_b32_e32 v21, 0
	s_movk_i32 s25, 0x480
.LBB9_29:                               ;   Parent Loop BB9_12 Depth=1
                                        ; =>  This Inner Loop Header: Depth=2
	s_waitcnt lgkmcnt(0)
	v_mov_b32_e32 v4, s25
	ds_read2_b32 v[4:5], v4 offset1:32
	s_mov_b64 s[22:23], -1
	s_and_b64 vcc, exec, s[4:5]
                                        ; implicit-def: $vgpr22
	s_cbranch_vccz .LBB9_32
; %bb.30:                               ;   in Loop: Header=BB9_29 Depth=2
	s_waitcnt lgkmcnt(0)
	v_add_u32_e32 v22, v4, v0
	v_ashrrev_i32_e32 v23, 31, v22
	v_lshlrev_b64 v[23:24], 2, v[22:23]
	v_mov_b32_e32 v25, s3
	v_add_co_u32_e32 v23, vcc, s2, v23
	v_addc_co_u32_e32 v24, vcc, v25, v24, vcc
	v_add_u32_e32 v25, v5, v1
	v_ashrrev_i32_e32 v26, 31, v25
	v_lshlrev_b64 v[26:27], 2, v[25:26]
	v_mov_b32_e32 v28, s3
	v_add_co_u32_e32 v26, vcc, s2, v26
	v_addc_co_u32_e32 v27, vcc, v28, v27, vcc
	;; [unrolled: 6-line block ×8, first 2 shown]
	global_load_dword v40, v[23:24], off
	global_load_dword v41, v[26:27], off
	;; [unrolled: 1-line block ×8, first 2 shown]
	v_add_u32_e32 v23, 32, v22
	v_ashrrev_i32_e32 v24, 31, v23
	v_lshlrev_b64 v[23:24], 2, v[23:24]
	v_mov_b32_e32 v26, s3
	v_add_co_u32_e32 v23, vcc, s2, v23
	v_addc_co_u32_e32 v24, vcc, v26, v24, vcc
	v_add_u32_e32 v26, 32, v25
	v_ashrrev_i32_e32 v27, 31, v26
	v_lshlrev_b64 v[26:27], 2, v[26:27]
	v_mov_b32_e32 v28, s3
	v_add_co_u32_e32 v26, vcc, s2, v26
	v_addc_co_u32_e32 v27, vcc, v28, v27, vcc
	;; [unrolled: 6-line block ×6, first 2 shown]
	v_add_u32_e32 v36, 56, v22
	v_ashrrev_i32_e32 v37, 31, v36
	v_lshlrev_b64 v[36:37], 2, v[36:37]
	v_add_u32_e32 v38, 56, v25
	v_ashrrev_i32_e32 v39, 31, v38
	v_mov_b32_e32 v22, s3
	v_add_co_u32_e32 v36, vcc, s2, v36
	v_lshlrev_b64 v[38:39], 2, v[38:39]
	v_addc_co_u32_e32 v37, vcc, v22, v37, vcc
	v_add_co_u32_e32 v38, vcc, s2, v38
	v_addc_co_u32_e32 v39, vcc, v22, v39, vcc
	global_load_dword v25, v[23:24], off
	global_load_dword v48, v[26:27], off
	;; [unrolled: 1-line block ×8, first 2 shown]
	s_waitcnt vmcnt(14)
	v_fma_f32 v22, v40, v41, v21
	s_waitcnt vmcnt(12)
	v_fmac_f32_e32 v22, v42, v43
	s_waitcnt vmcnt(10)
	v_fmac_f32_e32 v22, v44, v45
	;; [unrolled: 2-line block ×7, first 2 shown]
	s_cbranch_execz .LBB9_33
.LBB9_31:                               ;   in Loop: Header=BB9_29 Depth=2
	s_add_i32 s24, s24, -1
	s_add_i32 s25, s25, 4
	s_cmp_eq_u32 s24, 0
	s_cbranch_scc0 .LBB9_34
	s_branch .LBB9_35
.LBB9_32:                               ;   in Loop: Header=BB9_29 Depth=2
	s_andn2_b64 vcc, exec, s[22:23]
	s_cbranch_vccnz .LBB9_31
.LBB9_33:                               ;   in Loop: Header=BB9_29 Depth=2
	s_waitcnt lgkmcnt(0)
	v_add_u32_e32 v22, v4, v12
	v_ashrrev_i32_e32 v23, 31, v22
	v_lshlrev_b64 v[22:23], 2, v[22:23]
	v_mov_b32_e32 v4, s3
	v_add_co_u32_e32 v38, vcc, s2, v22
	v_addc_co_u32_e32 v39, vcc, v4, v23, vcc
	v_add_u32_e32 v4, v5, v10
	v_ashrrev_i32_e32 v5, 31, v4
	v_lshlrev_b64 v[4:5], 2, v[4:5]
	v_mov_b32_e32 v22, s3
	v_add_co_u32_e32 v4, vcc, s2, v4
	v_addc_co_u32_e32 v5, vcc, v22, v5, vcc
	global_load_dwordx4 v[22:25], v[4:5], off
	global_load_dwordx4 v[26:29], v[38:39], off
	global_load_dwordx4 v[30:33], v[38:39], off offset:16
	global_load_dwordx4 v[34:37], v[4:5], off offset:16
	s_waitcnt vmcnt(2)
	v_fmac_f32_e32 v21, v26, v22
	v_fmac_f32_e32 v21, v27, v23
	;; [unrolled: 1-line block ×4, first 2 shown]
	s_waitcnt vmcnt(0)
	v_fmac_f32_e32 v21, v30, v34
	v_fmac_f32_e32 v21, v31, v35
	;; [unrolled: 1-line block ×4, first 2 shown]
	v_mov_b32_e32 v22, v21
	s_add_i32 s24, s24, -1
	s_add_i32 s25, s25, 4
	s_cmp_eq_u32 s24, 0
	s_cbranch_scc1 .LBB9_35
.LBB9_34:                               ;   in Loop: Header=BB9_29 Depth=2
	v_mov_b32_e32 v21, v22
	s_branch .LBB9_29
.LBB9_35:                               ;   in Loop: Header=BB9_12 Depth=1
	ds_write_b32 v17, v22
	s_waitcnt lgkmcnt(0)
	ds_read_b32 v5, v20
	ds_read_b32 v4, v13
	s_waitcnt lgkmcnt(1)
	v_cmp_neq_f32_e32 vcc, 0, v5
	v_cndmask_b32_e32 v5, 1.0, v5, vcc
	s_nor_b64 s[24:25], vcc, s[0:1]
	s_and_saveexec_b64 s[22:23], s[24:25]
	s_cbranch_execz .LBB9_39
; %bb.36:                               ;   in Loop: Header=BB9_12 Depth=1
	v_mbcnt_lo_u32_b32 v5, exec_lo, 0
	v_mbcnt_hi_u32_b32 v5, exec_hi, v5
	v_cmp_eq_u32_e32 vcc, 0, v5
	s_and_saveexec_b64 s[24:25], vcc
	s_cbranch_execz .LBB9_38
; %bb.37:                               ;   in Loop: Header=BB9_12 Depth=1
	v_mov_b32_e32 v5, s21
	global_atomic_smin v20, v5, s[14:15]
.LBB9_38:                               ;   in Loop: Header=BB9_12 Depth=1
	s_or_b64 exec, exec, s[24:25]
	v_mov_b32_e32 v5, 1.0
.LBB9_39:                               ;   in Loop: Header=BB9_12 Depth=1
	s_or_b64 exec, exec, s[22:23]
	ds_read_b32 v21, v16
	s_waitcnt lgkmcnt(0)
	v_sub_f32_e32 v4, v4, v21
	v_div_scale_f32 v21, s[22:23], v5, v5, v4
	v_div_scale_f32 v22, vcc, v4, v5, v4
	v_rcp_f32_e32 v23, v21
	v_fma_f32 v24, -v21, v23, 1.0
	v_fmac_f32_e32 v23, v24, v23
	v_mul_f32_e32 v24, v22, v23
	v_fma_f32 v25, -v21, v24, v22
	v_fmac_f32_e32 v24, v25, v23
	v_fma_f32 v21, -v21, v24, v22
	v_div_fmas_f32 v21, v21, v23, v24
	v_div_fixup_f32 v4, v21, v5, v4
	ds_write_b32 v13, v4
	s_waitcnt lgkmcnt(0)
	ds_read_b32 v5, v18
	ds_read_b32 v21, v6
	s_waitcnt lgkmcnt(0)
	v_fmac_f32_e32 v21, v4, v5
	ds_write_b32 v6, v21
	s_waitcnt lgkmcnt(0)
	ds_read_b32 v5, v20 offset:40
	ds_read_b32 v4, v13 offset:4
	s_waitcnt lgkmcnt(1)
	v_cmp_neq_f32_e32 vcc, 0, v5
	v_cndmask_b32_e32 v5, 1.0, v5, vcc
	s_nor_b64 s[24:25], vcc, s[0:1]
	s_and_saveexec_b64 s[22:23], s[24:25]
	s_cbranch_execz .LBB9_43
; %bb.40:                               ;   in Loop: Header=BB9_12 Depth=1
	v_mbcnt_lo_u32_b32 v5, exec_lo, 0
	v_mbcnt_hi_u32_b32 v5, exec_hi, v5
	v_cmp_eq_u32_e32 vcc, 0, v5
	s_and_saveexec_b64 s[24:25], vcc
	s_cbranch_execz .LBB9_42
; %bb.41:                               ;   in Loop: Header=BB9_12 Depth=1
	v_mov_b32_e32 v5, s21
	global_atomic_smin v20, v5, s[14:15]
.LBB9_42:                               ;   in Loop: Header=BB9_12 Depth=1
	s_or_b64 exec, exec, s[24:25]
	v_mov_b32_e32 v5, 1.0
.LBB9_43:                               ;   in Loop: Header=BB9_12 Depth=1
	s_or_b64 exec, exec, s[22:23]
	ds_read_b32 v21, v20 offset:36
	ds_read_b32 v22, v13
	ds_read_b32 v23, v16 offset:4
	s_waitcnt lgkmcnt(0)
	v_fmac_f32_e32 v23, v21, v22
	v_sub_f32_e32 v4, v4, v23
	v_div_scale_f32 v21, s[22:23], v5, v5, v4
	v_div_scale_f32 v22, vcc, v4, v5, v4
	v_rcp_f32_e32 v23, v21
	v_fma_f32 v24, -v21, v23, 1.0
	v_fmac_f32_e32 v23, v24, v23
	v_mul_f32_e32 v24, v22, v23
	v_fma_f32 v25, -v21, v24, v22
	v_fmac_f32_e32 v24, v25, v23
	v_fma_f32 v21, -v21, v24, v22
	v_div_fmas_f32 v21, v21, v23, v24
	v_div_fixup_f32 v4, v21, v5, v4
	ds_write_b32 v13, v4 offset:4
	s_waitcnt lgkmcnt(0)
	ds_read_b32 v5, v18 offset:4
	ds_read_b32 v21, v6
	s_waitcnt lgkmcnt(0)
	v_fmac_f32_e32 v21, v4, v5
	ds_write_b32 v6, v21
	s_waitcnt lgkmcnt(0)
	ds_read_b32 v5, v20 offset:80
	ds_read_b32 v4, v13 offset:8
	s_waitcnt lgkmcnt(1)
	v_cmp_neq_f32_e32 vcc, 0, v5
	v_cndmask_b32_e32 v5, 1.0, v5, vcc
	s_nor_b64 s[24:25], vcc, s[0:1]
	s_and_saveexec_b64 s[22:23], s[24:25]
	s_cbranch_execz .LBB9_47
; %bb.44:                               ;   in Loop: Header=BB9_12 Depth=1
	v_mbcnt_lo_u32_b32 v5, exec_lo, 0
	v_mbcnt_hi_u32_b32 v5, exec_hi, v5
	v_cmp_eq_u32_e32 vcc, 0, v5
	s_and_saveexec_b64 s[24:25], vcc
	s_cbranch_execz .LBB9_46
; %bb.45:                               ;   in Loop: Header=BB9_12 Depth=1
	v_mov_b32_e32 v5, s21
	global_atomic_smin v20, v5, s[14:15]
.LBB9_46:                               ;   in Loop: Header=BB9_12 Depth=1
	s_or_b64 exec, exec, s[24:25]
	v_mov_b32_e32 v5, 1.0
.LBB9_47:                               ;   in Loop: Header=BB9_12 Depth=1
	s_or_b64 exec, exec, s[22:23]
	ds_read_b64 v[21:22], v20 offset:72
	ds_read2_b32 v[23:24], v13 offset1:1
	ds_read_b32 v25, v16 offset:8
	s_waitcnt lgkmcnt(0)
	v_fmac_f32_e32 v25, v21, v23
	v_fmac_f32_e32 v25, v22, v24
	v_sub_f32_e32 v4, v4, v25
	v_div_scale_f32 v21, s[22:23], v5, v5, v4
	v_div_scale_f32 v22, vcc, v4, v5, v4
	v_rcp_f32_e32 v23, v21
	v_fma_f32 v24, -v21, v23, 1.0
	v_fmac_f32_e32 v23, v24, v23
	v_mul_f32_e32 v24, v22, v23
	v_fma_f32 v25, -v21, v24, v22
	v_fmac_f32_e32 v24, v25, v23
	v_fma_f32 v21, -v21, v24, v22
	v_div_fmas_f32 v21, v21, v23, v24
	v_div_fixup_f32 v4, v21, v5, v4
	ds_write_b32 v13, v4 offset:8
	s_waitcnt lgkmcnt(0)
	ds_read_b32 v5, v18 offset:8
	ds_read_b32 v21, v6
	s_waitcnt lgkmcnt(0)
	v_fmac_f32_e32 v21, v4, v5
	ds_write_b32 v6, v21
	s_waitcnt lgkmcnt(0)
	ds_read_b32 v5, v20 offset:120
	ds_read_b32 v4, v13 offset:12
	s_waitcnt lgkmcnt(1)
	v_cmp_neq_f32_e32 vcc, 0, v5
	v_cndmask_b32_e32 v5, 1.0, v5, vcc
	s_nor_b64 s[24:25], vcc, s[0:1]
	s_and_saveexec_b64 s[22:23], s[24:25]
	s_cbranch_execz .LBB9_51
; %bb.48:                               ;   in Loop: Header=BB9_12 Depth=1
	v_mbcnt_lo_u32_b32 v5, exec_lo, 0
	v_mbcnt_hi_u32_b32 v5, exec_hi, v5
	v_cmp_eq_u32_e32 vcc, 0, v5
	s_and_saveexec_b64 s[24:25], vcc
	s_cbranch_execz .LBB9_50
; %bb.49:                               ;   in Loop: Header=BB9_12 Depth=1
	v_mov_b32_e32 v5, s21
	global_atomic_smin v20, v5, s[14:15]
.LBB9_50:                               ;   in Loop: Header=BB9_12 Depth=1
	s_or_b64 exec, exec, s[24:25]
	v_mov_b32_e32 v5, 1.0
.LBB9_51:                               ;   in Loop: Header=BB9_12 Depth=1
	s_or_b64 exec, exec, s[22:23]
	ds_read2_b32 v[21:22], v20 offset0:27 offset1:28
	ds_read_b32 v25, v16 offset:12
	ds_read2_b32 v[23:24], v13 offset1:1
	ds_read_b32 v26, v13 offset:8
	ds_read_b32 v27, v20 offset:116
	s_waitcnt lgkmcnt(2)
	v_fmac_f32_e32 v25, v21, v23
	v_fmac_f32_e32 v25, v22, v24
	s_waitcnt lgkmcnt(0)
	v_fmac_f32_e32 v25, v27, v26
	v_sub_f32_e32 v4, v4, v25
	v_div_scale_f32 v21, s[22:23], v5, v5, v4
	v_div_scale_f32 v22, vcc, v4, v5, v4
	v_rcp_f32_e32 v23, v21
	v_fma_f32 v24, -v21, v23, 1.0
	v_fmac_f32_e32 v23, v24, v23
	v_mul_f32_e32 v24, v22, v23
	v_fma_f32 v25, -v21, v24, v22
	v_fmac_f32_e32 v24, v25, v23
	v_fma_f32 v21, -v21, v24, v22
	v_div_fmas_f32 v21, v21, v23, v24
	v_div_fixup_f32 v4, v21, v5, v4
	ds_write_b32 v13, v4 offset:12
	s_waitcnt lgkmcnt(0)
	ds_read_b32 v5, v18 offset:12
	ds_read_b32 v21, v6
	s_waitcnt lgkmcnt(0)
	v_fmac_f32_e32 v21, v4, v5
	ds_write_b32 v6, v21
	s_waitcnt lgkmcnt(0)
	ds_read_b32 v5, v20 offset:160
	ds_read_b32 v4, v13 offset:16
	s_waitcnt lgkmcnt(1)
	v_cmp_neq_f32_e32 vcc, 0, v5
	v_cndmask_b32_e32 v5, 1.0, v5, vcc
	s_nor_b64 s[24:25], vcc, s[0:1]
	s_and_saveexec_b64 s[22:23], s[24:25]
	s_cbranch_execz .LBB9_55
; %bb.52:                               ;   in Loop: Header=BB9_12 Depth=1
	v_mbcnt_lo_u32_b32 v5, exec_lo, 0
	v_mbcnt_hi_u32_b32 v5, exec_hi, v5
	v_cmp_eq_u32_e32 vcc, 0, v5
	s_and_saveexec_b64 s[24:25], vcc
	s_cbranch_execz .LBB9_54
; %bb.53:                               ;   in Loop: Header=BB9_12 Depth=1
	v_mov_b32_e32 v5, s21
	global_atomic_smin v20, v5, s[14:15]
.LBB9_54:                               ;   in Loop: Header=BB9_12 Depth=1
	s_or_b64 exec, exec, s[24:25]
	v_mov_b32_e32 v5, 1.0
.LBB9_55:                               ;   in Loop: Header=BB9_12 Depth=1
	s_or_b64 exec, exec, s[22:23]
	ds_read_b128 v[21:24], v20 offset:144
	ds_read_b32 v29, v16 offset:16
	ds_read2_b32 v[25:26], v13 offset1:1
	ds_read2_b32 v[27:28], v13 offset0:2 offset1:3
	s_waitcnt lgkmcnt(1)
	v_fmac_f32_e32 v29, v21, v25
	v_fmac_f32_e32 v29, v22, v26
	s_waitcnt lgkmcnt(0)
	v_fmac_f32_e32 v29, v23, v27
	v_fmac_f32_e32 v29, v24, v28
	v_sub_f32_e32 v4, v4, v29
	v_div_scale_f32 v21, s[22:23], v5, v5, v4
	v_div_scale_f32 v22, vcc, v4, v5, v4
	v_rcp_f32_e32 v23, v21
	v_fma_f32 v24, -v21, v23, 1.0
	v_fmac_f32_e32 v23, v24, v23
	v_mul_f32_e32 v24, v22, v23
	v_fma_f32 v25, -v21, v24, v22
	v_fmac_f32_e32 v24, v25, v23
	v_fma_f32 v21, -v21, v24, v22
	v_div_fmas_f32 v21, v21, v23, v24
	v_div_fixup_f32 v4, v21, v5, v4
	ds_write_b32 v13, v4 offset:16
	s_waitcnt lgkmcnt(0)
	ds_read_b32 v5, v18 offset:16
	ds_read_b32 v21, v6
	s_waitcnt lgkmcnt(0)
	v_fmac_f32_e32 v21, v4, v5
	ds_write_b32 v6, v21
	s_waitcnt lgkmcnt(0)
	ds_read_b32 v5, v20 offset:200
	ds_read_b32 v4, v13 offset:20
	s_waitcnt lgkmcnt(1)
	v_cmp_neq_f32_e32 vcc, 0, v5
	v_cndmask_b32_e32 v5, 1.0, v5, vcc
	s_nor_b64 s[24:25], vcc, s[0:1]
	s_and_saveexec_b64 s[22:23], s[24:25]
	s_cbranch_execz .LBB9_59
; %bb.56:                               ;   in Loop: Header=BB9_12 Depth=1
	v_mbcnt_lo_u32_b32 v5, exec_lo, 0
	v_mbcnt_hi_u32_b32 v5, exec_hi, v5
	v_cmp_eq_u32_e32 vcc, 0, v5
	s_and_saveexec_b64 s[24:25], vcc
	s_cbranch_execz .LBB9_58
; %bb.57:                               ;   in Loop: Header=BB9_12 Depth=1
	v_mov_b32_e32 v5, s21
	global_atomic_smin v20, v5, s[14:15]
.LBB9_58:                               ;   in Loop: Header=BB9_12 Depth=1
	s_or_b64 exec, exec, s[24:25]
	v_mov_b32_e32 v5, 1.0
.LBB9_59:                               ;   in Loop: Header=BB9_12 Depth=1
	s_or_b64 exec, exec, s[22:23]
	ds_read2_b32 v[21:22], v13 offset1:1
	ds_read_b32 v29, v16 offset:20
	ds_read2_b32 v[23:24], v20 offset0:45 offset1:46
	ds_read2_b32 v[25:26], v20 offset0:47 offset1:48
	;; [unrolled: 1-line block ×3, first 2 shown]
	ds_read_b32 v30, v13 offset:16
	ds_read_b32 v31, v20 offset:196
	s_waitcnt lgkmcnt(4)
	v_fmac_f32_e32 v29, v23, v21
	v_fmac_f32_e32 v29, v24, v22
	s_waitcnt lgkmcnt(2)
	v_fmac_f32_e32 v29, v25, v27
	v_fmac_f32_e32 v29, v26, v28
	s_waitcnt lgkmcnt(0)
	v_fmac_f32_e32 v29, v31, v30
	v_sub_f32_e32 v4, v4, v29
	v_div_scale_f32 v21, s[22:23], v5, v5, v4
	v_div_scale_f32 v22, vcc, v4, v5, v4
	v_rcp_f32_e32 v23, v21
	v_fma_f32 v24, -v21, v23, 1.0
	v_fmac_f32_e32 v23, v24, v23
	v_mul_f32_e32 v24, v22, v23
	v_fma_f32 v25, -v21, v24, v22
	v_fmac_f32_e32 v24, v25, v23
	v_fma_f32 v21, -v21, v24, v22
	v_div_fmas_f32 v21, v21, v23, v24
	v_div_fixup_f32 v4, v21, v5, v4
	ds_write_b32 v13, v4 offset:20
	s_waitcnt lgkmcnt(0)
	ds_read_b32 v5, v18 offset:20
	ds_read_b32 v21, v6
	s_waitcnt lgkmcnt(0)
	v_fmac_f32_e32 v21, v4, v5
	ds_write_b32 v6, v21
	s_waitcnt lgkmcnt(0)
	ds_read_b32 v5, v20 offset:240
	ds_read_b32 v4, v13 offset:24
	s_waitcnt lgkmcnt(1)
	v_cmp_neq_f32_e32 vcc, 0, v5
	v_cndmask_b32_e32 v5, 1.0, v5, vcc
	s_nor_b64 s[24:25], vcc, s[0:1]
	s_and_saveexec_b64 s[22:23], s[24:25]
	s_cbranch_execz .LBB9_63
; %bb.60:                               ;   in Loop: Header=BB9_12 Depth=1
	v_mbcnt_lo_u32_b32 v5, exec_lo, 0
	v_mbcnt_hi_u32_b32 v5, exec_hi, v5
	v_cmp_eq_u32_e32 vcc, 0, v5
	s_and_saveexec_b64 s[24:25], vcc
	s_cbranch_execz .LBB9_62
; %bb.61:                               ;   in Loop: Header=BB9_12 Depth=1
	v_mov_b32_e32 v5, s21
	global_atomic_smin v20, v5, s[14:15]
.LBB9_62:                               ;   in Loop: Header=BB9_12 Depth=1
	s_or_b64 exec, exec, s[24:25]
	v_mov_b32_e32 v5, 1.0
.LBB9_63:                               ;   in Loop: Header=BB9_12 Depth=1
	s_or_b64 exec, exec, s[22:23]
	ds_read2_b64 v[21:24], v20 offset0:27 offset1:28
	ds_read2_b32 v[25:26], v13 offset1:1
	ds_read_b32 v33, v16 offset:24
	ds_read2_b32 v[27:28], v13 offset0:2 offset1:3
	ds_read2_b32 v[29:30], v13 offset0:4 offset1:5
	ds_read_b64 v[31:32], v20 offset:232
	s_waitcnt lgkmcnt(3)
	v_fmac_f32_e32 v33, v21, v25
	v_fmac_f32_e32 v33, v22, v26
	s_waitcnt lgkmcnt(2)
	v_fmac_f32_e32 v33, v23, v27
	v_fmac_f32_e32 v33, v24, v28
	;; [unrolled: 3-line block ×3, first 2 shown]
	v_sub_f32_e32 v4, v4, v33
	v_div_scale_f32 v21, s[22:23], v5, v5, v4
	v_div_scale_f32 v22, vcc, v4, v5, v4
	v_rcp_f32_e32 v23, v21
	v_fma_f32 v24, -v21, v23, 1.0
	v_fmac_f32_e32 v23, v24, v23
	v_mul_f32_e32 v24, v22, v23
	v_fma_f32 v25, -v21, v24, v22
	v_fmac_f32_e32 v24, v25, v23
	v_fma_f32 v21, -v21, v24, v22
	v_div_fmas_f32 v21, v21, v23, v24
	v_div_fixup_f32 v4, v21, v5, v4
	ds_write_b32 v13, v4 offset:24
	s_waitcnt lgkmcnt(0)
	ds_read_b32 v5, v18 offset:24
	ds_read_b32 v21, v6
	s_waitcnt lgkmcnt(0)
	v_fmac_f32_e32 v21, v4, v5
	ds_write_b32 v6, v21
	s_waitcnt lgkmcnt(0)
	ds_read_b32 v5, v20 offset:280
	ds_read_b32 v4, v13 offset:28
	s_waitcnt lgkmcnt(1)
	v_cmp_neq_f32_e32 vcc, 0, v5
	v_cndmask_b32_e32 v5, 1.0, v5, vcc
	s_nor_b64 s[24:25], vcc, s[0:1]
	s_and_saveexec_b64 s[22:23], s[24:25]
	s_cbranch_execz .LBB9_11
; %bb.64:                               ;   in Loop: Header=BB9_12 Depth=1
	v_mbcnt_lo_u32_b32 v5, exec_lo, 0
	v_mbcnt_hi_u32_b32 v5, exec_hi, v5
	v_cmp_eq_u32_e32 vcc, 0, v5
	s_and_saveexec_b64 s[24:25], vcc
	s_cbranch_execz .LBB9_10
; %bb.65:                               ;   in Loop: Header=BB9_12 Depth=1
	v_mov_b32_e32 v5, s21
	global_atomic_smin v20, v5, s[14:15]
	s_branch .LBB9_10
.LBB9_66:                               ;   in Loop: Header=BB9_12 Depth=1
                                        ; implicit-def: $sgpr20
	s_cbranch_execz .LBB9_12
.LBB9_67:
	s_waitcnt lgkmcnt(0)
	s_cmp_eq_u32 s33, 0
	s_cselect_b64 vcc, -1, 0
	v_cndmask_b32_e32 v2, v11, v9, vcc
	v_lshl_add_u32 v2, s30, 6, v2
	v_ashrrev_i32_e32 v3, 31, v2
	v_lshlrev_b64 v[2:3], 2, v[2:3]
	v_mov_b32_e32 v4, s3
	v_add_co_u32_e32 v2, vcc, s2, v2
	v_addc_co_u32_e32 v3, vcc, v4, v3, vcc
	global_load_dword v9, v[2:3], off
	v_mov_b32_e32 v4, 0x240
	v_mad_u32_u24 v5, v1, 36, v4
	v_cmp_ne_u32_e32 vcc, 0, v1
	v_lshl_add_u32 v4, v0, 2, v5
	v_cmp_eq_u32_e64 s[0:1], 0, v1
	s_waitcnt vmcnt(0)
	ds_write_b32 v4, v9
	s_waitcnt lgkmcnt(0)
	s_and_saveexec_b64 s[4:5], s[0:1]
	s_cbranch_execz .LBB9_69
; %bb.68:
	v_mov_b32_e32 v11, 0
	ds_read2_b32 v[9:10], v11 offset0:144 offset1:216
	s_mov_b32 s2, 0xf800000
	s_waitcnt lgkmcnt(0)
	v_sub_f32_e32 v9, v9, v10
	v_cmp_gt_f32_e64 s[0:1], 0, v9
	v_cndmask_b32_e64 v9, v9, -v9, s[0:1]
	v_mul_f32_e32 v10, 0x4f800000, v9
	v_cmp_gt_f32_e64 s[0:1], s2, v9
	v_cndmask_b32_e64 v9, v9, v10, s[0:1]
	v_sqrt_f32_e32 v10, v9
	v_add_u32_e32 v12, -1, v10
	v_add_u32_e32 v13, 1, v10
	v_fma_f32 v14, -v12, v10, v9
	v_fma_f32 v15, -v13, v10, v9
	v_cmp_ge_f32_e64 s[2:3], 0, v14
	v_cndmask_b32_e64 v10, v10, v12, s[2:3]
	v_cmp_lt_f32_e64 s[2:3], 0, v15
	v_cndmask_b32_e64 v10, v10, v13, s[2:3]
	v_mul_f32_e32 v12, 0x37800000, v10
	v_cndmask_b32_e64 v10, v10, v12, s[0:1]
	v_mov_b32_e32 v12, 0x260
	v_cmp_class_f32_e64 s[0:1], v9, v12
	v_cndmask_b32_e64 v9, v10, v9, s[0:1]
	ds_write_b32 v11, v9 offset:576
.LBB9_69:
	s_or_b64 exec, exec, s[4:5]
	v_mov_b32_e32 v9, 0
	s_waitcnt lgkmcnt(0)
	ds_read_b32 v9, v9 offset:576
	v_cmp_ne_u32_e64 s[0:1], 0, v7
	s_add_i32 s16, s12, s13
	s_waitcnt lgkmcnt(0)
	v_cmp_neq_f32_e64 s[2:3], 0, v9
	v_cndmask_b32_e64 v10, 1.0, v9, s[2:3]
	s_nor_b64 s[2:3], s[2:3], s[0:1]
	s_and_saveexec_b64 s[4:5], s[2:3]
	s_cbranch_execz .LBB9_73
; %bb.70:
	v_mbcnt_lo_u32_b32 v9, exec_lo, 0
	v_mbcnt_hi_u32_b32 v9, exec_hi, v9
	v_cmp_eq_u32_e64 s[2:3], 0, v9
	s_and_saveexec_b64 s[8:9], s[2:3]
	s_cbranch_execz .LBB9_72
; %bb.71:
	v_mov_b32_e32 v9, 0
	v_mov_b32_e32 v10, s16
	global_atomic_smin v9, v10, s[14:15]
.LBB9_72:
	s_or_b64 exec, exec, s[8:9]
	v_mov_b32_e32 v10, 1.0
.LBB9_73:
	s_or_b64 exec, exec, s[4:5]
	v_mov_b32_e32 v9, 0x240
	v_mad_u32_u24 v9, v0, 36, v9
	s_and_saveexec_b64 s[2:3], vcc
	s_cbranch_execz .LBB9_75
; %bb.74:
	ds_read_b32 v11, v5
	ds_read_b32 v12, v8
	s_waitcnt lgkmcnt(0)
	v_sub_f32_e32 v11, v11, v12
	v_div_scale_f32 v12, s[4:5], v10, v10, v11
	v_div_scale_f32 v13, vcc, v11, v10, v11
	v_rcp_f32_e32 v14, v12
	v_fma_f32 v15, -v12, v14, 1.0
	v_fmac_f32_e32 v14, v15, v14
	v_mul_f32_e32 v15, v13, v14
	v_fma_f32 v16, -v12, v15, v13
	v_fmac_f32_e32 v15, v16, v14
	v_fma_f32 v12, -v12, v15, v13
	v_div_fmas_f32 v12, v12, v14, v15
	v_div_fixup_f32 v10, v12, v10, v11
	ds_write_b32 v5, v10
	s_waitcnt lgkmcnt(0)
	ds_read_b32 v11, v9
	ds_read_b32 v12, v6
	s_waitcnt lgkmcnt(0)
	v_fmac_f32_e32 v12, v10, v11
	ds_write_b32 v6, v12
.LBB9_75:
	s_or_b64 exec, exec, s[2:3]
	v_cmp_eq_u32_e32 vcc, 1, v1
	s_waitcnt lgkmcnt(0)
	s_and_saveexec_b64 s[4:5], vcc
	s_cbranch_execz .LBB9_77
; %bb.76:
	v_mov_b32_e32 v12, 0
	ds_read2_b32 v[10:11], v12 offset0:154 offset1:226
	s_mov_b32 s2, 0xf800000
	s_waitcnt lgkmcnt(0)
	v_sub_f32_e32 v10, v10, v11
	v_cmp_gt_f32_e32 vcc, 0, v10
	v_cndmask_b32_e64 v10, v10, -v10, vcc
	v_mul_f32_e32 v11, 0x4f800000, v10
	v_cmp_gt_f32_e32 vcc, s2, v10
	v_cndmask_b32_e32 v10, v10, v11, vcc
	v_sqrt_f32_e32 v11, v10
	v_add_u32_e32 v13, -1, v11
	v_add_u32_e32 v14, 1, v11
	v_fma_f32 v15, -v13, v11, v10
	v_fma_f32 v16, -v14, v11, v10
	v_cmp_ge_f32_e64 s[2:3], 0, v15
	v_cndmask_b32_e64 v11, v11, v13, s[2:3]
	v_cmp_lt_f32_e64 s[2:3], 0, v16
	v_cndmask_b32_e64 v11, v11, v14, s[2:3]
	v_mul_f32_e32 v13, 0x37800000, v11
	v_cndmask_b32_e32 v11, v11, v13, vcc
	v_mov_b32_e32 v13, 0x260
	v_cmp_class_f32_e32 vcc, v10, v13
	v_cndmask_b32_e32 v10, v11, v10, vcc
	ds_write_b32 v12, v10 offset:616
.LBB9_77:
	s_or_b64 exec, exec, s[4:5]
	v_mov_b32_e32 v10, 0
	s_waitcnt lgkmcnt(0)
	ds_read_b32 v10, v10 offset:616
	s_waitcnt lgkmcnt(0)
	v_cmp_neq_f32_e32 vcc, 0, v10
	v_cndmask_b32_e32 v10, 1.0, v10, vcc
	s_nor_b64 s[4:5], vcc, s[0:1]
	s_and_saveexec_b64 s[2:3], s[4:5]
	s_cbranch_execz .LBB9_81
; %bb.78:
	v_mbcnt_lo_u32_b32 v10, exec_lo, 0
	v_mbcnt_hi_u32_b32 v10, exec_hi, v10
	v_cmp_eq_u32_e32 vcc, 0, v10
	s_and_saveexec_b64 s[4:5], vcc
	s_cbranch_execz .LBB9_80
; %bb.79:
	v_mov_b32_e32 v10, 0
	v_mov_b32_e32 v11, s16
	global_atomic_smin v10, v11, s[14:15]
.LBB9_80:
	s_or_b64 exec, exec, s[4:5]
	v_mov_b32_e32 v10, 1.0
.LBB9_81:
	s_or_b64 exec, exec, s[2:3]
	v_cmp_lt_u32_e32 vcc, 1, v1
	s_and_saveexec_b64 s[2:3], vcc
	s_cbranch_execz .LBB9_83
; %bb.82:
	ds_read_b32 v11, v5 offset:4
	ds_read_b32 v12, v8 offset:4
	s_waitcnt lgkmcnt(0)
	v_sub_f32_e32 v11, v11, v12
	v_div_scale_f32 v12, s[4:5], v10, v10, v11
	v_div_scale_f32 v13, vcc, v11, v10, v11
	v_rcp_f32_e32 v14, v12
	v_fma_f32 v15, -v12, v14, 1.0
	v_fmac_f32_e32 v14, v15, v14
	v_mul_f32_e32 v15, v13, v14
	v_fma_f32 v16, -v12, v15, v13
	v_fmac_f32_e32 v15, v16, v14
	v_fma_f32 v12, -v12, v15, v13
	v_div_fmas_f32 v12, v12, v14, v15
	v_div_fixup_f32 v10, v12, v10, v11
	ds_write_b32 v5, v10 offset:4
	s_waitcnt lgkmcnt(0)
	ds_read_b32 v11, v9 offset:4
	ds_read_b32 v12, v6
	s_waitcnt lgkmcnt(0)
	v_fmac_f32_e32 v12, v10, v11
	ds_write_b32 v6, v12
.LBB9_83:
	s_or_b64 exec, exec, s[2:3]
	v_cmp_eq_u32_e32 vcc, 2, v1
	s_waitcnt lgkmcnt(0)
	s_and_saveexec_b64 s[4:5], vcc
	s_cbranch_execz .LBB9_85
; %bb.84:
	v_mov_b32_e32 v12, 0
	ds_read2_b32 v[10:11], v12 offset0:164 offset1:236
	s_mov_b32 s2, 0xf800000
	s_waitcnt lgkmcnt(0)
	v_sub_f32_e32 v10, v10, v11
	v_cmp_gt_f32_e32 vcc, 0, v10
	v_cndmask_b32_e64 v10, v10, -v10, vcc
	v_mul_f32_e32 v11, 0x4f800000, v10
	v_cmp_gt_f32_e32 vcc, s2, v10
	v_cndmask_b32_e32 v10, v10, v11, vcc
	v_sqrt_f32_e32 v11, v10
	v_add_u32_e32 v13, -1, v11
	v_add_u32_e32 v14, 1, v11
	v_fma_f32 v15, -v13, v11, v10
	v_fma_f32 v16, -v14, v11, v10
	v_cmp_ge_f32_e64 s[2:3], 0, v15
	v_cndmask_b32_e64 v11, v11, v13, s[2:3]
	v_cmp_lt_f32_e64 s[2:3], 0, v16
	v_cndmask_b32_e64 v11, v11, v14, s[2:3]
	v_mul_f32_e32 v13, 0x37800000, v11
	v_cndmask_b32_e32 v11, v11, v13, vcc
	v_mov_b32_e32 v13, 0x260
	v_cmp_class_f32_e32 vcc, v10, v13
	v_cndmask_b32_e32 v10, v11, v10, vcc
	ds_write_b32 v12, v10 offset:656
.LBB9_85:
	s_or_b64 exec, exec, s[4:5]
	v_mov_b32_e32 v10, 0
	s_waitcnt lgkmcnt(0)
	ds_read_b32 v10, v10 offset:656
	s_waitcnt lgkmcnt(0)
	v_cmp_neq_f32_e32 vcc, 0, v10
	v_cndmask_b32_e32 v10, 1.0, v10, vcc
	s_nor_b64 s[4:5], vcc, s[0:1]
	s_and_saveexec_b64 s[2:3], s[4:5]
	s_cbranch_execz .LBB9_89
; %bb.86:
	v_mbcnt_lo_u32_b32 v10, exec_lo, 0
	v_mbcnt_hi_u32_b32 v10, exec_hi, v10
	v_cmp_eq_u32_e32 vcc, 0, v10
	s_and_saveexec_b64 s[4:5], vcc
	s_cbranch_execz .LBB9_88
; %bb.87:
	v_mov_b32_e32 v10, 0
	v_mov_b32_e32 v11, s16
	global_atomic_smin v10, v11, s[14:15]
.LBB9_88:
	s_or_b64 exec, exec, s[4:5]
	v_mov_b32_e32 v10, 1.0
.LBB9_89:
	s_or_b64 exec, exec, s[2:3]
	v_cmp_lt_u32_e32 vcc, 2, v1
	s_and_saveexec_b64 s[2:3], vcc
	s_cbranch_execz .LBB9_91
; %bb.90:
	ds_read_b32 v11, v5 offset:8
	ds_read_b32 v12, v8 offset:8
	s_waitcnt lgkmcnt(0)
	v_sub_f32_e32 v11, v11, v12
	v_div_scale_f32 v12, s[4:5], v10, v10, v11
	v_div_scale_f32 v13, vcc, v11, v10, v11
	v_rcp_f32_e32 v14, v12
	v_fma_f32 v15, -v12, v14, 1.0
	v_fmac_f32_e32 v14, v15, v14
	v_mul_f32_e32 v15, v13, v14
	v_fma_f32 v16, -v12, v15, v13
	v_fmac_f32_e32 v15, v16, v14
	v_fma_f32 v12, -v12, v15, v13
	v_div_fmas_f32 v12, v12, v14, v15
	v_div_fixup_f32 v10, v12, v10, v11
	ds_write_b32 v5, v10 offset:8
	s_waitcnt lgkmcnt(0)
	ds_read_b32 v11, v9 offset:8
	ds_read_b32 v12, v6
	s_waitcnt lgkmcnt(0)
	v_fmac_f32_e32 v12, v10, v11
	ds_write_b32 v6, v12
.LBB9_91:
	s_or_b64 exec, exec, s[2:3]
	v_cmp_eq_u32_e32 vcc, 3, v1
	s_waitcnt lgkmcnt(0)
	s_and_saveexec_b64 s[4:5], vcc
	s_cbranch_execz .LBB9_93
; %bb.92:
	v_mov_b32_e32 v12, 0
	ds_read2_b32 v[10:11], v12 offset0:174 offset1:246
	s_mov_b32 s2, 0xf800000
	s_waitcnt lgkmcnt(0)
	v_sub_f32_e32 v10, v10, v11
	v_cmp_gt_f32_e32 vcc, 0, v10
	v_cndmask_b32_e64 v10, v10, -v10, vcc
	v_mul_f32_e32 v11, 0x4f800000, v10
	v_cmp_gt_f32_e32 vcc, s2, v10
	v_cndmask_b32_e32 v10, v10, v11, vcc
	v_sqrt_f32_e32 v11, v10
	v_add_u32_e32 v13, -1, v11
	v_add_u32_e32 v14, 1, v11
	v_fma_f32 v15, -v13, v11, v10
	v_fma_f32 v16, -v14, v11, v10
	v_cmp_ge_f32_e64 s[2:3], 0, v15
	v_cndmask_b32_e64 v11, v11, v13, s[2:3]
	v_cmp_lt_f32_e64 s[2:3], 0, v16
	v_cndmask_b32_e64 v11, v11, v14, s[2:3]
	v_mul_f32_e32 v13, 0x37800000, v11
	v_cndmask_b32_e32 v11, v11, v13, vcc
	v_mov_b32_e32 v13, 0x260
	v_cmp_class_f32_e32 vcc, v10, v13
	v_cndmask_b32_e32 v10, v11, v10, vcc
	ds_write_b32 v12, v10 offset:696
.LBB9_93:
	s_or_b64 exec, exec, s[4:5]
	v_mov_b32_e32 v10, 0
	s_waitcnt lgkmcnt(0)
	ds_read_b32 v10, v10 offset:696
	s_waitcnt lgkmcnt(0)
	v_cmp_neq_f32_e32 vcc, 0, v10
	v_cndmask_b32_e32 v10, 1.0, v10, vcc
	s_nor_b64 s[4:5], vcc, s[0:1]
	s_and_saveexec_b64 s[2:3], s[4:5]
	s_cbranch_execz .LBB9_97
; %bb.94:
	v_mbcnt_lo_u32_b32 v10, exec_lo, 0
	v_mbcnt_hi_u32_b32 v10, exec_hi, v10
	v_cmp_eq_u32_e32 vcc, 0, v10
	s_and_saveexec_b64 s[4:5], vcc
	s_cbranch_execz .LBB9_96
; %bb.95:
	v_mov_b32_e32 v10, 0
	v_mov_b32_e32 v11, s16
	global_atomic_smin v10, v11, s[14:15]
.LBB9_96:
	s_or_b64 exec, exec, s[4:5]
	v_mov_b32_e32 v10, 1.0
.LBB9_97:
	s_or_b64 exec, exec, s[2:3]
	v_cmp_lt_u32_e32 vcc, 3, v1
	s_and_saveexec_b64 s[2:3], vcc
	s_cbranch_execz .LBB9_99
; %bb.98:
	ds_read_b32 v11, v5 offset:12
	ds_read_b32 v12, v8 offset:12
	s_waitcnt lgkmcnt(0)
	v_sub_f32_e32 v11, v11, v12
	v_div_scale_f32 v12, s[4:5], v10, v10, v11
	v_div_scale_f32 v13, vcc, v11, v10, v11
	v_rcp_f32_e32 v14, v12
	v_fma_f32 v15, -v12, v14, 1.0
	v_fmac_f32_e32 v14, v15, v14
	v_mul_f32_e32 v15, v13, v14
	v_fma_f32 v16, -v12, v15, v13
	v_fmac_f32_e32 v15, v16, v14
	v_fma_f32 v12, -v12, v15, v13
	v_div_fmas_f32 v12, v12, v14, v15
	v_div_fixup_f32 v10, v12, v10, v11
	ds_write_b32 v5, v10 offset:12
	s_waitcnt lgkmcnt(0)
	ds_read_b32 v11, v9 offset:12
	ds_read_b32 v12, v6
	s_waitcnt lgkmcnt(0)
	v_fmac_f32_e32 v12, v10, v11
	ds_write_b32 v6, v12
.LBB9_99:
	s_or_b64 exec, exec, s[2:3]
	v_cmp_eq_u32_e32 vcc, 4, v1
	s_waitcnt lgkmcnt(0)
	s_and_saveexec_b64 s[4:5], vcc
	s_cbranch_execz .LBB9_101
; %bb.100:
	s_movk_i32 s2, 0x200
	v_add_u32_e64 v10, s2, 0
	ds_read2_b32 v[10:11], v10 offset0:56 offset1:128
	s_mov_b32 s2, 0xf800000
	v_mov_b32_e32 v12, 0
	s_waitcnt lgkmcnt(0)
	v_sub_f32_e32 v10, v10, v11
	v_cmp_gt_f32_e32 vcc, 0, v10
	v_cndmask_b32_e64 v10, v10, -v10, vcc
	v_mul_f32_e32 v11, 0x4f800000, v10
	v_cmp_gt_f32_e32 vcc, s2, v10
	v_cndmask_b32_e32 v10, v10, v11, vcc
	v_sqrt_f32_e32 v11, v10
	v_add_u32_e32 v13, -1, v11
	v_add_u32_e32 v14, 1, v11
	v_fma_f32 v15, -v13, v11, v10
	v_fma_f32 v16, -v14, v11, v10
	v_cmp_ge_f32_e64 s[2:3], 0, v15
	v_cndmask_b32_e64 v11, v11, v13, s[2:3]
	v_cmp_lt_f32_e64 s[2:3], 0, v16
	v_cndmask_b32_e64 v11, v11, v14, s[2:3]
	v_mul_f32_e32 v13, 0x37800000, v11
	v_cndmask_b32_e32 v11, v11, v13, vcc
	v_mov_b32_e32 v13, 0x260
	v_cmp_class_f32_e32 vcc, v10, v13
	v_cndmask_b32_e32 v10, v11, v10, vcc
	ds_write_b32 v12, v10 offset:736
.LBB9_101:
	s_or_b64 exec, exec, s[4:5]
	v_mov_b32_e32 v10, 0
	s_waitcnt lgkmcnt(0)
	ds_read_b32 v10, v10 offset:736
	s_waitcnt lgkmcnt(0)
	v_cmp_neq_f32_e32 vcc, 0, v10
	v_cndmask_b32_e32 v10, 1.0, v10, vcc
	s_nor_b64 s[4:5], vcc, s[0:1]
	s_and_saveexec_b64 s[2:3], s[4:5]
	s_cbranch_execz .LBB9_105
; %bb.102:
	v_mbcnt_lo_u32_b32 v10, exec_lo, 0
	v_mbcnt_hi_u32_b32 v10, exec_hi, v10
	v_cmp_eq_u32_e32 vcc, 0, v10
	s_and_saveexec_b64 s[4:5], vcc
	s_cbranch_execz .LBB9_104
; %bb.103:
	v_mov_b32_e32 v10, 0
	v_mov_b32_e32 v11, s16
	global_atomic_smin v10, v11, s[14:15]
.LBB9_104:
	s_or_b64 exec, exec, s[4:5]
	v_mov_b32_e32 v10, 1.0
.LBB9_105:
	s_or_b64 exec, exec, s[2:3]
	v_cmp_lt_u32_e32 vcc, 4, v1
	s_and_saveexec_b64 s[2:3], vcc
	s_cbranch_execz .LBB9_107
; %bb.106:
	ds_read_b32 v11, v5 offset:16
	ds_read_b32 v12, v8 offset:16
	s_waitcnt lgkmcnt(0)
	v_sub_f32_e32 v11, v11, v12
	v_div_scale_f32 v12, s[4:5], v10, v10, v11
	v_div_scale_f32 v13, vcc, v11, v10, v11
	v_rcp_f32_e32 v14, v12
	v_fma_f32 v15, -v12, v14, 1.0
	v_fmac_f32_e32 v14, v15, v14
	v_mul_f32_e32 v15, v13, v14
	v_fma_f32 v16, -v12, v15, v13
	v_fmac_f32_e32 v15, v16, v14
	v_fma_f32 v12, -v12, v15, v13
	v_div_fmas_f32 v12, v12, v14, v15
	v_div_fixup_f32 v10, v12, v10, v11
	ds_write_b32 v5, v10 offset:16
	s_waitcnt lgkmcnt(0)
	ds_read_b32 v11, v9 offset:16
	ds_read_b32 v12, v6
	s_waitcnt lgkmcnt(0)
	v_fmac_f32_e32 v12, v10, v11
	ds_write_b32 v6, v12
.LBB9_107:
	s_or_b64 exec, exec, s[2:3]
	v_cmp_eq_u32_e32 vcc, 5, v1
	s_waitcnt lgkmcnt(0)
	s_and_saveexec_b64 s[4:5], vcc
	s_cbranch_execz .LBB9_109
; %bb.108:
	s_movk_i32 s2, 0x200
	v_add_u32_e64 v10, s2, 0
	ds_read2_b32 v[10:11], v10 offset0:66 offset1:138
	s_mov_b32 s2, 0xf800000
	v_mov_b32_e32 v12, 0
	s_waitcnt lgkmcnt(0)
	v_sub_f32_e32 v10, v10, v11
	v_cmp_gt_f32_e32 vcc, 0, v10
	v_cndmask_b32_e64 v10, v10, -v10, vcc
	v_mul_f32_e32 v11, 0x4f800000, v10
	v_cmp_gt_f32_e32 vcc, s2, v10
	v_cndmask_b32_e32 v10, v10, v11, vcc
	v_sqrt_f32_e32 v11, v10
	v_add_u32_e32 v13, -1, v11
	v_add_u32_e32 v14, 1, v11
	v_fma_f32 v15, -v13, v11, v10
	v_fma_f32 v16, -v14, v11, v10
	v_cmp_ge_f32_e64 s[2:3], 0, v15
	v_cndmask_b32_e64 v11, v11, v13, s[2:3]
	v_cmp_lt_f32_e64 s[2:3], 0, v16
	v_cndmask_b32_e64 v11, v11, v14, s[2:3]
	v_mul_f32_e32 v13, 0x37800000, v11
	v_cndmask_b32_e32 v11, v11, v13, vcc
	v_mov_b32_e32 v13, 0x260
	v_cmp_class_f32_e32 vcc, v10, v13
	v_cndmask_b32_e32 v10, v11, v10, vcc
	ds_write_b32 v12, v10 offset:776
.LBB9_109:
	s_or_b64 exec, exec, s[4:5]
	v_mov_b32_e32 v10, 0
	s_waitcnt lgkmcnt(0)
	ds_read_b32 v10, v10 offset:776
	s_waitcnt lgkmcnt(0)
	v_cmp_neq_f32_e32 vcc, 0, v10
	v_cndmask_b32_e32 v10, 1.0, v10, vcc
	s_nor_b64 s[4:5], vcc, s[0:1]
	s_and_saveexec_b64 s[2:3], s[4:5]
	s_cbranch_execz .LBB9_113
; %bb.110:
	v_mbcnt_lo_u32_b32 v10, exec_lo, 0
	v_mbcnt_hi_u32_b32 v10, exec_hi, v10
	v_cmp_eq_u32_e32 vcc, 0, v10
	s_and_saveexec_b64 s[4:5], vcc
	s_cbranch_execz .LBB9_112
; %bb.111:
	v_mov_b32_e32 v10, 0
	v_mov_b32_e32 v11, s16
	global_atomic_smin v10, v11, s[14:15]
.LBB9_112:
	s_or_b64 exec, exec, s[4:5]
	v_mov_b32_e32 v10, 1.0
.LBB9_113:
	s_or_b64 exec, exec, s[2:3]
	v_cmp_lt_u32_e32 vcc, 5, v1
	s_and_saveexec_b64 s[2:3], vcc
	s_cbranch_execz .LBB9_115
; %bb.114:
	ds_read_b32 v11, v5 offset:20
	ds_read_b32 v12, v8 offset:20
	s_waitcnt lgkmcnt(0)
	v_sub_f32_e32 v11, v11, v12
	v_div_scale_f32 v12, s[4:5], v10, v10, v11
	v_div_scale_f32 v13, vcc, v11, v10, v11
	v_rcp_f32_e32 v14, v12
	v_fma_f32 v15, -v12, v14, 1.0
	v_fmac_f32_e32 v14, v15, v14
	v_mul_f32_e32 v15, v13, v14
	v_fma_f32 v16, -v12, v15, v13
	v_fmac_f32_e32 v15, v16, v14
	v_fma_f32 v12, -v12, v15, v13
	v_div_fmas_f32 v12, v12, v14, v15
	v_div_fixup_f32 v10, v12, v10, v11
	ds_write_b32 v5, v10 offset:20
	s_waitcnt lgkmcnt(0)
	ds_read_b32 v11, v9 offset:20
	ds_read_b32 v12, v6
	s_waitcnt lgkmcnt(0)
	v_fmac_f32_e32 v12, v10, v11
	ds_write_b32 v6, v12
.LBB9_115:
	s_or_b64 exec, exec, s[2:3]
	v_cmp_eq_u32_e32 vcc, 6, v1
	s_waitcnt lgkmcnt(0)
	s_and_saveexec_b64 s[4:5], vcc
	s_cbranch_execz .LBB9_117
; %bb.116:
	s_movk_i32 s2, 0x200
	v_add_u32_e64 v10, s2, 0
	ds_read2_b32 v[10:11], v10 offset0:76 offset1:148
	s_mov_b32 s2, 0xf800000
	v_mov_b32_e32 v12, 0
	s_waitcnt lgkmcnt(0)
	v_sub_f32_e32 v10, v10, v11
	v_cmp_gt_f32_e32 vcc, 0, v10
	v_cndmask_b32_e64 v10, v10, -v10, vcc
	v_mul_f32_e32 v11, 0x4f800000, v10
	v_cmp_gt_f32_e32 vcc, s2, v10
	v_cndmask_b32_e32 v10, v10, v11, vcc
	v_sqrt_f32_e32 v11, v10
	v_add_u32_e32 v13, -1, v11
	v_add_u32_e32 v14, 1, v11
	v_fma_f32 v15, -v13, v11, v10
	v_fma_f32 v16, -v14, v11, v10
	v_cmp_ge_f32_e64 s[2:3], 0, v15
	v_cndmask_b32_e64 v11, v11, v13, s[2:3]
	v_cmp_lt_f32_e64 s[2:3], 0, v16
	v_cndmask_b32_e64 v11, v11, v14, s[2:3]
	v_mul_f32_e32 v13, 0x37800000, v11
	v_cndmask_b32_e32 v11, v11, v13, vcc
	v_mov_b32_e32 v13, 0x260
	v_cmp_class_f32_e32 vcc, v10, v13
	v_cndmask_b32_e32 v10, v11, v10, vcc
	ds_write_b32 v12, v10 offset:816
.LBB9_117:
	s_or_b64 exec, exec, s[4:5]
	v_mov_b32_e32 v10, 0
	s_waitcnt lgkmcnt(0)
	ds_read_b32 v10, v10 offset:816
	s_waitcnt lgkmcnt(0)
	v_cmp_neq_f32_e32 vcc, 0, v10
	v_cndmask_b32_e32 v10, 1.0, v10, vcc
	s_nor_b64 s[4:5], vcc, s[0:1]
	s_and_saveexec_b64 s[2:3], s[4:5]
	s_cbranch_execz .LBB9_121
; %bb.118:
	v_mbcnt_lo_u32_b32 v10, exec_lo, 0
	v_mbcnt_hi_u32_b32 v10, exec_hi, v10
	v_cmp_eq_u32_e32 vcc, 0, v10
	s_and_saveexec_b64 s[4:5], vcc
	s_cbranch_execz .LBB9_120
; %bb.119:
	v_mov_b32_e32 v10, 0
	v_mov_b32_e32 v11, s16
	global_atomic_smin v10, v11, s[14:15]
.LBB9_120:
	s_or_b64 exec, exec, s[4:5]
	v_mov_b32_e32 v10, 1.0
.LBB9_121:
	s_or_b64 exec, exec, s[2:3]
	v_cmp_lt_u32_e32 vcc, 6, v1
	s_and_saveexec_b64 s[2:3], vcc
	s_cbranch_execz .LBB9_123
; %bb.122:
	ds_read_b32 v11, v5 offset:24
	ds_read_b32 v12, v8 offset:24
	s_waitcnt lgkmcnt(0)
	v_sub_f32_e32 v11, v11, v12
	v_div_scale_f32 v12, s[4:5], v10, v10, v11
	v_div_scale_f32 v13, vcc, v11, v10, v11
	v_rcp_f32_e32 v14, v12
	v_fma_f32 v15, -v12, v14, 1.0
	v_fmac_f32_e32 v14, v15, v14
	v_mul_f32_e32 v15, v13, v14
	v_fma_f32 v16, -v12, v15, v13
	v_fmac_f32_e32 v15, v16, v14
	v_fma_f32 v12, -v12, v15, v13
	v_div_fmas_f32 v12, v12, v14, v15
	v_div_fixup_f32 v10, v12, v10, v11
	ds_write_b32 v5, v10 offset:24
	s_waitcnt lgkmcnt(0)
	ds_read_b32 v11, v9 offset:24
	ds_read_b32 v12, v6
	s_waitcnt lgkmcnt(0)
	v_fmac_f32_e32 v12, v10, v11
	ds_write_b32 v6, v12
.LBB9_123:
	s_or_b64 exec, exec, s[2:3]
	v_cmp_eq_u32_e32 vcc, 7, v1
	s_waitcnt lgkmcnt(0)
	s_and_saveexec_b64 s[4:5], vcc
	s_cbranch_execz .LBB9_125
; %bb.124:
	s_movk_i32 s2, 0x200
	v_add_u32_e64 v10, s2, 0
	ds_read2_b32 v[10:11], v10 offset0:86 offset1:158
	s_mov_b32 s2, 0xf800000
	v_mov_b32_e32 v12, 0
	s_waitcnt lgkmcnt(0)
	v_sub_f32_e32 v10, v10, v11
	v_cmp_gt_f32_e32 vcc, 0, v10
	v_cndmask_b32_e64 v10, v10, -v10, vcc
	v_mul_f32_e32 v11, 0x4f800000, v10
	v_cmp_gt_f32_e32 vcc, s2, v10
	v_cndmask_b32_e32 v10, v10, v11, vcc
	v_sqrt_f32_e32 v11, v10
	v_add_u32_e32 v13, -1, v11
	v_add_u32_e32 v14, 1, v11
	v_fma_f32 v15, -v13, v11, v10
	v_fma_f32 v16, -v14, v11, v10
	v_cmp_ge_f32_e64 s[2:3], 0, v15
	v_cndmask_b32_e64 v11, v11, v13, s[2:3]
	v_cmp_lt_f32_e64 s[2:3], 0, v16
	v_cndmask_b32_e64 v11, v11, v14, s[2:3]
	v_mul_f32_e32 v13, 0x37800000, v11
	v_cndmask_b32_e32 v11, v11, v13, vcc
	v_mov_b32_e32 v13, 0x260
	v_cmp_class_f32_e32 vcc, v10, v13
	v_cndmask_b32_e32 v10, v11, v10, vcc
	ds_write_b32 v12, v10 offset:856
.LBB9_125:
	s_or_b64 exec, exec, s[4:5]
	v_mov_b32_e32 v10, 0
	s_waitcnt lgkmcnt(0)
	ds_read_b32 v10, v10 offset:856
	s_waitcnt lgkmcnt(0)
	v_cmp_neq_f32_e32 vcc, 0, v10
	v_cndmask_b32_e32 v10, 1.0, v10, vcc
	s_nor_b64 s[2:3], vcc, s[0:1]
	s_and_saveexec_b64 s[0:1], s[2:3]
	s_cbranch_execz .LBB9_129
; %bb.126:
	v_mbcnt_lo_u32_b32 v10, exec_lo, 0
	v_mbcnt_hi_u32_b32 v10, exec_hi, v10
	v_cmp_eq_u32_e32 vcc, 0, v10
	s_and_saveexec_b64 s[2:3], vcc
	s_cbranch_execz .LBB9_128
; %bb.127:
	v_mov_b32_e32 v10, 0
	v_mov_b32_e32 v11, s16
	global_atomic_smin v10, v11, s[14:15]
.LBB9_128:
	s_or_b64 exec, exec, s[2:3]
	v_mov_b32_e32 v10, 1.0
.LBB9_129:
	s_or_b64 exec, exec, s[0:1]
	v_cmp_lt_u32_e32 vcc, 7, v1
	s_and_saveexec_b64 s[0:1], vcc
	s_cbranch_execz .LBB9_131
; %bb.130:
	ds_read_b32 v11, v5 offset:28
	ds_read_b32 v8, v8 offset:28
	s_waitcnt lgkmcnt(0)
	v_sub_f32_e32 v8, v11, v8
	v_div_scale_f32 v11, s[2:3], v10, v10, v8
	v_div_scale_f32 v12, vcc, v8, v10, v8
	v_rcp_f32_e32 v13, v11
	v_fma_f32 v14, -v11, v13, 1.0
	v_fmac_f32_e32 v13, v14, v13
	v_mul_f32_e32 v14, v12, v13
	v_fma_f32 v15, -v11, v14, v12
	v_fmac_f32_e32 v14, v15, v13
	v_fma_f32 v11, -v11, v14, v12
	v_div_fmas_f32 v11, v11, v13, v14
	v_div_fixup_f32 v8, v11, v10, v8
	ds_write_b32 v5, v8 offset:28
	s_waitcnt lgkmcnt(0)
	ds_read_b32 v5, v9 offset:28
	ds_read_b32 v9, v6
	s_waitcnt lgkmcnt(0)
	v_fmac_f32_e32 v9, v8, v5
	ds_write_b32 v6, v9
.LBB9_131:
	s_or_b64 exec, exec, s[0:1]
	s_waitcnt lgkmcnt(0)
	ds_read_b32 v4, v4
	v_cmp_eq_u32_e32 vcc, 0, v7
	s_waitcnt lgkmcnt(0)
	global_store_dword v[2:3], v4, off
	s_and_saveexec_b64 s[0:1], vcc
	s_cbranch_execz .LBB9_133
; %bb.132:
	s_add_u32 s2, s10, s6
	s_addc_u32 s3, s11, s7
	v_mov_b32_e32 v2, 0
	v_mov_b32_e32 v3, 1
	s_waitcnt vmcnt(0)
	global_store_dword v2, v3, s[2:3]
.LBB9_133:
	s_or_b64 exec, exec, s[0:1]
	s_branch .LBB9_7
.LBB9_134:
	v_or_b32_e32 v0, v0, v1
	v_cmp_eq_u32_e32 vcc, 0, v0
	s_and_saveexec_b64 s[0:1], vcc
	s_cbranch_execz .LBB9_7
; %bb.135:
	v_mbcnt_lo_u32_b32 v0, exec_lo, 0
	v_mbcnt_hi_u32_b32 v0, exec_hi, v0
	v_cmp_eq_u32_e32 vcc, 0, v0
	s_and_saveexec_b64 s[0:1], vcc
	s_cbranch_execz .LBB9_137
; %bb.136:
	s_add_i32 s2, s12, s13
	v_mov_b32_e32 v0, 0
	v_mov_b32_e32 v1, s2
	global_atomic_smin v0, v1, s[14:15]
.LBB9_137:
	s_or_b64 exec, exec, s[0:1]
	s_add_u32 s0, s10, s6
	s_addc_u32 s1, s11, s7
	v_mov_b32_e32 v0, 0
	v_mov_b32_e32 v1, 1
	s_waitcnt vmcnt(0)
	global_store_dword v0, v1, s[0:1]
	s_endpgm
	.section	.rodata,"a",@progbits
	.p2align	6, 0x0
	.amdhsa_kernel _ZN9rocsparseL26bsric0_2_8_unrolled_kernelILi64ELi32ELi8EfEEv20rocsparse_direction_iiPKiS3_PT2_S3_PiS3_S6_21rocsparse_index_base_
		.amdhsa_group_segment_fixed_size 1536
		.amdhsa_private_segment_fixed_size 0
		.amdhsa_kernarg_size 76
		.amdhsa_user_sgpr_count 6
		.amdhsa_user_sgpr_private_segment_buffer 1
		.amdhsa_user_sgpr_dispatch_ptr 0
		.amdhsa_user_sgpr_queue_ptr 0
		.amdhsa_user_sgpr_kernarg_segment_ptr 1
		.amdhsa_user_sgpr_dispatch_id 0
		.amdhsa_user_sgpr_flat_scratch_init 0
		.amdhsa_user_sgpr_private_segment_size 0
		.amdhsa_uses_dynamic_stack 0
		.amdhsa_system_sgpr_private_segment_wavefront_offset 0
		.amdhsa_system_sgpr_workgroup_id_x 1
		.amdhsa_system_sgpr_workgroup_id_y 0
		.amdhsa_system_sgpr_workgroup_id_z 0
		.amdhsa_system_sgpr_workgroup_info 0
		.amdhsa_system_vgpr_workitem_id 1
		.amdhsa_next_free_vgpr 55
		.amdhsa_next_free_sgpr 40
		.amdhsa_reserve_vcc 1
		.amdhsa_reserve_flat_scratch 0
		.amdhsa_float_round_mode_32 0
		.amdhsa_float_round_mode_16_64 0
		.amdhsa_float_denorm_mode_32 3
		.amdhsa_float_denorm_mode_16_64 3
		.amdhsa_dx10_clamp 1
		.amdhsa_ieee_mode 1
		.amdhsa_fp16_overflow 0
		.amdhsa_exception_fp_ieee_invalid_op 0
		.amdhsa_exception_fp_denorm_src 0
		.amdhsa_exception_fp_ieee_div_zero 0
		.amdhsa_exception_fp_ieee_overflow 0
		.amdhsa_exception_fp_ieee_underflow 0
		.amdhsa_exception_fp_ieee_inexact 0
		.amdhsa_exception_int_div_zero 0
	.end_amdhsa_kernel
	.section	.text._ZN9rocsparseL26bsric0_2_8_unrolled_kernelILi64ELi32ELi8EfEEv20rocsparse_direction_iiPKiS3_PT2_S3_PiS3_S6_21rocsparse_index_base_,"axG",@progbits,_ZN9rocsparseL26bsric0_2_8_unrolled_kernelILi64ELi32ELi8EfEEv20rocsparse_direction_iiPKiS3_PT2_S3_PiS3_S6_21rocsparse_index_base_,comdat
.Lfunc_end9:
	.size	_ZN9rocsparseL26bsric0_2_8_unrolled_kernelILi64ELi32ELi8EfEEv20rocsparse_direction_iiPKiS3_PT2_S3_PiS3_S6_21rocsparse_index_base_, .Lfunc_end9-_ZN9rocsparseL26bsric0_2_8_unrolled_kernelILi64ELi32ELi8EfEEv20rocsparse_direction_iiPKiS3_PT2_S3_PiS3_S6_21rocsparse_index_base_
                                        ; -- End function
	.set _ZN9rocsparseL26bsric0_2_8_unrolled_kernelILi64ELi32ELi8EfEEv20rocsparse_direction_iiPKiS3_PT2_S3_PiS3_S6_21rocsparse_index_base_.num_vgpr, 55
	.set _ZN9rocsparseL26bsric0_2_8_unrolled_kernelILi64ELi32ELi8EfEEv20rocsparse_direction_iiPKiS3_PT2_S3_PiS3_S6_21rocsparse_index_base_.num_agpr, 0
	.set _ZN9rocsparseL26bsric0_2_8_unrolled_kernelILi64ELi32ELi8EfEEv20rocsparse_direction_iiPKiS3_PT2_S3_PiS3_S6_21rocsparse_index_base_.numbered_sgpr, 40
	.set _ZN9rocsparseL26bsric0_2_8_unrolled_kernelILi64ELi32ELi8EfEEv20rocsparse_direction_iiPKiS3_PT2_S3_PiS3_S6_21rocsparse_index_base_.num_named_barrier, 0
	.set _ZN9rocsparseL26bsric0_2_8_unrolled_kernelILi64ELi32ELi8EfEEv20rocsparse_direction_iiPKiS3_PT2_S3_PiS3_S6_21rocsparse_index_base_.private_seg_size, 0
	.set _ZN9rocsparseL26bsric0_2_8_unrolled_kernelILi64ELi32ELi8EfEEv20rocsparse_direction_iiPKiS3_PT2_S3_PiS3_S6_21rocsparse_index_base_.uses_vcc, 1
	.set _ZN9rocsparseL26bsric0_2_8_unrolled_kernelILi64ELi32ELi8EfEEv20rocsparse_direction_iiPKiS3_PT2_S3_PiS3_S6_21rocsparse_index_base_.uses_flat_scratch, 0
	.set _ZN9rocsparseL26bsric0_2_8_unrolled_kernelILi64ELi32ELi8EfEEv20rocsparse_direction_iiPKiS3_PT2_S3_PiS3_S6_21rocsparse_index_base_.has_dyn_sized_stack, 0
	.set _ZN9rocsparseL26bsric0_2_8_unrolled_kernelILi64ELi32ELi8EfEEv20rocsparse_direction_iiPKiS3_PT2_S3_PiS3_S6_21rocsparse_index_base_.has_recursion, 0
	.set _ZN9rocsparseL26bsric0_2_8_unrolled_kernelILi64ELi32ELi8EfEEv20rocsparse_direction_iiPKiS3_PT2_S3_PiS3_S6_21rocsparse_index_base_.has_indirect_call, 0
	.section	.AMDGPU.csdata,"",@progbits
; Kernel info:
; codeLenInByte = 7924
; TotalNumSgprs: 44
; NumVgprs: 55
; ScratchSize: 0
; MemoryBound: 0
; FloatMode: 240
; IeeeMode: 1
; LDSByteSize: 1536 bytes/workgroup (compile time only)
; SGPRBlocks: 5
; VGPRBlocks: 13
; NumSGPRsForWavesPerEU: 44
; NumVGPRsForWavesPerEU: 55
; Occupancy: 4
; WaveLimiterHint : 1
; COMPUTE_PGM_RSRC2:SCRATCH_EN: 0
; COMPUTE_PGM_RSRC2:USER_SGPR: 6
; COMPUTE_PGM_RSRC2:TRAP_HANDLER: 0
; COMPUTE_PGM_RSRC2:TGID_X_EN: 1
; COMPUTE_PGM_RSRC2:TGID_Y_EN: 0
; COMPUTE_PGM_RSRC2:TGID_Z_EN: 0
; COMPUTE_PGM_RSRC2:TIDIG_COMP_CNT: 1
	.section	.text._ZN9rocsparseL18bsric0_9_16_kernelILi64ELi32ELi16EfEEv20rocsparse_direction_iiPKiS3_PT2_S3_PiS3_S6_21rocsparse_index_base_,"axG",@progbits,_ZN9rocsparseL18bsric0_9_16_kernelILi64ELi32ELi16EfEEv20rocsparse_direction_iiPKiS3_PT2_S3_PiS3_S6_21rocsparse_index_base_,comdat
	.globl	_ZN9rocsparseL18bsric0_9_16_kernelILi64ELi32ELi16EfEEv20rocsparse_direction_iiPKiS3_PT2_S3_PiS3_S6_21rocsparse_index_base_ ; -- Begin function _ZN9rocsparseL18bsric0_9_16_kernelILi64ELi32ELi16EfEEv20rocsparse_direction_iiPKiS3_PT2_S3_PiS3_S6_21rocsparse_index_base_
	.p2align	8
	.type	_ZN9rocsparseL18bsric0_9_16_kernelILi64ELi32ELi16EfEEv20rocsparse_direction_iiPKiS3_PT2_S3_PiS3_S6_21rocsparse_index_base_,@function
_ZN9rocsparseL18bsric0_9_16_kernelILi64ELi32ELi16EfEEv20rocsparse_direction_iiPKiS3_PT2_S3_PiS3_S6_21rocsparse_index_base_: ; @_ZN9rocsparseL18bsric0_9_16_kernelILi64ELi32ELi16EfEEv20rocsparse_direction_iiPKiS3_PT2_S3_PiS3_S6_21rocsparse_index_base_
; %bb.0:
	s_load_dwordx8 s[8:15], s[4:5], 0x28
	s_mov_b32 s7, 0
	s_lshl_b64 s[0:1], s[6:7], 2
	s_waitcnt lgkmcnt(0)
	s_add_u32 s0, s12, s0
	s_addc_u32 s1, s13, s1
	s_load_dword s12, s[0:1], 0x0
	s_waitcnt lgkmcnt(0)
	s_ashr_i32 s13, s12, 31
	s_lshl_b64 s[6:7], s[12:13], 2
	s_add_u32 s0, s8, s6
	s_addc_u32 s1, s9, s7
	s_load_dword s33, s[0:1], 0x0
	s_load_dword s13, s[4:5], 0x48
	s_waitcnt lgkmcnt(0)
	s_cmp_lg_u32 s33, -1
	s_cbranch_scc0 .LBB10_128
; %bb.1:
	s_load_dwordx4 s[16:19], s[4:5], 0x10
	s_load_dwordx2 s[20:21], s[4:5], 0x20
	v_lshlrev_b32_e32 v7, 2, v1
	v_lshlrev_b32_e32 v6, 2, v0
	s_waitcnt lgkmcnt(0)
	s_add_u32 s0, s16, s6
	s_addc_u32 s1, s17, s7
	s_load_dword s0, s[0:1], 0x0
	s_waitcnt lgkmcnt(0)
	s_sub_i32 s46, s0, s13
	v_add3_u32 v2, v7, v0, s46
	v_cmp_ge_i32_e32 vcc, s33, v2
	s_and_saveexec_b64 s[0:1], vcc
	s_cbranch_execz .LBB10_4
; %bb.2:
	v_lshlrev_b32_e32 v3, 4, v1
	s_movk_i32 s2, 0x1200
	v_add3_u32 v4, v3, v6, s2
	s_mov_b64 s[2:3], 0
	v_mov_b32_e32 v5, s19
.LBB10_3:                               ; =>This Inner Loop Header: Depth=1
	v_ashrrev_i32_e32 v3, 31, v2
	v_lshlrev_b64 v[8:9], 2, v[2:3]
	v_add_u32_e32 v2, 64, v2
	v_add_co_u32_e32 v8, vcc, s18, v8
	v_addc_co_u32_e32 v9, vcc, v5, v9, vcc
	global_load_dword v3, v[8:9], off
	v_cmp_lt_i32_e32 vcc, s33, v2
	s_or_b64 s[2:3], vcc, s[2:3]
	s_waitcnt vmcnt(0)
	v_subrev_u32_e32 v3, s13, v3
	ds_write_b32 v4, v3
	v_add_u32_e32 v4, 0x100, v4
	s_andn2_b64 exec, exec, s[2:3]
	s_cbranch_execnz .LBB10_3
.LBB10_4:
	s_or_b64 exec, exec, s[0:1]
	v_cmp_gt_u32_e32 vcc, 16, v0
	s_and_saveexec_b64 s[0:1], vcc
	s_cbranch_execz .LBB10_7
; %bb.5:
	v_mul_u32_u24_e32 v3, 0x44, v1
	s_movk_i32 s2, 0xcc0
	v_add_u32_e32 v2, -4, v0
	v_add3_u32 v3, v3, v6, s2
	s_mov_b64 s[2:3], 0
	v_mov_b32_e32 v4, 0
.LBB10_6:                               ; =>This Inner Loop Header: Depth=1
	v_add_u32_e32 v2, 4, v2
	v_cmp_lt_u32_e32 vcc, 11, v2
	ds_write_b32 v3, v4
	s_or_b64 s[2:3], vcc, s[2:3]
	v_add_u32_e32 v3, 16, v3
	s_andn2_b64 exec, exec, s[2:3]
	s_cbranch_execnz .LBB10_6
.LBB10_7:
	s_or_b64 exec, exec, s[0:1]
	s_load_dword s44, s[4:5], 0x8
	s_load_dword s45, s[4:5], 0x0
	s_cmp_ge_i32 s46, s33
	s_waitcnt lgkmcnt(0)
	v_cmp_gt_i32_e64 s[0:1], s44, v0
	s_cbranch_scc1 .LBB10_89
; %bb.8:
	s_movk_i32 s26, 0x44
	v_mov_b32_e32 v3, 0x440
	v_mad_u32_u24 v9, v1, s26, v3
	v_or_b32_e32 v3, v0, v1
	s_mul_i32 s27, s44, s46
	v_cmp_ne_u32_e64 s[4:5], 0, v3
	v_add_u32_e32 v3, s27, v1
	v_mul_lo_u32 v10, s44, v1
	v_mul_lo_u32 v14, s44, v3
	;; [unrolled: 1-line block ×3, first 2 shown]
	s_cmp_lg_u32 s45, 0
	s_cselect_b64 s[22:23], -1, 0
	v_mov_b32_e32 v2, 0x880
	s_cmp_gt_i32 s44, 0
	v_mad_u32_u24 v11, v1, s26, v6
	v_cmp_gt_i32_e64 s[2:3], s44, v1
	v_mad_u32_u24 v8, v1, s26, v2
	s_mul_i32 s47, s44, s44
	s_cselect_b64 s[24:25], -1, 0
	v_add_u32_e32 v12, 0x440, v11
	s_lshl_b32 s48, s44, 2
	v_add_u32_e32 v15, 0xcc0, v11
	v_mad_u32_u24 v16, v0, s26, v2
	v_add_u32_e32 v17, 0x880, v11
	v_mov_b32_e32 v18, 0
	s_mov_b32 s26, s46
	s_branch .LBB10_10
.LBB10_9:                               ;   in Loop: Header=BB10_10 Depth=1
	s_or_b64 exec, exec, s[28:29]
	s_add_i32 s26, s26, 1
	s_cmp_ge_i32 s26, s33
	s_waitcnt vmcnt(0)
	buffer_wbinvl1_vol
	v_add_u32_e32 v14, s47, v14
	s_cselect_b64 s[28:29], -1, 0
	s_and_b64 vcc, exec, s[28:29]
	s_cbranch_vccnz .LBB10_89
.LBB10_10:                              ; =>This Loop Header: Depth=1
                                        ;     Child Loop BB10_14 Depth 2
                                        ;     Child Loop BB10_26 Depth 2
	;; [unrolled: 1-line block ×5, first 2 shown]
                                        ;       Child Loop BB10_56 Depth 3
                                        ;     Child Loop BB10_70 Depth 2
                                        ;       Child Loop BB10_75 Depth 3
                                        ;       Child Loop BB10_78 Depth 3
                                        ;     Child Loop BB10_84 Depth 2
	s_ashr_i32 s27, s26, 31
	s_lshl_b64 s[28:29], s[26:27], 2
	s_add_u32 s28, s18, s28
	s_addc_u32 s29, s19, s29
	s_load_dword s49, s[28:29], 0x0
	s_waitcnt lgkmcnt(0)
	s_sub_i32 s30, s49, s13
	s_ashr_i32 s31, s30, 31
	s_lshl_b64 s[28:29], s[30:31], 2
	s_add_u32 s34, s8, s28
	s_addc_u32 s35, s9, s29
	s_load_dword s31, s[34:35], 0x0
	s_waitcnt lgkmcnt(0)
	s_cmp_eq_u32 s31, -1
	s_cbranch_scc1 .LBB10_88
; %bb.11:                               ;   in Loop: Header=BB10_10 Depth=1
	s_add_u32 s34, s16, s28
	s_addc_u32 s35, s17, s29
	s_load_dword s50, s[34:35], 0x0
	s_mul_i32 s27, s26, s44
	s_and_saveexec_b64 s[34:35], s[0:1]
	s_cbranch_execz .LBB10_24
; %bb.12:                               ;   in Loop: Header=BB10_10 Depth=1
	s_mov_b64 s[36:37], 0
	v_mov_b32_e32 v4, v12
	v_mov_b32_e32 v5, v0
	s_branch .LBB10_14
.LBB10_13:                              ;   in Loop: Header=BB10_14 Depth=2
	s_or_b64 exec, exec, s[40:41]
	v_add_u32_e32 v5, 4, v5
	v_cmp_le_i32_e32 vcc, s44, v5
	s_waitcnt vmcnt(0)
	ds_write_b32 v4, v3 offset:1088
	ds_write_b32 v4, v18
	s_or_b64 s[36:37], vcc, s[36:37]
	v_add_u32_e32 v4, 16, v4
	s_andn2_b64 exec, exec, s[36:37]
	s_cbranch_execz .LBB10_24
.LBB10_14:                              ;   Parent Loop BB10_10 Depth=1
                                        ; =>  This Inner Loop Header: Depth=2
	s_and_b64 vcc, exec, s[22:23]
	s_cbranch_vccz .LBB10_21
; %bb.15:                               ;   in Loop: Header=BB10_14 Depth=2
	s_mov_b64 s[40:41], 0
	s_mov_b64 s[38:39], 0
                                        ; implicit-def: $vgpr2
	s_and_saveexec_b64 s[42:43], s[2:3]
	s_xor_b64 s[42:43], exec, s[42:43]
; %bb.16:                               ;   in Loop: Header=BB10_14 Depth=2
	v_add_u32_e32 v2, s27, v5
	s_mov_b64 s[38:39], exec
	v_mad_u64_u32 v[2:3], s[52:53], v2, s44, v[1:2]
; %bb.17:                               ;   in Loop: Header=BB10_14 Depth=2
	s_or_b64 exec, exec, s[42:43]
	s_and_b64 vcc, exec, s[40:41]
	s_cbranch_vccz .LBB10_22
.LBB10_18:                              ;   in Loop: Header=BB10_14 Depth=2
                                        ; implicit-def: $vgpr2
	s_and_saveexec_b64 s[40:41], s[2:3]
; %bb.19:                               ;   in Loop: Header=BB10_14 Depth=2
	v_add_u32_e32 v2, v14, v5
	s_or_b64 s[38:39], s[38:39], exec
; %bb.20:                               ;   in Loop: Header=BB10_14 Depth=2
	s_or_b64 exec, exec, s[40:41]
	v_mov_b32_e32 v3, 0
	s_and_saveexec_b64 s[40:41], s[38:39]
	s_cbranch_execz .LBB10_13
	s_branch .LBB10_23
.LBB10_21:                              ;   in Loop: Header=BB10_14 Depth=2
	s_mov_b64 s[38:39], 0
                                        ; implicit-def: $vgpr2
	s_cbranch_execnz .LBB10_18
.LBB10_22:                              ;   in Loop: Header=BB10_14 Depth=2
	v_mov_b32_e32 v3, 0
	s_and_saveexec_b64 s[40:41], s[38:39]
	s_cbranch_execz .LBB10_13
.LBB10_23:                              ;   in Loop: Header=BB10_14 Depth=2
	v_ashrrev_i32_e32 v3, 31, v2
	v_lshlrev_b64 v[2:3], 2, v[2:3]
	v_mov_b32_e32 v19, s21
	v_add_co_u32_e32 v2, vcc, s20, v2
	v_addc_co_u32_e32 v3, vcc, v19, v3, vcc
	global_load_dword v3, v[2:3], off
	s_branch .LBB10_13
.LBB10_24:                              ;   in Loop: Header=BB10_10 Depth=1
	s_or_b64 exec, exec, s[34:35]
	ds_read_b32 v2, v18 offset:4608
	s_waitcnt lgkmcnt(0)
	s_sub_i32 s34, s50, s13
	s_cmp_le_i32 s34, s31
	s_cselect_b64 s[36:37], -1, 0
	s_mov_b32 s40, 0
	v_cmp_ge_i32_e32 vcc, s30, v2
	s_and_b64 s[36:37], s[36:37], vcc
	s_andn2_b64 vcc, exec, s[36:37]
	s_cbranch_vccnz .LBB10_36
; %bb.25:                               ;   in Loop: Header=BB10_10 Depth=1
	s_mov_b32 s38, 0
	s_mov_b32 s39, 0
.LBB10_26:                              ;   Parent Loop BB10_10 Depth=1
                                        ; =>  This Inner Loop Header: Depth=2
	s_ashr_i32 s35, s34, 31
	s_lshl_b64 s[36:37], s[34:35], 2
	s_add_u32 s36, s18, s36
	s_addc_u32 s37, s19, s37
	s_load_dword s35, s[36:37], 0x0
	s_lshl_b32 s36, s39, 2
	v_mov_b32_e32 v2, s36
	ds_read_b32 v2, v2 offset:4608
	s_mov_b64 s[36:37], -1
	s_waitcnt lgkmcnt(0)
	s_sub_i32 s43, s35, s13
                                        ; implicit-def: $sgpr40
                                        ; implicit-def: $sgpr42
                                        ; implicit-def: $sgpr41
	v_cmp_ge_i32_e32 vcc, s43, v2
	v_readfirstlane_b32 s35, v2
	s_cbranch_vccz .LBB10_32
; %bb.27:                               ;   in Loop: Header=BB10_26 Depth=2
	s_cmp_le_i32 s43, s35
                                        ; implicit-def: $sgpr40
                                        ; implicit-def: $sgpr42
                                        ; implicit-def: $sgpr41
	s_cbranch_scc0 .LBB10_29
; %bb.28:                               ;   in Loop: Header=BB10_26 Depth=2
	s_add_i32 s36, s39, s46
	s_mul_i32 s36, s36, s47
	s_lshl_b32 s37, s38, 2
	v_mov_b32_e32 v2, s37
	v_mov_b32_e32 v3, s36
	s_mul_i32 s36, s34, s47
	v_mov_b32_e32 v4, s36
	v_add_u32_e32 v2, 0x1000, v2
	ds_write2_b32 v2, v4, v3 offset0:64 offset1:96
	s_add_i32 s41, s39, 1
	s_add_i32 s42, s34, 1
	;; [unrolled: 1-line block ×3, first 2 shown]
	s_mov_b64 s[36:37], 0
.LBB10_29:                              ;   in Loop: Header=BB10_26 Depth=2
	s_andn2_b64 vcc, exec, s[36:37]
	s_cbranch_vccnz .LBB10_31
; %bb.30:                               ;   in Loop: Header=BB10_26 Depth=2
	s_add_i32 s41, s39, 1
	s_mov_b32 s40, s38
	s_mov_b32 s42, s34
.LBB10_31:                              ;   in Loop: Header=BB10_26 Depth=2
	s_mov_b64 s[36:37], 0
.LBB10_32:                              ;   in Loop: Header=BB10_26 Depth=2
	s_andn2_b64 vcc, exec, s[36:37]
	s_cbranch_vccnz .LBB10_34
; %bb.33:                               ;   in Loop: Header=BB10_26 Depth=2
	s_add_i32 s42, s34, 1
	s_mov_b32 s41, s39
	s_mov_b32 s40, s38
.LBB10_34:                              ;   in Loop: Header=BB10_26 Depth=2
	s_cmp_le_i32 s42, s31
	s_cselect_b64 s[36:37], -1, 0
	s_cmp_le_i32 s35, s30
	s_cselect_b64 s[34:35], -1, 0
	s_and_b64 s[34:35], s[36:37], s[34:35]
	s_and_b64 vcc, exec, s[34:35]
	s_cbranch_vccz .LBB10_36
; %bb.35:                               ;   in Loop: Header=BB10_26 Depth=2
	s_mov_b32 s38, s40
	s_mov_b32 s34, s42
	;; [unrolled: 1-line block ×3, first 2 shown]
	s_branch .LBB10_26
.LBB10_36:                              ;   in Loop: Header=BB10_10 Depth=1
	s_add_u32 s28, s10, s28
	s_addc_u32 s29, s11, s29
	s_waitcnt lgkmcnt(0)
.LBB10_37:                              ;   Parent Loop BB10_10 Depth=1
                                        ; =>  This Inner Loop Header: Depth=2
	global_load_dword v2, v18, s[28:29] glc
	s_waitcnt vmcnt(0)
	v_cmp_eq_u32_e32 vcc, 0, v2
	s_cbranch_vccnz .LBB10_37
; %bb.38:                               ;   in Loop: Header=BB10_10 Depth=1
	buffer_wbinvl1_vol
	s_and_saveexec_b64 s[28:29], s[0:1]
	s_cbranch_execz .LBB10_51
; %bb.39:                               ;   in Loop: Header=BB10_10 Depth=1
	s_mul_i32 s41, s31, s44
	v_add_u32_e32 v2, s41, v1
	v_mul_lo_u32 v4, v2, s44
	s_mov_b64 s[30:31], 0
	v_mov_b32_e32 v5, v11
	v_mov_b32_e32 v19, v0
	s_branch .LBB10_41
.LBB10_40:                              ;   in Loop: Header=BB10_41 Depth=2
	s_or_b64 exec, exec, s[36:37]
	v_add_u32_e32 v19, 4, v19
	v_cmp_le_i32_e32 vcc, s44, v19
	s_waitcnt vmcnt(0)
	ds_write_b32 v5, v3
	s_or_b64 s[30:31], vcc, s[30:31]
	v_add_u32_e32 v5, 16, v5
	s_andn2_b64 exec, exec, s[30:31]
	s_cbranch_execz .LBB10_51
.LBB10_41:                              ;   Parent Loop BB10_10 Depth=1
                                        ; =>  This Inner Loop Header: Depth=2
	s_and_b64 vcc, exec, s[22:23]
	s_cbranch_vccz .LBB10_48
; %bb.42:                               ;   in Loop: Header=BB10_41 Depth=2
	s_mov_b64 s[36:37], 0
	s_mov_b64 s[34:35], 0
                                        ; implicit-def: $vgpr2
	s_and_saveexec_b64 s[38:39], s[2:3]
	s_xor_b64 s[38:39], exec, s[38:39]
; %bb.43:                               ;   in Loop: Header=BB10_41 Depth=2
	v_add_u32_e32 v2, s41, v19
	s_mov_b64 s[34:35], exec
	v_mad_u64_u32 v[2:3], s[42:43], v2, s44, v[1:2]
; %bb.44:                               ;   in Loop: Header=BB10_41 Depth=2
	s_or_b64 exec, exec, s[38:39]
	s_and_b64 vcc, exec, s[36:37]
	s_cbranch_vccz .LBB10_49
.LBB10_45:                              ;   in Loop: Header=BB10_41 Depth=2
                                        ; implicit-def: $vgpr2
	s_and_saveexec_b64 s[36:37], s[2:3]
; %bb.46:                               ;   in Loop: Header=BB10_41 Depth=2
	v_add_u32_e32 v2, v4, v19
	s_or_b64 s[34:35], s[34:35], exec
; %bb.47:                               ;   in Loop: Header=BB10_41 Depth=2
	s_or_b64 exec, exec, s[36:37]
	v_mov_b32_e32 v3, 0
	s_and_saveexec_b64 s[36:37], s[34:35]
	s_cbranch_execz .LBB10_40
	s_branch .LBB10_50
.LBB10_48:                              ;   in Loop: Header=BB10_41 Depth=2
	s_mov_b64 s[34:35], 0
                                        ; implicit-def: $vgpr2
	s_cbranch_execnz .LBB10_45
.LBB10_49:                              ;   in Loop: Header=BB10_41 Depth=2
	v_mov_b32_e32 v3, 0
	s_and_saveexec_b64 s[36:37], s[34:35]
	s_cbranch_execz .LBB10_40
.LBB10_50:                              ;   in Loop: Header=BB10_41 Depth=2
	v_ashrrev_i32_e32 v3, 31, v2
	v_lshlrev_b64 v[2:3], 2, v[2:3]
	v_mov_b32_e32 v20, s21
	v_add_co_u32_e32 v2, vcc, s20, v2
	v_addc_co_u32_e32 v3, vcc, v20, v3, vcc
	global_load_dword v3, v[2:3], off
	s_branch .LBB10_40
.LBB10_51:                              ;   in Loop: Header=BB10_10 Depth=1
	s_or_b64 exec, exec, s[28:29]
	s_cmp_lt_i32 s40, 2
	s_cbranch_scc1 .LBB10_67
; %bb.52:                               ;   in Loop: Header=BB10_10 Depth=1
	s_add_i32 s36, s40, -2
	s_mov_b32 s37, 0
	s_branch .LBB10_54
.LBB10_53:                              ;   in Loop: Header=BB10_54 Depth=2
	s_or_b64 exec, exec, s[28:29]
	s_add_i32 s28, s37, 1
	s_cmp_eq_u32 s37, s36
	s_mov_b32 s37, s28
	s_cbranch_scc1 .LBB10_67
.LBB10_54:                              ;   Parent Loop BB10_10 Depth=1
                                        ; =>  This Loop Header: Depth=2
                                        ;       Child Loop BB10_56 Depth 3
	s_and_saveexec_b64 s[28:29], s[0:1]
	s_cbranch_execz .LBB10_53
; %bb.55:                               ;   in Loop: Header=BB10_54 Depth=2
	s_lshl_b32 s30, s37, 2
	v_mov_b32_e32 v2, s30
	v_add_u32_e32 v2, 0x1000, v2
	ds_read2_b32 v[2:3], v2 offset0:64 offset1:96
	s_mov_b64 s[30:31], 0
	v_mov_b32_e32 v23, v0
	s_waitcnt lgkmcnt(0)
	v_add_u32_e32 v19, v3, v10
	v_add_u32_e32 v20, v1, v3
	;; [unrolled: 1-line block ×4, first 2 shown]
.LBB10_56:                              ;   Parent Loop BB10_10 Depth=1
                                        ;     Parent Loop BB10_54 Depth=2
                                        ; =>    This Inner Loop Header: Depth=3
	v_mov_b32_e32 v24, 0
	s_mov_b32 s38, 0
	v_mov_b32_e32 v2, v21
	v_mov_b32_e32 v4, v20
	s_and_b64 vcc, exec, s[22:23]
	s_cbranch_vccnz .LBB10_59
	s_branch .LBB10_58
.LBB10_57:                              ;   in Loop: Header=BB10_56 Depth=3
	v_mov_b32_e32 v24, v3
	s_and_b64 vcc, exec, s[22:23]
	s_cbranch_vccnz .LBB10_59
.LBB10_58:                              ;   in Loop: Header=BB10_56 Depth=3
                                        ; implicit-def: $vgpr3
	s_cbranch_execz .LBB10_65
	s_branch .LBB10_62
.LBB10_59:                              ;   in Loop: Header=BB10_56 Depth=3
	v_ashrrev_i32_e32 v3, 31, v2
	v_lshlrev_b64 v[25:26], 2, v[2:3]
	v_mov_b32_e32 v3, s21
	v_add_co_u32_e32 v25, vcc, s20, v25
	v_addc_co_u32_e32 v26, vcc, v3, v26, vcc
	global_load_dword v3, v[25:26], off
	v_mov_b32_e32 v5, 0
	s_and_saveexec_b64 s[34:35], s[2:3]
	s_cbranch_execz .LBB10_61
; %bb.60:                               ;   in Loop: Header=BB10_56 Depth=3
	v_ashrrev_i32_e32 v5, 31, v4
	v_lshlrev_b64 v[25:26], 2, v[4:5]
	v_mov_b32_e32 v5, s21
	v_add_co_u32_e32 v25, vcc, s20, v25
	v_addc_co_u32_e32 v26, vcc, v5, v26, vcc
	global_load_dword v5, v[25:26], off
.LBB10_61:                              ;   in Loop: Header=BB10_56 Depth=3
	s_or_b64 exec, exec, s[34:35]
	s_waitcnt vmcnt(0)
	v_fma_f32 v3, v3, v5, v24
	s_branch .LBB10_65
.LBB10_62:                              ;   in Loop: Header=BB10_56 Depth=3
	v_add_u32_e32 v25, s38, v22
	v_ashrrev_i32_e32 v26, 31, v25
	v_lshlrev_b64 v[25:26], 2, v[25:26]
	v_mov_b32_e32 v3, s21
	v_add_co_u32_e32 v25, vcc, s20, v25
	v_addc_co_u32_e32 v26, vcc, v3, v26, vcc
	global_load_dword v3, v[25:26], off
	v_mov_b32_e32 v5, 0
	s_and_saveexec_b64 s[34:35], s[2:3]
	s_cbranch_execz .LBB10_64
; %bb.63:                               ;   in Loop: Header=BB10_56 Depth=3
	v_add_u32_e32 v25, s38, v19
	v_ashrrev_i32_e32 v26, 31, v25
	v_lshlrev_b64 v[25:26], 2, v[25:26]
	v_mov_b32_e32 v5, s21
	v_add_co_u32_e32 v25, vcc, s20, v25
	v_addc_co_u32_e32 v26, vcc, v5, v26, vcc
	global_load_dword v5, v[25:26], off
.LBB10_64:                              ;   in Loop: Header=BB10_56 Depth=3
	s_or_b64 exec, exec, s[34:35]
	s_waitcnt vmcnt(0)
	v_fmac_f32_e32 v24, v3, v5
	v_mov_b32_e32 v3, v24
.LBB10_65:                              ;   in Loop: Header=BB10_56 Depth=3
	s_add_i32 s38, s38, 1
	v_add_u32_e32 v4, s44, v4
	s_cmp_eq_u32 s44, s38
	v_add_u32_e32 v2, s44, v2
	s_cbranch_scc0 .LBB10_57
; %bb.66:                               ;   in Loop: Header=BB10_56 Depth=3
	v_lshl_add_u32 v2, v23, 2, v9
	ds_read_b32 v4, v2
	v_add_u32_e32 v23, 4, v23
	v_cmp_le_i32_e32 vcc, s44, v23
	v_add_u32_e32 v21, 4, v21
	s_or_b64 s[30:31], vcc, s[30:31]
	s_waitcnt lgkmcnt(0)
	v_add_f32_e32 v3, v3, v4
	v_add_u32_e32 v22, s48, v22
	ds_write_b32 v2, v3
	s_andn2_b64 exec, exec, s[30:31]
	s_cbranch_execnz .LBB10_56
	s_branch .LBB10_53
.LBB10_67:                              ;   in Loop: Header=BB10_10 Depth=1
	s_andn2_b64 vcc, exec, s[24:25]
	s_waitcnt lgkmcnt(0)
	s_cbranch_vccnz .LBB10_79
; %bb.68:                               ;   in Loop: Header=BB10_10 Depth=1
	s_mov_b32 s34, 0
	v_mov_b32_e32 v2, v16
	s_mov_b32 s35, 0
	s_branch .LBB10_70
.LBB10_69:                              ;   in Loop: Header=BB10_70 Depth=2
	s_or_b64 exec, exec, s[28:29]
	s_add_i32 s35, s35, 1
	s_addk_i32 s34, 0x44
	s_cmp_eq_u32 s35, s44
	v_add_u32_e32 v2, 4, v2
	s_waitcnt lgkmcnt(0)
	s_cbranch_scc1 .LBB10_79
.LBB10_70:                              ;   Parent Loop BB10_10 Depth=1
                                        ; =>  This Loop Header: Depth=2
                                        ;       Child Loop BB10_75 Depth 3
                                        ;       Child Loop BB10_78 Depth 3
	s_lshl_b32 s28, s35, 2
	s_mul_i32 s29, s35, 0x44
	s_add_i32 s29, s29, s28
	v_mov_b32_e32 v3, s29
	ds_read_b32 v5, v3
	v_add_u32_e32 v3, s28, v8
	ds_read_b32 v4, v3
	s_waitcnt lgkmcnt(1)
	v_cmp_neq_f32_e32 vcc, 0, v5
	v_cndmask_b32_e32 v5, 1.0, v5, vcc
	s_nor_b64 s[30:31], vcc, s[4:5]
	s_and_saveexec_b64 s[28:29], s[30:31]
	s_cbranch_execz .LBB10_74
; %bb.71:                               ;   in Loop: Header=BB10_70 Depth=2
	v_mbcnt_lo_u32_b32 v5, exec_lo, 0
	v_mbcnt_hi_u32_b32 v5, exec_hi, v5
	v_cmp_eq_u32_e32 vcc, 0, v5
	s_and_saveexec_b64 s[30:31], vcc
	s_cbranch_execz .LBB10_73
; %bb.72:                               ;   in Loop: Header=BB10_70 Depth=2
	v_mov_b32_e32 v5, s49
	global_atomic_smin v18, v5, s[14:15]
.LBB10_73:                              ;   in Loop: Header=BB10_70 Depth=2
	s_or_b64 exec, exec, s[30:31]
	v_mov_b32_e32 v5, 1.0
.LBB10_74:                              ;   in Loop: Header=BB10_70 Depth=2
	s_or_b64 exec, exec, s[28:29]
	v_lshl_add_u32 v19, s35, 2, v9
	ds_read_b32 v19, v19
	s_cmp_eq_u32 s35, 0
	v_mov_b32_e32 v20, v8
	s_mov_b32 s28, s34
	s_mov_b32 s29, s35
	s_cbranch_scc1 .LBB10_76
.LBB10_75:                              ;   Parent Loop BB10_10 Depth=1
                                        ;     Parent Loop BB10_70 Depth=2
                                        ; =>    This Inner Loop Header: Depth=3
	v_mov_b32_e32 v21, s28
	ds_read_b32 v22, v20
	ds_read_b32 v21, v21
	s_add_i32 s29, s29, -1
	s_add_i32 s28, s28, 4
	v_add_u32_e32 v20, 4, v20
	s_cmp_eq_u32 s29, 0
	s_waitcnt lgkmcnt(0)
	v_fmac_f32_e32 v19, v21, v22
	s_cbranch_scc0 .LBB10_75
.LBB10_76:                              ;   in Loop: Header=BB10_70 Depth=2
	s_waitcnt lgkmcnt(0)
	v_sub_f32_e32 v4, v4, v19
	v_div_scale_f32 v19, s[28:29], v5, v5, v4
	v_div_scale_f32 v20, vcc, v4, v5, v4
	v_rcp_f32_e32 v21, v19
	v_fma_f32 v22, -v19, v21, 1.0
	v_fmac_f32_e32 v21, v22, v21
	v_mul_f32_e32 v22, v20, v21
	v_fma_f32 v23, -v19, v22, v20
	v_fmac_f32_e32 v22, v23, v21
	v_fma_f32 v19, -v19, v22, v20
	v_div_fmas_f32 v19, v19, v21, v22
	v_div_fixup_f32 v4, v19, v5, v4
	ds_write_b32 v3, v4
	s_waitcnt lgkmcnt(0)
	s_and_saveexec_b64 s[28:29], s[0:1]
	s_cbranch_execz .LBB10_69
; %bb.77:                               ;   in Loop: Header=BB10_70 Depth=2
	s_mov_b64 s[30:31], 0
	v_mov_b32_e32 v3, v2
	v_mov_b32_e32 v5, v15
	;; [unrolled: 1-line block ×3, first 2 shown]
.LBB10_78:                              ;   Parent Loop BB10_10 Depth=1
                                        ;     Parent Loop BB10_70 Depth=2
                                        ; =>    This Inner Loop Header: Depth=3
	ds_read_b32 v20, v3
	ds_read_b32 v21, v5
	v_add_u32_e32 v19, 4, v19
	v_cmp_le_i32_e32 vcc, s44, v19
	s_or_b64 s[30:31], vcc, s[30:31]
	v_add_u32_e32 v3, 0x110, v3
	s_waitcnt lgkmcnt(0)
	v_fmac_f32_e32 v21, v4, v20
	ds_write_b32 v5, v21
	v_add_u32_e32 v5, 16, v5
	s_andn2_b64 exec, exec, s[30:31]
	s_cbranch_execnz .LBB10_78
	s_branch .LBB10_69
.LBB10_79:                              ;   in Loop: Header=BB10_10 Depth=1
	s_and_saveexec_b64 s[28:29], s[0:1]
	s_cbranch_execz .LBB10_9
; %bb.80:                               ;   in Loop: Header=BB10_10 Depth=1
	s_mov_b64 s[30:31], 0
	v_mov_b32_e32 v4, v17
	v_mov_b32_e32 v5, v0
	s_branch .LBB10_84
.LBB10_81:                              ;   in Loop: Header=BB10_84 Depth=2
	v_add_u32_e32 v2, v14, v5
.LBB10_82:                              ;   in Loop: Header=BB10_84 Depth=2
	v_ashrrev_i32_e32 v3, 31, v2
	v_lshlrev_b64 v[2:3], 2, v[2:3]
	v_mov_b32_e32 v20, s21
	v_add_co_u32_e32 v2, vcc, s20, v2
	v_addc_co_u32_e32 v3, vcc, v20, v3, vcc
	s_waitcnt lgkmcnt(0)
	global_store_dword v[2:3], v19, off
.LBB10_83:                              ;   in Loop: Header=BB10_84 Depth=2
	s_or_b64 exec, exec, s[34:35]
	v_add_u32_e32 v5, 4, v5
	v_cmp_le_i32_e32 vcc, s44, v5
	s_or_b64 s[30:31], vcc, s[30:31]
	v_add_u32_e32 v4, 16, v4
	s_andn2_b64 exec, exec, s[30:31]
	s_cbranch_execz .LBB10_9
.LBB10_84:                              ;   Parent Loop BB10_10 Depth=1
                                        ; =>  This Inner Loop Header: Depth=2
	s_and_saveexec_b64 s[34:35], s[2:3]
	s_cbranch_execz .LBB10_83
; %bb.85:                               ;   in Loop: Header=BB10_84 Depth=2
	ds_read_b32 v19, v4
	s_and_b64 vcc, exec, s[22:23]
	s_cbranch_vccz .LBB10_87
; %bb.86:                               ;   in Loop: Header=BB10_84 Depth=2
	v_add_u32_e32 v2, s27, v5
	v_mad_u64_u32 v[2:3], s[36:37], v2, s44, v[1:2]
	s_cbranch_execnz .LBB10_82
	s_branch .LBB10_81
.LBB10_87:                              ;   in Loop: Header=BB10_84 Depth=2
                                        ; implicit-def: $vgpr2
	s_branch .LBB10_81
.LBB10_88:                              ;   in Loop: Header=BB10_10 Depth=1
                                        ; implicit-def: $sgpr26
                                        ; implicit-def: $vgpr14
	s_cbranch_execz .LBB10_10
.LBB10_89:
	v_cmp_gt_i32_e64 s[0:1], s44, v0
	s_and_saveexec_b64 s[4:5], s[0:1]
	s_cbranch_execz .LBB10_102
; %bb.90:
	s_mul_i32 s26, s33, s44
	v_add_u32_e32 v2, s26, v1
	v_mul_lo_u32 v4, v2, s44
	s_cmp_lg_u32 s45, 0
	v_mul_u32_u24_e32 v2, 0x44, v1
	s_movk_i32 s16, 0x880
	s_cselect_b64 s[8:9], -1, 0
	v_cmp_gt_i32_e64 s[2:3], s44, v1
	v_add3_u32 v5, v2, v6, s16
	s_mov_b64 s[16:17], 0
	v_mov_b32_e32 v8, v0
	s_branch .LBB10_92
.LBB10_91:                              ;   in Loop: Header=BB10_92 Depth=1
	s_or_b64 exec, exec, s[22:23]
	v_add_u32_e32 v8, 4, v8
	v_cmp_le_i32_e32 vcc, s44, v8
	s_waitcnt vmcnt(0)
	ds_write_b32 v5, v3
	s_or_b64 s[16:17], vcc, s[16:17]
	v_add_u32_e32 v5, 16, v5
	s_andn2_b64 exec, exec, s[16:17]
	s_cbranch_execz .LBB10_102
.LBB10_92:                              ; =>This Inner Loop Header: Depth=1
	s_and_b64 vcc, exec, s[8:9]
	s_cbranch_vccz .LBB10_99
; %bb.93:                               ;   in Loop: Header=BB10_92 Depth=1
	s_mov_b64 s[22:23], 0
	s_mov_b64 s[18:19], 0
                                        ; implicit-def: $vgpr2
	s_and_saveexec_b64 s[24:25], s[2:3]
	s_xor_b64 s[24:25], exec, s[24:25]
; %bb.94:                               ;   in Loop: Header=BB10_92 Depth=1
	v_add_u32_e32 v2, s26, v8
	s_mov_b64 s[18:19], exec
	v_mad_u64_u32 v[2:3], s[28:29], v2, s44, v[1:2]
; %bb.95:                               ;   in Loop: Header=BB10_92 Depth=1
	s_or_b64 exec, exec, s[24:25]
	s_and_b64 vcc, exec, s[22:23]
	s_cbranch_vccz .LBB10_100
.LBB10_96:                              ;   in Loop: Header=BB10_92 Depth=1
                                        ; implicit-def: $vgpr2
	s_and_saveexec_b64 s[22:23], s[2:3]
; %bb.97:                               ;   in Loop: Header=BB10_92 Depth=1
	v_add_u32_e32 v2, v4, v8
	s_or_b64 s[18:19], s[18:19], exec
; %bb.98:                               ;   in Loop: Header=BB10_92 Depth=1
	s_or_b64 exec, exec, s[22:23]
	v_mov_b32_e32 v3, 0
	s_and_saveexec_b64 s[22:23], s[18:19]
	s_cbranch_execz .LBB10_91
	s_branch .LBB10_101
.LBB10_99:                              ;   in Loop: Header=BB10_92 Depth=1
	s_mov_b64 s[18:19], 0
                                        ; implicit-def: $vgpr2
	s_cbranch_execnz .LBB10_96
.LBB10_100:                             ;   in Loop: Header=BB10_92 Depth=1
	v_mov_b32_e32 v3, 0
	s_and_saveexec_b64 s[22:23], s[18:19]
	s_cbranch_execz .LBB10_91
.LBB10_101:                             ;   in Loop: Header=BB10_92 Depth=1
	v_ashrrev_i32_e32 v3, 31, v2
	v_lshlrev_b64 v[2:3], 2, v[2:3]
	v_mov_b32_e32 v9, s21
	v_add_co_u32_e32 v2, vcc, s20, v2
	v_addc_co_u32_e32 v3, vcc, v9, v3, vcc
	global_load_dword v3, v[2:3], off
	s_branch .LBB10_91
.LBB10_102:
	s_or_b64 exec, exec, s[4:5]
	s_cmp_lt_i32 s44, 1
	s_waitcnt lgkmcnt(0)
	s_cbranch_scc1 .LBB10_115
; %bb.103:
	v_or_b32_e32 v3, v0, v1
	s_movk_i32 s4, 0x44
	v_mov_b32_e32 v8, 0x880
	v_cmp_ne_u32_e64 s[2:3], 0, v3
	v_mov_b32_e32 v3, 0xcc0
	v_mad_u32_u24 v2, v1, s4, v8
	v_mul_u32_u24_e32 v9, 0x44, v1
	s_movk_i32 s5, 0xcc0
	v_mad_u32_u24 v3, v1, s4, v3
	s_mov_b32 s16, 0
	s_add_i32 s17, s12, s13
	v_add_u32_e32 v4, v2, v7
	v_add_u32_e32 v5, v3, v7
	v_add3_u32 v7, v9, v6, s5
	v_mad_u32_u24 v8, v0, s4, v8
	s_mov_b32 s18, 0xf800000
	v_mov_b32_e32 v9, 0x260
	v_mov_b32_e32 v10, 0
	s_branch .LBB10_105
.LBB10_104:                             ;   in Loop: Header=BB10_105 Depth=1
	s_or_b64 exec, exec, s[4:5]
	s_add_i32 s16, s16, 1
	s_cmp_eq_u32 s16, s44
	v_add_u32_e32 v8, 4, v8
	s_waitcnt lgkmcnt(0)
	s_cbranch_scc1 .LBB10_115
.LBB10_105:                             ; =>This Loop Header: Depth=1
                                        ;     Child Loop BB10_114 Depth 2
	v_cmp_eq_u32_e32 vcc, s16, v1
	s_and_saveexec_b64 s[8:9], vcc
	s_cbranch_execz .LBB10_107
; %bb.106:                              ;   in Loop: Header=BB10_105 Depth=1
	ds_read_b32 v11, v4
	ds_read_b32 v12, v5
	s_waitcnt lgkmcnt(0)
	v_sub_f32_e32 v11, v11, v12
	v_cmp_gt_f32_e32 vcc, 0, v11
	v_cndmask_b32_e64 v11, v11, -v11, vcc
	v_mul_f32_e32 v12, 0x4f800000, v11
	v_cmp_gt_f32_e32 vcc, s18, v11
	v_cndmask_b32_e32 v11, v11, v12, vcc
	v_sqrt_f32_e32 v12, v11
	v_add_u32_e32 v13, -1, v12
	v_add_u32_e32 v14, 1, v12
	v_fma_f32 v15, -v13, v12, v11
	v_fma_f32 v16, -v14, v12, v11
	v_cmp_ge_f32_e64 s[4:5], 0, v15
	v_cndmask_b32_e64 v12, v12, v13, s[4:5]
	v_cmp_lt_f32_e64 s[4:5], 0, v16
	v_cndmask_b32_e64 v12, v12, v14, s[4:5]
	v_mul_f32_e32 v13, 0x37800000, v12
	v_cndmask_b32_e32 v12, v12, v13, vcc
	v_cmp_class_f32_e32 vcc, v11, v9
	v_cndmask_b32_e32 v11, v12, v11, vcc
	ds_write_b32 v4, v11
.LBB10_107:                             ;   in Loop: Header=BB10_105 Depth=1
	s_or_b64 exec, exec, s[8:9]
	s_lshl_b32 s4, s16, 2
	s_mul_i32 s5, s16, 0x44
	s_add_i32 s5, s5, s4
	v_mov_b32_e32 v11, s5
	s_waitcnt lgkmcnt(0)
	ds_read_b32 v13, v11 offset:2176
	v_add_u32_e32 v11, s4, v2
	ds_read_b32 v12, v11
	s_waitcnt lgkmcnt(1)
	v_cmp_neq_f32_e32 vcc, 0, v13
	v_cndmask_b32_e32 v13, 1.0, v13, vcc
	s_nor_b64 s[8:9], vcc, s[2:3]
	s_and_saveexec_b64 s[4:5], s[8:9]
	s_cbranch_execz .LBB10_111
; %bb.108:                              ;   in Loop: Header=BB10_105 Depth=1
	v_mbcnt_lo_u32_b32 v13, exec_lo, 0
	v_mbcnt_hi_u32_b32 v13, exec_hi, v13
	v_cmp_eq_u32_e32 vcc, 0, v13
	s_and_saveexec_b64 s[8:9], vcc
	s_cbranch_execz .LBB10_110
; %bb.109:                              ;   in Loop: Header=BB10_105 Depth=1
	v_mov_b32_e32 v13, s17
	global_atomic_smin v10, v13, s[14:15]
.LBB10_110:                             ;   in Loop: Header=BB10_105 Depth=1
	s_or_b64 exec, exec, s[8:9]
	v_mov_b32_e32 v13, 1.0
.LBB10_111:                             ;   in Loop: Header=BB10_105 Depth=1
	s_or_b64 exec, exec, s[4:5]
	v_cmp_lt_u32_e32 vcc, s16, v1
	s_and_saveexec_b64 s[4:5], vcc
	s_cbranch_execz .LBB10_104
; %bb.112:                              ;   in Loop: Header=BB10_105 Depth=1
	v_lshl_add_u32 v14, s16, 2, v3
	ds_read_b32 v14, v14
	s_waitcnt lgkmcnt(0)
	v_sub_f32_e32 v12, v12, v14
	v_div_scale_f32 v14, s[8:9], v13, v13, v12
	v_div_scale_f32 v15, vcc, v12, v13, v12
	v_rcp_f32_e32 v16, v14
	v_fma_f32 v17, -v14, v16, 1.0
	v_fmac_f32_e32 v16, v17, v16
	v_mul_f32_e32 v17, v15, v16
	v_fma_f32 v18, -v14, v17, v15
	v_fmac_f32_e32 v17, v18, v16
	v_fma_f32 v14, -v14, v17, v15
	v_div_fmas_f32 v14, v14, v16, v17
	v_div_fixup_f32 v12, v14, v13, v12
	ds_write_b32 v11, v12
	s_waitcnt lgkmcnt(0)
	s_and_b64 exec, exec, s[0:1]
	s_cbranch_execz .LBB10_104
; %bb.113:                              ;   in Loop: Header=BB10_105 Depth=1
	s_mov_b64 s[8:9], 0
	v_mov_b32_e32 v11, v8
	v_mov_b32_e32 v13, v7
	;; [unrolled: 1-line block ×3, first 2 shown]
.LBB10_114:                             ;   Parent Loop BB10_105 Depth=1
                                        ; =>  This Inner Loop Header: Depth=2
	ds_read_b32 v15, v11
	ds_read_b32 v16, v13
	v_add_u32_e32 v14, 4, v14
	v_cmp_le_i32_e32 vcc, s44, v14
	s_or_b64 s[8:9], vcc, s[8:9]
	v_add_u32_e32 v11, 0x110, v11
	s_waitcnt lgkmcnt(0)
	v_fmac_f32_e32 v16, v12, v15
	ds_write_b32 v13, v16
	v_add_u32_e32 v13, 16, v13
	s_andn2_b64 exec, exec, s[8:9]
	s_cbranch_execnz .LBB10_114
	s_branch .LBB10_104
.LBB10_115:
	s_and_saveexec_b64 s[2:3], s[0:1]
	s_cbranch_execz .LBB10_124
; %bb.116:
	s_mul_i32 s33, s33, s44
	v_add_u32_e32 v2, s33, v1
	v_mul_lo_u32 v4, v2, s44
	s_cmp_lg_u32 s45, 0
	v_mul_u32_u24_e32 v2, 0x44, v1
	s_movk_i32 s8, 0x880
	v_cmp_gt_i32_e64 s[0:1], s44, v1
	s_cselect_b64 s[4:5], -1, 0
	v_add3_u32 v5, v2, v6, s8
	s_mov_b64 s[8:9], 0
	v_mov_b32_e32 v6, v0
	s_branch .LBB10_120
.LBB10_117:                             ;   in Loop: Header=BB10_120 Depth=1
	v_add_u32_e32 v2, v4, v6
.LBB10_118:                             ;   in Loop: Header=BB10_120 Depth=1
	v_ashrrev_i32_e32 v3, 31, v2
	v_lshlrev_b64 v[2:3], 2, v[2:3]
	v_mov_b32_e32 v8, s21
	v_add_co_u32_e32 v2, vcc, s20, v2
	v_addc_co_u32_e32 v3, vcc, v8, v3, vcc
	s_waitcnt lgkmcnt(0)
	global_store_dword v[2:3], v7, off
.LBB10_119:                             ;   in Loop: Header=BB10_120 Depth=1
	s_or_b64 exec, exec, s[16:17]
	v_add_u32_e32 v6, 4, v6
	v_cmp_le_i32_e32 vcc, s44, v6
	s_or_b64 s[8:9], vcc, s[8:9]
	v_add_u32_e32 v5, 16, v5
	s_andn2_b64 exec, exec, s[8:9]
	s_cbranch_execz .LBB10_124
.LBB10_120:                             ; =>This Inner Loop Header: Depth=1
	s_and_saveexec_b64 s[16:17], s[0:1]
	s_cbranch_execz .LBB10_119
; %bb.121:                              ;   in Loop: Header=BB10_120 Depth=1
	ds_read_b32 v7, v5
	s_and_b64 vcc, exec, s[4:5]
	s_cbranch_vccz .LBB10_123
; %bb.122:                              ;   in Loop: Header=BB10_120 Depth=1
	v_add_u32_e32 v2, s33, v6
	v_mad_u64_u32 v[2:3], s[18:19], v2, s44, v[1:2]
	s_cbranch_execnz .LBB10_118
	s_branch .LBB10_117
.LBB10_123:                             ;   in Loop: Header=BB10_120 Depth=1
                                        ; implicit-def: $vgpr2
	s_branch .LBB10_117
.LBB10_124:
	s_or_b64 exec, exec, s[2:3]
	v_or_b32_e32 v2, v0, v1
	v_cmp_eq_u32_e32 vcc, 0, v2
	s_and_saveexec_b64 s[0:1], vcc
	s_cbranch_execz .LBB10_126
; %bb.125:
	s_add_u32 s2, s10, s6
	s_addc_u32 s3, s11, s7
	v_mov_b32_e32 v2, 0
	v_mov_b32_e32 v3, 1
	s_waitcnt vmcnt(0)
	global_store_dword v2, v3, s[2:3]
.LBB10_126:
	s_or_b64 exec, exec, s[0:1]
.LBB10_127:
	s_endpgm
.LBB10_128:
	s_cbranch_execz .LBB10_127
; %bb.129:
	v_or_b32_e32 v0, v0, v1
	v_cmp_eq_u32_e32 vcc, 0, v0
	s_and_saveexec_b64 s[0:1], vcc
	s_cbranch_execz .LBB10_127
; %bb.130:
	v_mbcnt_lo_u32_b32 v0, exec_lo, 0
	v_mbcnt_hi_u32_b32 v0, exec_hi, v0
	v_cmp_eq_u32_e32 vcc, 0, v0
	s_and_saveexec_b64 s[0:1], vcc
	s_cbranch_execz .LBB10_132
; %bb.131:
	s_add_i32 s2, s12, s13
	v_mov_b32_e32 v0, 0
	v_mov_b32_e32 v1, s2
	global_atomic_smin v0, v1, s[14:15]
.LBB10_132:
	s_or_b64 exec, exec, s[0:1]
	s_add_u32 s0, s10, s6
	s_addc_u32 s1, s11, s7
	v_mov_b32_e32 v0, 0
	v_mov_b32_e32 v1, 1
	s_waitcnt vmcnt(0)
	global_store_dword v0, v1, s[0:1]
	s_endpgm
	.section	.rodata,"a",@progbits
	.p2align	6, 0x0
	.amdhsa_kernel _ZN9rocsparseL18bsric0_9_16_kernelILi64ELi32ELi16EfEEv20rocsparse_direction_iiPKiS3_PT2_S3_PiS3_S6_21rocsparse_index_base_
		.amdhsa_group_segment_fixed_size 4736
		.amdhsa_private_segment_fixed_size 0
		.amdhsa_kernarg_size 76
		.amdhsa_user_sgpr_count 6
		.amdhsa_user_sgpr_private_segment_buffer 1
		.amdhsa_user_sgpr_dispatch_ptr 0
		.amdhsa_user_sgpr_queue_ptr 0
		.amdhsa_user_sgpr_kernarg_segment_ptr 1
		.amdhsa_user_sgpr_dispatch_id 0
		.amdhsa_user_sgpr_flat_scratch_init 0
		.amdhsa_user_sgpr_private_segment_size 0
		.amdhsa_uses_dynamic_stack 0
		.amdhsa_system_sgpr_private_segment_wavefront_offset 0
		.amdhsa_system_sgpr_workgroup_id_x 1
		.amdhsa_system_sgpr_workgroup_id_y 0
		.amdhsa_system_sgpr_workgroup_id_z 0
		.amdhsa_system_sgpr_workgroup_info 0
		.amdhsa_system_vgpr_workitem_id 1
		.amdhsa_next_free_vgpr 49
		.amdhsa_next_free_sgpr 98
		.amdhsa_reserve_vcc 1
		.amdhsa_reserve_flat_scratch 0
		.amdhsa_float_round_mode_32 0
		.amdhsa_float_round_mode_16_64 0
		.amdhsa_float_denorm_mode_32 3
		.amdhsa_float_denorm_mode_16_64 3
		.amdhsa_dx10_clamp 1
		.amdhsa_ieee_mode 1
		.amdhsa_fp16_overflow 0
		.amdhsa_exception_fp_ieee_invalid_op 0
		.amdhsa_exception_fp_denorm_src 0
		.amdhsa_exception_fp_ieee_div_zero 0
		.amdhsa_exception_fp_ieee_overflow 0
		.amdhsa_exception_fp_ieee_underflow 0
		.amdhsa_exception_fp_ieee_inexact 0
		.amdhsa_exception_int_div_zero 0
	.end_amdhsa_kernel
	.section	.text._ZN9rocsparseL18bsric0_9_16_kernelILi64ELi32ELi16EfEEv20rocsparse_direction_iiPKiS3_PT2_S3_PiS3_S6_21rocsparse_index_base_,"axG",@progbits,_ZN9rocsparseL18bsric0_9_16_kernelILi64ELi32ELi16EfEEv20rocsparse_direction_iiPKiS3_PT2_S3_PiS3_S6_21rocsparse_index_base_,comdat
.Lfunc_end10:
	.size	_ZN9rocsparseL18bsric0_9_16_kernelILi64ELi32ELi16EfEEv20rocsparse_direction_iiPKiS3_PT2_S3_PiS3_S6_21rocsparse_index_base_, .Lfunc_end10-_ZN9rocsparseL18bsric0_9_16_kernelILi64ELi32ELi16EfEEv20rocsparse_direction_iiPKiS3_PT2_S3_PiS3_S6_21rocsparse_index_base_
                                        ; -- End function
	.set _ZN9rocsparseL18bsric0_9_16_kernelILi64ELi32ELi16EfEEv20rocsparse_direction_iiPKiS3_PT2_S3_PiS3_S6_21rocsparse_index_base_.num_vgpr, 27
	.set _ZN9rocsparseL18bsric0_9_16_kernelILi64ELi32ELi16EfEEv20rocsparse_direction_iiPKiS3_PT2_S3_PiS3_S6_21rocsparse_index_base_.num_agpr, 0
	.set _ZN9rocsparseL18bsric0_9_16_kernelILi64ELi32ELi16EfEEv20rocsparse_direction_iiPKiS3_PT2_S3_PiS3_S6_21rocsparse_index_base_.numbered_sgpr, 54
	.set _ZN9rocsparseL18bsric0_9_16_kernelILi64ELi32ELi16EfEEv20rocsparse_direction_iiPKiS3_PT2_S3_PiS3_S6_21rocsparse_index_base_.num_named_barrier, 0
	.set _ZN9rocsparseL18bsric0_9_16_kernelILi64ELi32ELi16EfEEv20rocsparse_direction_iiPKiS3_PT2_S3_PiS3_S6_21rocsparse_index_base_.private_seg_size, 0
	.set _ZN9rocsparseL18bsric0_9_16_kernelILi64ELi32ELi16EfEEv20rocsparse_direction_iiPKiS3_PT2_S3_PiS3_S6_21rocsparse_index_base_.uses_vcc, 1
	.set _ZN9rocsparseL18bsric0_9_16_kernelILi64ELi32ELi16EfEEv20rocsparse_direction_iiPKiS3_PT2_S3_PiS3_S6_21rocsparse_index_base_.uses_flat_scratch, 0
	.set _ZN9rocsparseL18bsric0_9_16_kernelILi64ELi32ELi16EfEEv20rocsparse_direction_iiPKiS3_PT2_S3_PiS3_S6_21rocsparse_index_base_.has_dyn_sized_stack, 0
	.set _ZN9rocsparseL18bsric0_9_16_kernelILi64ELi32ELi16EfEEv20rocsparse_direction_iiPKiS3_PT2_S3_PiS3_S6_21rocsparse_index_base_.has_recursion, 0
	.set _ZN9rocsparseL18bsric0_9_16_kernelILi64ELi32ELi16EfEEv20rocsparse_direction_iiPKiS3_PT2_S3_PiS3_S6_21rocsparse_index_base_.has_indirect_call, 0
	.section	.AMDGPU.csdata,"",@progbits
; Kernel info:
; codeLenInByte = 3680
; TotalNumSgprs: 58
; NumVgprs: 27
; ScratchSize: 0
; MemoryBound: 0
; FloatMode: 240
; IeeeMode: 1
; LDSByteSize: 4736 bytes/workgroup (compile time only)
; SGPRBlocks: 12
; VGPRBlocks: 12
; NumSGPRsForWavesPerEU: 102
; NumVGPRsForWavesPerEU: 49
; Occupancy: 4
; WaveLimiterHint : 1
; COMPUTE_PGM_RSRC2:SCRATCH_EN: 0
; COMPUTE_PGM_RSRC2:USER_SGPR: 6
; COMPUTE_PGM_RSRC2:TRAP_HANDLER: 0
; COMPUTE_PGM_RSRC2:TGID_X_EN: 1
; COMPUTE_PGM_RSRC2:TGID_Y_EN: 0
; COMPUTE_PGM_RSRC2:TGID_Z_EN: 0
; COMPUTE_PGM_RSRC2:TIDIG_COMP_CNT: 1
	.section	.text._ZN9rocsparseL19bsric0_17_32_kernelILi64ELi32ELi32EfEEv20rocsparse_direction_iiPKiS3_PT2_S3_PiS3_S6_21rocsparse_index_base_,"axG",@progbits,_ZN9rocsparseL19bsric0_17_32_kernelILi64ELi32ELi32EfEEv20rocsparse_direction_iiPKiS3_PT2_S3_PiS3_S6_21rocsparse_index_base_,comdat
	.globl	_ZN9rocsparseL19bsric0_17_32_kernelILi64ELi32ELi32EfEEv20rocsparse_direction_iiPKiS3_PT2_S3_PiS3_S6_21rocsparse_index_base_ ; -- Begin function _ZN9rocsparseL19bsric0_17_32_kernelILi64ELi32ELi32EfEEv20rocsparse_direction_iiPKiS3_PT2_S3_PiS3_S6_21rocsparse_index_base_
	.p2align	8
	.type	_ZN9rocsparseL19bsric0_17_32_kernelILi64ELi32ELi32EfEEv20rocsparse_direction_iiPKiS3_PT2_S3_PiS3_S6_21rocsparse_index_base_,@function
_ZN9rocsparseL19bsric0_17_32_kernelILi64ELi32ELi32EfEEv20rocsparse_direction_iiPKiS3_PT2_S3_PiS3_S6_21rocsparse_index_base_: ; @_ZN9rocsparseL19bsric0_17_32_kernelILi64ELi32ELi32EfEEv20rocsparse_direction_iiPKiS3_PT2_S3_PiS3_S6_21rocsparse_index_base_
; %bb.0:
	s_load_dwordx8 s[8:15], s[4:5], 0x28
	s_mov_b32 s7, 0
	s_lshl_b64 s[0:1], s[6:7], 2
	s_waitcnt lgkmcnt(0)
	s_add_u32 s0, s12, s0
	s_addc_u32 s1, s13, s1
	s_load_dword s12, s[0:1], 0x0
	s_waitcnt lgkmcnt(0)
	s_ashr_i32 s13, s12, 31
	s_lshl_b64 s[6:7], s[12:13], 2
	s_add_u32 s0, s8, s6
	s_addc_u32 s1, s9, s7
	s_load_dword s33, s[0:1], 0x0
	s_load_dword s13, s[4:5], 0x48
	s_waitcnt lgkmcnt(0)
	s_cmp_lg_u32 s33, -1
	s_cbranch_scc0 .LBB11_118
; %bb.1:
	s_load_dwordx4 s[16:19], s[4:5], 0x10
	s_load_dwordx2 s[20:21], s[4:5], 0x20
	v_lshlrev_b32_e32 v2, 1, v1
	v_lshlrev_b32_e32 v6, 2, v0
	s_waitcnt lgkmcnt(0)
	s_add_u32 s0, s16, s6
	s_addc_u32 s1, s17, s7
	s_load_dword s0, s[0:1], 0x0
	s_waitcnt lgkmcnt(0)
	s_sub_i32 s48, s0, s13
	v_add3_u32 v2, v2, v0, s48
	v_cmp_ge_i32_e32 vcc, s33, v2
	s_and_saveexec_b64 s[0:1], vcc
	s_cbranch_execz .LBB11_4
; %bb.2:
	v_lshlrev_b32_e32 v3, 3, v1
	s_movk_i32 s2, 0x3280
	v_add3_u32 v4, v3, v6, s2
	s_mov_b64 s[2:3], 0
	v_mov_b32_e32 v5, s19
.LBB11_3:                               ; =>This Inner Loop Header: Depth=1
	v_ashrrev_i32_e32 v3, 31, v2
	v_lshlrev_b64 v[7:8], 2, v[2:3]
	v_add_u32_e32 v2, 64, v2
	v_add_co_u32_e32 v7, vcc, s18, v7
	v_addc_co_u32_e32 v8, vcc, v5, v8, vcc
	global_load_dword v3, v[7:8], off
	v_cmp_lt_i32_e32 vcc, s33, v2
	s_or_b64 s[2:3], vcc, s[2:3]
	s_waitcnt vmcnt(0)
	v_subrev_u32_e32 v3, s13, v3
	ds_write_b32 v4, v3
	v_add_u32_e32 v4, 0x100, v4
	s_andn2_b64 exec, exec, s[2:3]
	s_cbranch_execnz .LBB11_3
.LBB11_4:
	s_or_b64 exec, exec, s[0:1]
	v_cmp_gt_u32_e32 vcc, 32, v0
	s_and_saveexec_b64 s[0:1], vcc
	s_cbranch_execz .LBB11_7
; %bb.5:
	v_mul_u32_u24_e32 v3, 0x84, v1
	s_movk_i32 s2, 0x2100
	v_add_u32_e32 v2, -2, v0
	v_add3_u32 v3, v3, v6, s2
	s_mov_b64 s[2:3], 0
	v_mov_b32_e32 v4, 0
.LBB11_6:                               ; =>This Inner Loop Header: Depth=1
	v_add_u32_e32 v2, 2, v2
	v_cmp_lt_u32_e32 vcc, 29, v2
	ds_write_b32 v3, v4
	s_or_b64 s[2:3], vcc, s[2:3]
	v_add_u32_e32 v3, 8, v3
	s_andn2_b64 exec, exec, s[2:3]
	s_cbranch_execnz .LBB11_6
.LBB11_7:
	s_or_b64 exec, exec, s[0:1]
	s_load_dword s46, s[4:5], 0x8
	s_load_dword s47, s[4:5], 0x0
	s_cmp_ge_i32 s48, s33
	s_waitcnt lgkmcnt(0)
	v_cmp_gt_i32_e64 s[0:1], s46, v0
	s_cbranch_scc1 .LBB11_79
; %bb.8:
	v_or_b32_e32 v3, v0, v1
	s_mul_i32 s29, s46, s48
	v_cmp_ne_u32_e64 s[4:5], 0, v3
	v_add_u32_e32 v3, s29, v1
	s_cmp_eq_u32 s47, 0
	v_mul_lo_u32 v9, s46, v1
	v_mul_lo_u32 v12, s46, v3
	;; [unrolled: 1-line block ×3, first 2 shown]
	s_cselect_b64 s[22:23], -1, 0
	s_cmp_lg_u32 s47, 0
	s_movk_i32 s28, 0x84
	s_cselect_b64 s[24:25], -1, 0
	v_mov_b32_e32 v2, 0x1080
	s_cmp_gt_i32 s46, 0
	v_mad_u32_u24 v10, v1, s28, v6
	s_mul_i32 s49, s46, s46
	v_cmp_gt_i32_e64 s[2:3], s46, v1
	v_mul_u32_u24_e32 v7, 0x84, v1
	v_mad_u32_u24 v8, v1, s28, v2
	s_cselect_b64 s[26:27], -1, 0
	s_lshl_b32 s50, s46, 1
	v_add_u32_e32 v13, 0x2100, v10
	v_mad_u32_u24 v14, v0, s28, v2
	v_add_u32_e32 v15, 0x1080, v10
	v_mov_b32_e32 v16, 0
	s_mov_b32 s28, s48
	s_branch .LBB11_10
.LBB11_9:                               ;   in Loop: Header=BB11_10 Depth=1
	s_or_b64 exec, exec, s[30:31]
	s_add_i32 s28, s28, 1
	s_cmp_ge_i32 s28, s33
	s_waitcnt vmcnt(0)
	buffer_wbinvl1_vol
	v_add_u32_e32 v12, s49, v12
	s_cselect_b64 s[30:31], -1, 0
	s_and_b64 vcc, exec, s[30:31]
	s_cbranch_vccnz .LBB11_79
.LBB11_10:                              ; =>This Loop Header: Depth=1
                                        ;     Child Loop BB11_14 Depth 2
                                        ;     Child Loop BB11_26 Depth 2
	;; [unrolled: 1-line block ×4, first 2 shown]
                                        ;       Child Loop BB11_43 Depth 3
                                        ;         Child Loop BB11_48 Depth 4
                                        ;     Child Loop BB11_57 Depth 2
                                        ;       Child Loop BB11_64 Depth 3
                                        ;       Child Loop BB11_68 Depth 3
                                        ;     Child Loop BB11_73 Depth 2
	s_ashr_i32 s29, s28, 31
	s_lshl_b64 s[30:31], s[28:29], 2
	s_add_u32 s30, s18, s30
	s_addc_u32 s31, s19, s31
	s_load_dword s51, s[30:31], 0x0
	s_waitcnt lgkmcnt(0)
	s_sub_i32 s34, s51, s13
	s_ashr_i32 s35, s34, 31
	s_lshl_b64 s[30:31], s[34:35], 2
	s_add_u32 s36, s8, s30
	s_addc_u32 s37, s9, s31
	s_load_dword s52, s[36:37], 0x0
	s_waitcnt lgkmcnt(0)
	s_cmp_eq_u32 s52, -1
	s_cbranch_scc1 .LBB11_78
; %bb.11:                               ;   in Loop: Header=BB11_10 Depth=1
	s_add_u32 s36, s16, s30
	s_addc_u32 s37, s17, s31
	s_load_dword s35, s[36:37], 0x0
	s_mul_i32 s29, s28, s46
	s_and_saveexec_b64 s[36:37], s[0:1]
	s_cbranch_execz .LBB11_24
; %bb.12:                               ;   in Loop: Header=BB11_10 Depth=1
	s_mov_b64 s[38:39], 0
	v_mov_b32_e32 v4, v10
	v_mov_b32_e32 v5, v0
	s_branch .LBB11_14
.LBB11_13:                              ;   in Loop: Header=BB11_14 Depth=2
	s_or_b64 exec, exec, s[42:43]
	v_add_u32_e32 v5, 2, v5
	v_cmp_le_i32_e32 vcc, s46, v5
	s_waitcnt vmcnt(0)
	ds_write_b32 v4, v3 offset:4224
	ds_write_b32 v4, v16
	s_or_b64 s[38:39], vcc, s[38:39]
	v_add_u32_e32 v4, 8, v4
	s_andn2_b64 exec, exec, s[38:39]
	s_cbranch_execz .LBB11_24
.LBB11_14:                              ;   Parent Loop BB11_10 Depth=1
                                        ; =>  This Inner Loop Header: Depth=2
	s_mov_b64 s[42:43], -1
	s_and_b64 vcc, exec, s[24:25]
	s_mov_b64 s[40:41], 0
                                        ; implicit-def: $vgpr2
	s_cbranch_vccz .LBB11_19
; %bb.15:                               ;   in Loop: Header=BB11_14 Depth=2
	s_mov_b64 s[42:43], 0
                                        ; implicit-def: $vgpr2
	s_and_saveexec_b64 s[44:45], s[2:3]
	s_xor_b64 s[44:45], exec, s[44:45]
; %bb.16:                               ;   in Loop: Header=BB11_14 Depth=2
	v_add_u32_e32 v2, s29, v5
	v_mad_u64_u32 v[2:3], s[54:55], v2, s46, v[1:2]
	s_mov_b64 s[40:41], exec
; %bb.17:                               ;   in Loop: Header=BB11_14 Depth=2
	s_or_b64 exec, exec, s[44:45]
	s_and_b64 vcc, exec, s[42:43]
	s_cbranch_vccnz .LBB11_20
.LBB11_18:                              ;   in Loop: Header=BB11_14 Depth=2
	v_mov_b32_e32 v3, 0
	s_and_saveexec_b64 s[42:43], s[40:41]
	s_cbranch_execz .LBB11_13
	s_branch .LBB11_23
.LBB11_19:                              ;   in Loop: Header=BB11_14 Depth=2
	s_and_b64 vcc, exec, s[42:43]
	s_cbranch_vccz .LBB11_18
.LBB11_20:                              ;   in Loop: Header=BB11_14 Depth=2
                                        ; implicit-def: $vgpr2
	s_and_saveexec_b64 s[42:43], s[2:3]
; %bb.21:                               ;   in Loop: Header=BB11_14 Depth=2
	v_add_u32_e32 v2, v12, v5
	s_or_b64 s[40:41], s[40:41], exec
; %bb.22:                               ;   in Loop: Header=BB11_14 Depth=2
	s_or_b64 exec, exec, s[42:43]
	v_mov_b32_e32 v3, 0
	s_and_saveexec_b64 s[42:43], s[40:41]
	s_cbranch_execz .LBB11_13
.LBB11_23:                              ;   in Loop: Header=BB11_14 Depth=2
	v_ashrrev_i32_e32 v3, 31, v2
	v_lshlrev_b64 v[2:3], 2, v[2:3]
	v_mov_b32_e32 v17, s21
	v_add_co_u32_e32 v2, vcc, s20, v2
	v_addc_co_u32_e32 v3, vcc, v17, v3, vcc
	global_load_dword v3, v[2:3], off
	s_branch .LBB11_13
.LBB11_24:                              ;   in Loop: Header=BB11_10 Depth=1
	s_or_b64 exec, exec, s[36:37]
	ds_read_b32 v2, v16 offset:12928
	s_waitcnt lgkmcnt(0)
	s_sub_i32 s36, s35, s13
	s_cmp_le_i32 s36, s52
	s_cselect_b64 s[38:39], -1, 0
	s_mov_b32 s37, 0
	v_cmp_ge_i32_e32 vcc, s34, v2
	s_and_b64 s[38:39], s[38:39], vcc
	s_andn2_b64 vcc, exec, s[38:39]
	s_cbranch_vccnz .LBB11_36
; %bb.25:                               ;   in Loop: Header=BB11_10 Depth=1
	s_mov_b32 s35, 0
	s_mov_b32 s40, 0
.LBB11_26:                              ;   Parent Loop BB11_10 Depth=1
                                        ; =>  This Inner Loop Header: Depth=2
	s_ashr_i32 s37, s36, 31
	s_lshl_b64 s[38:39], s[36:37], 2
	s_add_u32 s38, s18, s38
	s_addc_u32 s39, s19, s39
	s_load_dword s37, s[38:39], 0x0
	s_lshl_b32 s38, s40, 2
	v_mov_b32_e32 v2, s38
	ds_read_b32 v2, v2 offset:12928
	s_mov_b64 s[38:39], -1
	s_waitcnt lgkmcnt(0)
	s_sub_i32 s44, s37, s13
                                        ; implicit-def: $sgpr37
                                        ; implicit-def: $sgpr43
                                        ; implicit-def: $sgpr42
	v_cmp_ge_i32_e32 vcc, s44, v2
	v_readfirstlane_b32 s41, v2
	s_cbranch_vccz .LBB11_32
; %bb.27:                               ;   in Loop: Header=BB11_26 Depth=2
	s_cmp_le_i32 s44, s41
                                        ; implicit-def: $sgpr37
                                        ; implicit-def: $sgpr43
                                        ; implicit-def: $sgpr42
	s_cbranch_scc0 .LBB11_29
; %bb.28:                               ;   in Loop: Header=BB11_26 Depth=2
	s_add_i32 s37, s40, s48
	s_mul_i32 s37, s37, s49
	s_lshl_b32 s38, s35, 2
	v_mov_b32_e32 v2, s38
	v_mov_b32_e32 v3, s37
	s_mul_i32 s37, s36, s49
	v_mov_b32_e32 v4, s37
	v_add_u32_e32 v2, 0x3000, v2
	ds_write2_b32 v2, v4, v3 offset0:96 offset1:128
	s_add_i32 s42, s40, 1
	s_add_i32 s43, s36, 1
	;; [unrolled: 1-line block ×3, first 2 shown]
	s_mov_b64 s[38:39], 0
.LBB11_29:                              ;   in Loop: Header=BB11_26 Depth=2
	s_andn2_b64 vcc, exec, s[38:39]
	s_cbranch_vccnz .LBB11_31
; %bb.30:                               ;   in Loop: Header=BB11_26 Depth=2
	s_add_i32 s42, s40, 1
	s_mov_b32 s37, s35
	s_mov_b32 s43, s36
.LBB11_31:                              ;   in Loop: Header=BB11_26 Depth=2
	s_mov_b64 s[38:39], 0
.LBB11_32:                              ;   in Loop: Header=BB11_26 Depth=2
	s_andn2_b64 vcc, exec, s[38:39]
	s_cbranch_vccnz .LBB11_34
; %bb.33:                               ;   in Loop: Header=BB11_26 Depth=2
	s_add_i32 s43, s36, 1
	s_mov_b32 s42, s40
	s_mov_b32 s37, s35
.LBB11_34:                              ;   in Loop: Header=BB11_26 Depth=2
	s_cmp_le_i32 s43, s52
	s_cselect_b64 s[38:39], -1, 0
	s_cmp_le_i32 s41, s34
	s_cselect_b64 s[40:41], -1, 0
	s_and_b64 s[38:39], s[38:39], s[40:41]
	s_and_b64 vcc, exec, s[38:39]
	s_cbranch_vccz .LBB11_36
; %bb.35:                               ;   in Loop: Header=BB11_26 Depth=2
	s_mov_b32 s35, s37
	s_mov_b32 s36, s43
	;; [unrolled: 1-line block ×3, first 2 shown]
	s_branch .LBB11_26
.LBB11_36:                              ;   in Loop: Header=BB11_10 Depth=1
	s_add_u32 s30, s10, s30
	s_addc_u32 s31, s11, s31
	s_waitcnt lgkmcnt(0)
.LBB11_37:                              ;   Parent Loop BB11_10 Depth=1
                                        ; =>  This Inner Loop Header: Depth=2
	global_load_dword v2, v16, s[30:31] glc
	s_waitcnt vmcnt(0)
	v_cmp_eq_u32_e32 vcc, 0, v2
	s_cbranch_vccnz .LBB11_37
; %bb.38:                               ;   in Loop: Header=BB11_10 Depth=1
	s_cmp_lt_i32 s37, 2
	buffer_wbinvl1_vol
	s_cbranch_scc1 .LBB11_54
; %bb.39:                               ;   in Loop: Header=BB11_10 Depth=1
	s_add_i32 s38, s37, -2
	s_mov_b32 s39, 0
	s_branch .LBB11_41
.LBB11_40:                              ;   in Loop: Header=BB11_41 Depth=2
	s_or_b64 exec, exec, s[30:31]
	s_add_i32 s30, s39, 1
	s_cmp_eq_u32 s39, s38
	s_mov_b32 s39, s30
	s_cbranch_scc1 .LBB11_54
.LBB11_41:                              ;   Parent Loop BB11_10 Depth=1
                                        ; =>  This Loop Header: Depth=2
                                        ;       Child Loop BB11_43 Depth 3
                                        ;         Child Loop BB11_48 Depth 4
	s_and_saveexec_b64 s[30:31], s[0:1]
	s_cbranch_execz .LBB11_40
; %bb.42:                               ;   in Loop: Header=BB11_41 Depth=2
	s_lshl_b32 s34, s39, 2
	v_mov_b32_e32 v2, s34
	v_add_u32_e32 v2, 0x3000, v2
	ds_read2_b32 v[2:3], v2 offset0:96 offset1:128
	s_mov_b64 s[34:35], 0
	v_mov_b32_e32 v21, v0
	s_waitcnt lgkmcnt(0)
	v_add_u32_e32 v17, v3, v9
	v_add_u32_e32 v18, v1, v3
	;; [unrolled: 1-line block ×4, first 2 shown]
.LBB11_43:                              ;   Parent Loop BB11_10 Depth=1
                                        ;     Parent Loop BB11_41 Depth=2
                                        ; =>    This Loop Header: Depth=3
                                        ;         Child Loop BB11_48 Depth 4
	v_mov_b32_e32 v22, 0
	s_mov_b32 s40, 0
	v_mov_b32_e32 v2, v19
	v_mov_b32_e32 v4, v18
	s_mov_b64 s[36:37], -1
	s_and_b64 vcc, exec, s[24:25]
                                        ; implicit-def: $vgpr3
	s_cbranch_vccz .LBB11_48
	s_branch .LBB11_45
.LBB11_44:                              ;   in Loop: Header=BB11_48 Depth=4
	v_mov_b32_e32 v22, v3
	s_mov_b64 s[36:37], -1
	s_and_b64 vcc, exec, s[24:25]
                                        ; implicit-def: $vgpr3
	s_cbranch_vccz .LBB11_48
.LBB11_45:                              ;   in Loop: Header=BB11_43 Depth=3
	v_ashrrev_i32_e32 v3, 31, v2
	v_lshlrev_b64 v[23:24], 2, v[2:3]
	v_mov_b32_e32 v3, s21
	v_add_co_u32_e32 v23, vcc, s20, v23
	v_addc_co_u32_e32 v24, vcc, v3, v24, vcc
	global_load_dword v3, v[23:24], off
	v_mov_b32_e32 v5, 0
	s_and_saveexec_b64 s[36:37], s[2:3]
	s_cbranch_execz .LBB11_47
; %bb.46:                               ;   in Loop: Header=BB11_43 Depth=3
	v_ashrrev_i32_e32 v5, 31, v4
	v_lshlrev_b64 v[23:24], 2, v[4:5]
	v_mov_b32_e32 v5, s21
	v_add_co_u32_e32 v23, vcc, s20, v23
	v_addc_co_u32_e32 v24, vcc, v5, v24, vcc
	global_load_dword v5, v[23:24], off
.LBB11_47:                              ;   in Loop: Header=BB11_43 Depth=3
	s_or_b64 exec, exec, s[36:37]
	s_waitcnt vmcnt(0)
	v_fma_f32 v3, v3, v5, v22
	s_mov_b64 s[36:37], 0
.LBB11_48:                              ;   Parent Loop BB11_10 Depth=1
                                        ;     Parent Loop BB11_41 Depth=2
                                        ;       Parent Loop BB11_43 Depth=3
                                        ; =>      This Inner Loop Header: Depth=4
	s_and_b64 vcc, exec, s[36:37]
	s_cbranch_vccz .LBB11_52
; %bb.49:                               ;   in Loop: Header=BB11_48 Depth=4
	v_add_u32_e32 v23, s40, v20
	v_ashrrev_i32_e32 v24, 31, v23
	v_lshlrev_b64 v[23:24], 2, v[23:24]
	v_mov_b32_e32 v3, s21
	v_add_co_u32_e32 v23, vcc, s20, v23
	v_addc_co_u32_e32 v24, vcc, v3, v24, vcc
	global_load_dword v3, v[23:24], off
	v_mov_b32_e32 v5, 0
	s_and_saveexec_b64 s[36:37], s[2:3]
	s_cbranch_execz .LBB11_51
; %bb.50:                               ;   in Loop: Header=BB11_48 Depth=4
	v_add_u32_e32 v23, s40, v17
	v_ashrrev_i32_e32 v24, 31, v23
	v_lshlrev_b64 v[23:24], 2, v[23:24]
	v_mov_b32_e32 v5, s21
	v_add_co_u32_e32 v23, vcc, s20, v23
	v_addc_co_u32_e32 v24, vcc, v5, v24, vcc
	global_load_dword v5, v[23:24], off
.LBB11_51:                              ;   in Loop: Header=BB11_48 Depth=4
	s_or_b64 exec, exec, s[36:37]
	s_waitcnt vmcnt(0)
	v_fmac_f32_e32 v22, v3, v5
	v_mov_b32_e32 v3, v22
.LBB11_52:                              ;   in Loop: Header=BB11_48 Depth=4
	s_add_i32 s40, s40, 1
	v_add_u32_e32 v4, s46, v4
	s_cmp_eq_u32 s46, s40
	v_add_u32_e32 v2, s46, v2
	s_cbranch_scc0 .LBB11_44
; %bb.53:                               ;   in Loop: Header=BB11_43 Depth=3
	v_lshl_add_u32 v2, v21, 2, v7
	ds_read_b32 v4, v2
	v_add_u32_e32 v21, 2, v21
	v_cmp_le_i32_e32 vcc, s46, v21
	v_add_u32_e32 v19, 2, v19
	s_or_b64 s[34:35], vcc, s[34:35]
	s_waitcnt lgkmcnt(0)
	v_add_f32_e32 v3, v3, v4
	v_add_u32_e32 v20, s50, v20
	ds_write_b32 v2, v3
	s_andn2_b64 exec, exec, s[34:35]
	s_cbranch_execnz .LBB11_43
	s_branch .LBB11_40
.LBB11_54:                              ;   in Loop: Header=BB11_10 Depth=1
	s_andn2_b64 vcc, exec, s[26:27]
	s_waitcnt lgkmcnt(0)
	s_cbranch_vccnz .LBB11_69
; %bb.55:                               ;   in Loop: Header=BB11_10 Depth=1
	s_mul_i32 s36, s49, s52
	s_mov_b32 s37, 0
	v_mov_b32_e32 v2, v14
	s_mov_b32 s38, s36
	s_branch .LBB11_57
.LBB11_56:                              ;   in Loop: Header=BB11_57 Depth=2
	s_or_b64 exec, exec, s[30:31]
	s_add_i32 s37, s37, 1
	s_add_i32 s38, s38, 1
	s_cmp_eq_u32 s37, s46
	v_add_u32_e32 v2, 4, v2
	s_waitcnt lgkmcnt(0)
	s_cbranch_scc1 .LBB11_69
.LBB11_57:                              ;   Parent Loop BB11_10 Depth=1
                                        ; =>  This Loop Header: Depth=2
                                        ;       Child Loop BB11_64 Depth 3
                                        ;       Child Loop BB11_68 Depth 3
	s_mul_i32 s39, s37, s46
	s_add_i32 s39, s39, s36
	s_add_i32 s30, s39, s37
	s_ashr_i32 s31, s30, 31
	s_lshl_b64 s[30:31], s[30:31], 2
	s_add_u32 s30, s20, s30
	s_addc_u32 s31, s21, s31
	global_load_dword v5, v16, s[30:31]
	v_lshl_add_u32 v3, s37, 2, v8
	ds_read_b32 v4, v3
	s_waitcnt vmcnt(0)
	v_cmp_neq_f32_e32 vcc, 0, v5
	v_cndmask_b32_e32 v5, 1.0, v5, vcc
	s_nor_b64 s[34:35], vcc, s[4:5]
	s_and_saveexec_b64 s[30:31], s[34:35]
	s_cbranch_execz .LBB11_61
; %bb.58:                               ;   in Loop: Header=BB11_57 Depth=2
	v_mbcnt_lo_u32_b32 v5, exec_lo, 0
	v_mbcnt_hi_u32_b32 v5, exec_hi, v5
	v_cmp_eq_u32_e32 vcc, 0, v5
	s_and_saveexec_b64 s[34:35], vcc
	s_cbranch_execz .LBB11_60
; %bb.59:                               ;   in Loop: Header=BB11_57 Depth=2
	v_mov_b32_e32 v5, s51
	global_atomic_smin v16, v5, s[14:15]
.LBB11_60:                              ;   in Loop: Header=BB11_57 Depth=2
	s_or_b64 exec, exec, s[34:35]
	v_mov_b32_e32 v5, 1.0
.LBB11_61:                              ;   in Loop: Header=BB11_57 Depth=2
	s_or_b64 exec, exec, s[30:31]
	v_lshl_add_u32 v17, s37, 2, v7
	ds_read_b32 v17, v17
	s_cmp_eq_u32 s37, 0
	s_cbranch_scc1 .LBB11_66
; %bb.62:                               ;   in Loop: Header=BB11_57 Depth=2
	s_mov_b32 s34, 0
	s_mov_b32 s35, s37
	;; [unrolled: 1-line block ×3, first 2 shown]
	v_mov_b32_e32 v18, v8
	s_branch .LBB11_64
.LBB11_63:                              ;   in Loop: Header=BB11_64 Depth=3
	s_ashr_i32 s31, s30, 31
	s_lshl_b64 s[30:31], s[30:31], 2
	s_add_u32 s30, s20, s30
	s_addc_u32 s31, s21, s31
	global_load_dword v19, v16, s[30:31]
	ds_read_b32 v20, v18
	s_add_i32 s34, s34, 1
	s_add_i32 s40, s40, s46
	s_add_i32 s35, s35, -1
	s_cmp_eq_u32 s35, 0
	v_add_u32_e32 v18, 4, v18
	s_waitcnt vmcnt(0) lgkmcnt(0)
	v_fmac_f32_e32 v17, v19, v20
	s_cbranch_scc1 .LBB11_66
.LBB11_64:                              ;   Parent Loop BB11_10 Depth=1
                                        ;     Parent Loop BB11_57 Depth=2
                                        ; =>    This Inner Loop Header: Depth=3
	s_andn2_b64 vcc, exec, s[22:23]
	s_mov_b32 s30, s40
	s_cbranch_vccnz .LBB11_63
; %bb.65:                               ;   in Loop: Header=BB11_64 Depth=3
	s_add_i32 s30, s34, s39
	s_branch .LBB11_63
.LBB11_66:                              ;   in Loop: Header=BB11_57 Depth=2
	s_waitcnt lgkmcnt(0)
	v_sub_f32_e32 v4, v4, v17
	v_div_scale_f32 v17, s[30:31], v5, v5, v4
	v_div_scale_f32 v18, vcc, v4, v5, v4
	v_rcp_f32_e32 v19, v17
	v_fma_f32 v20, -v17, v19, 1.0
	v_fmac_f32_e32 v19, v20, v19
	v_mul_f32_e32 v20, v18, v19
	v_fma_f32 v21, -v17, v20, v18
	v_fmac_f32_e32 v20, v21, v19
	v_fma_f32 v17, -v17, v20, v18
	v_div_fmas_f32 v17, v17, v19, v20
	v_div_fixup_f32 v4, v17, v5, v4
	ds_write_b32 v3, v4
	s_waitcnt lgkmcnt(0)
	s_and_saveexec_b64 s[30:31], s[0:1]
	s_cbranch_execz .LBB11_56
; %bb.67:                               ;   in Loop: Header=BB11_57 Depth=2
	s_mov_b64 s[34:35], 0
	v_mov_b32_e32 v3, v2
	v_mov_b32_e32 v5, v13
	;; [unrolled: 1-line block ×3, first 2 shown]
.LBB11_68:                              ;   Parent Loop BB11_10 Depth=1
                                        ;     Parent Loop BB11_57 Depth=2
                                        ; =>    This Inner Loop Header: Depth=3
	ds_read_b32 v18, v3
	ds_read_b32 v19, v5
	v_add_u32_e32 v17, 2, v17
	v_cmp_le_i32_e32 vcc, s46, v17
	s_or_b64 s[34:35], vcc, s[34:35]
	v_add_u32_e32 v3, 0x108, v3
	s_waitcnt lgkmcnt(0)
	v_fmac_f32_e32 v19, v4, v18
	ds_write_b32 v5, v19
	v_add_u32_e32 v5, 8, v5
	s_andn2_b64 exec, exec, s[34:35]
	s_cbranch_execnz .LBB11_68
	s_branch .LBB11_56
.LBB11_69:                              ;   in Loop: Header=BB11_10 Depth=1
	s_and_saveexec_b64 s[30:31], s[0:1]
	s_cbranch_execz .LBB11_9
; %bb.70:                               ;   in Loop: Header=BB11_10 Depth=1
	s_mov_b64 s[34:35], 0
	v_mov_b32_e32 v4, v15
	v_mov_b32_e32 v5, v0
	s_branch .LBB11_73
.LBB11_71:                              ;   in Loop: Header=BB11_73 Depth=2
	v_ashrrev_i32_e32 v3, 31, v2
	v_lshlrev_b64 v[2:3], 2, v[2:3]
	v_mov_b32_e32 v18, s21
	v_add_co_u32_e32 v2, vcc, s20, v2
	v_addc_co_u32_e32 v3, vcc, v18, v3, vcc
	s_waitcnt lgkmcnt(0)
	global_store_dword v[2:3], v17, off
.LBB11_72:                              ;   in Loop: Header=BB11_73 Depth=2
	s_or_b64 exec, exec, s[36:37]
	v_add_u32_e32 v5, 2, v5
	v_cmp_le_i32_e32 vcc, s46, v5
	s_or_b64 s[34:35], vcc, s[34:35]
	v_add_u32_e32 v4, 8, v4
	s_andn2_b64 exec, exec, s[34:35]
	s_cbranch_execz .LBB11_9
.LBB11_73:                              ;   Parent Loop BB11_10 Depth=1
                                        ; =>  This Inner Loop Header: Depth=2
	s_and_saveexec_b64 s[36:37], s[2:3]
	s_cbranch_execz .LBB11_72
; %bb.74:                               ;   in Loop: Header=BB11_73 Depth=2
	ds_read_b32 v17, v4
	s_mov_b64 s[38:39], -1
	s_and_b64 vcc, exec, s[24:25]
                                        ; implicit-def: $vgpr2
	s_cbranch_vccz .LBB11_76
; %bb.75:                               ;   in Loop: Header=BB11_73 Depth=2
	v_add_u32_e32 v2, s29, v5
	v_mad_u64_u32 v[2:3], s[38:39], v2, s46, v[1:2]
	s_mov_b64 s[38:39], 0
.LBB11_76:                              ;   in Loop: Header=BB11_73 Depth=2
	s_andn2_b64 vcc, exec, s[38:39]
	s_cbranch_vccnz .LBB11_71
; %bb.77:                               ;   in Loop: Header=BB11_73 Depth=2
	v_add_u32_e32 v2, v12, v5
	s_branch .LBB11_71
.LBB11_78:                              ;   in Loop: Header=BB11_10 Depth=1
                                        ; implicit-def: $sgpr28
                                        ; implicit-def: $vgpr12
	s_cbranch_execz .LBB11_10
.LBB11_79:
	v_cmp_gt_i32_e64 s[0:1], s46, v0
	s_and_saveexec_b64 s[4:5], s[0:1]
	s_cbranch_execz .LBB11_92
; %bb.80:
	s_mul_i32 s26, s33, s46
	v_add_u32_e32 v2, s26, v1
	v_mul_lo_u32 v4, v2, s46
	s_cmp_lg_u32 s47, 0
	v_mul_u32_u24_e32 v2, 0x84, v1
	s_movk_i32 s16, 0x1080
	s_cselect_b64 s[8:9], -1, 0
	v_cmp_gt_i32_e64 s[2:3], s46, v1
	v_add3_u32 v5, v2, v6, s16
	s_mov_b64 s[16:17], 0
	v_mov_b32_e32 v7, v0
	s_branch .LBB11_82
.LBB11_81:                              ;   in Loop: Header=BB11_82 Depth=1
	s_or_b64 exec, exec, s[22:23]
	v_add_u32_e32 v7, 2, v7
	v_cmp_le_i32_e32 vcc, s46, v7
	s_waitcnt vmcnt(0)
	ds_write_b32 v5, v3
	s_or_b64 s[16:17], vcc, s[16:17]
	v_add_u32_e32 v5, 8, v5
	s_andn2_b64 exec, exec, s[16:17]
	s_cbranch_execz .LBB11_92
.LBB11_82:                              ; =>This Inner Loop Header: Depth=1
	s_and_b64 vcc, exec, s[8:9]
	s_cbranch_vccz .LBB11_89
; %bb.83:                               ;   in Loop: Header=BB11_82 Depth=1
	s_mov_b64 s[22:23], 0
	s_mov_b64 s[18:19], 0
                                        ; implicit-def: $vgpr2
	s_and_saveexec_b64 s[24:25], s[2:3]
	s_xor_b64 s[24:25], exec, s[24:25]
; %bb.84:                               ;   in Loop: Header=BB11_82 Depth=1
	v_add_u32_e32 v2, s26, v7
	s_mov_b64 s[18:19], exec
	v_mad_u64_u32 v[2:3], s[28:29], v2, s46, v[1:2]
; %bb.85:                               ;   in Loop: Header=BB11_82 Depth=1
	s_or_b64 exec, exec, s[24:25]
	s_and_b64 vcc, exec, s[22:23]
	s_cbranch_vccz .LBB11_90
.LBB11_86:                              ;   in Loop: Header=BB11_82 Depth=1
                                        ; implicit-def: $vgpr2
	s_and_saveexec_b64 s[22:23], s[2:3]
; %bb.87:                               ;   in Loop: Header=BB11_82 Depth=1
	v_add_u32_e32 v2, v4, v7
	s_or_b64 s[18:19], s[18:19], exec
; %bb.88:                               ;   in Loop: Header=BB11_82 Depth=1
	s_or_b64 exec, exec, s[22:23]
	v_mov_b32_e32 v3, 0
	s_and_saveexec_b64 s[22:23], s[18:19]
	s_cbranch_execz .LBB11_81
	s_branch .LBB11_91
.LBB11_89:                              ;   in Loop: Header=BB11_82 Depth=1
	s_mov_b64 s[18:19], 0
                                        ; implicit-def: $vgpr2
	s_cbranch_execnz .LBB11_86
.LBB11_90:                              ;   in Loop: Header=BB11_82 Depth=1
	v_mov_b32_e32 v3, 0
	s_and_saveexec_b64 s[22:23], s[18:19]
	s_cbranch_execz .LBB11_81
.LBB11_91:                              ;   in Loop: Header=BB11_82 Depth=1
	v_ashrrev_i32_e32 v3, 31, v2
	v_lshlrev_b64 v[2:3], 2, v[2:3]
	v_mov_b32_e32 v8, s21
	v_add_co_u32_e32 v2, vcc, s20, v2
	v_addc_co_u32_e32 v3, vcc, v8, v3, vcc
	global_load_dword v3, v[2:3], off
	s_branch .LBB11_81
.LBB11_92:
	s_or_b64 exec, exec, s[4:5]
	s_cmp_lt_i32 s46, 1
	s_waitcnt lgkmcnt(0)
	s_cbranch_scc1 .LBB11_105
; %bb.93:
	v_or_b32_e32 v3, v0, v1
	s_movk_i32 s4, 0x84
	v_mov_b32_e32 v8, 0x1080
	v_cmp_ne_u32_e64 s[2:3], 0, v3
	v_mov_b32_e32 v3, 0x2100
	v_mad_u32_u24 v2, v1, s4, v8
	v_mul_u32_u24_e32 v7, 0x84, v1
	s_movk_i32 s5, 0x2100
	v_mad_u32_u24 v3, v1, s4, v3
	v_lshlrev_b32_e32 v5, 2, v1
	s_mov_b32 s16, 0
	s_add_i32 s17, s12, s13
	v_add_u32_e32 v4, v2, v5
	v_add_u32_e32 v5, v3, v5
	v_add3_u32 v7, v7, v6, s5
	v_mad_u32_u24 v8, v0, s4, v8
	s_mov_b32 s18, 0xf800000
	v_mov_b32_e32 v9, 0x260
	v_mov_b32_e32 v10, 0
	s_branch .LBB11_95
.LBB11_94:                              ;   in Loop: Header=BB11_95 Depth=1
	s_or_b64 exec, exec, s[4:5]
	s_add_i32 s16, s16, 1
	s_cmp_eq_u32 s16, s46
	v_add_u32_e32 v8, 4, v8
	s_waitcnt lgkmcnt(0)
	s_cbranch_scc1 .LBB11_105
.LBB11_95:                              ; =>This Loop Header: Depth=1
                                        ;     Child Loop BB11_104 Depth 2
	v_cmp_eq_u32_e32 vcc, s16, v1
	s_and_saveexec_b64 s[8:9], vcc
	s_cbranch_execz .LBB11_97
; %bb.96:                               ;   in Loop: Header=BB11_95 Depth=1
	ds_read_b32 v11, v4
	ds_read_b32 v12, v5
	s_waitcnt lgkmcnt(0)
	v_sub_f32_e32 v11, v11, v12
	v_cmp_gt_f32_e32 vcc, 0, v11
	v_cndmask_b32_e64 v11, v11, -v11, vcc
	v_mul_f32_e32 v12, 0x4f800000, v11
	v_cmp_gt_f32_e32 vcc, s18, v11
	v_cndmask_b32_e32 v11, v11, v12, vcc
	v_sqrt_f32_e32 v12, v11
	v_add_u32_e32 v13, -1, v12
	v_add_u32_e32 v14, 1, v12
	v_fma_f32 v15, -v13, v12, v11
	v_fma_f32 v16, -v14, v12, v11
	v_cmp_ge_f32_e64 s[4:5], 0, v15
	v_cndmask_b32_e64 v12, v12, v13, s[4:5]
	v_cmp_lt_f32_e64 s[4:5], 0, v16
	v_cndmask_b32_e64 v12, v12, v14, s[4:5]
	v_mul_f32_e32 v13, 0x37800000, v12
	v_cndmask_b32_e32 v12, v12, v13, vcc
	v_cmp_class_f32_e32 vcc, v11, v9
	v_cndmask_b32_e32 v11, v12, v11, vcc
	ds_write_b32 v4, v11
.LBB11_97:                              ;   in Loop: Header=BB11_95 Depth=1
	s_or_b64 exec, exec, s[8:9]
	s_lshl_b32 s4, s16, 2
	s_mul_i32 s5, s16, 0x84
	s_add_i32 s5, s5, s4
	v_mov_b32_e32 v11, s5
	s_waitcnt lgkmcnt(0)
	ds_read_b32 v13, v11 offset:4224
	v_add_u32_e32 v11, s4, v2
	ds_read_b32 v12, v11
	s_waitcnt lgkmcnt(1)
	v_cmp_neq_f32_e32 vcc, 0, v13
	v_cndmask_b32_e32 v13, 1.0, v13, vcc
	s_nor_b64 s[8:9], vcc, s[2:3]
	s_and_saveexec_b64 s[4:5], s[8:9]
	s_cbranch_execz .LBB11_101
; %bb.98:                               ;   in Loop: Header=BB11_95 Depth=1
	v_mbcnt_lo_u32_b32 v13, exec_lo, 0
	v_mbcnt_hi_u32_b32 v13, exec_hi, v13
	v_cmp_eq_u32_e32 vcc, 0, v13
	s_and_saveexec_b64 s[8:9], vcc
	s_cbranch_execz .LBB11_100
; %bb.99:                               ;   in Loop: Header=BB11_95 Depth=1
	v_mov_b32_e32 v13, s17
	global_atomic_smin v10, v13, s[14:15]
.LBB11_100:                             ;   in Loop: Header=BB11_95 Depth=1
	s_or_b64 exec, exec, s[8:9]
	v_mov_b32_e32 v13, 1.0
.LBB11_101:                             ;   in Loop: Header=BB11_95 Depth=1
	s_or_b64 exec, exec, s[4:5]
	v_cmp_lt_u32_e32 vcc, s16, v1
	s_and_saveexec_b64 s[4:5], vcc
	s_cbranch_execz .LBB11_94
; %bb.102:                              ;   in Loop: Header=BB11_95 Depth=1
	v_lshl_add_u32 v14, s16, 2, v3
	ds_read_b32 v14, v14
	s_waitcnt lgkmcnt(0)
	v_sub_f32_e32 v12, v12, v14
	v_div_scale_f32 v14, s[8:9], v13, v13, v12
	v_div_scale_f32 v15, vcc, v12, v13, v12
	v_rcp_f32_e32 v16, v14
	v_fma_f32 v17, -v14, v16, 1.0
	v_fmac_f32_e32 v16, v17, v16
	v_mul_f32_e32 v17, v15, v16
	v_fma_f32 v18, -v14, v17, v15
	v_fmac_f32_e32 v17, v18, v16
	v_fma_f32 v14, -v14, v17, v15
	v_div_fmas_f32 v14, v14, v16, v17
	v_div_fixup_f32 v12, v14, v13, v12
	ds_write_b32 v11, v12
	s_waitcnt lgkmcnt(0)
	s_and_b64 exec, exec, s[0:1]
	s_cbranch_execz .LBB11_94
; %bb.103:                              ;   in Loop: Header=BB11_95 Depth=1
	s_mov_b64 s[8:9], 0
	v_mov_b32_e32 v11, v8
	v_mov_b32_e32 v13, v7
	;; [unrolled: 1-line block ×3, first 2 shown]
.LBB11_104:                             ;   Parent Loop BB11_95 Depth=1
                                        ; =>  This Inner Loop Header: Depth=2
	ds_read_b32 v15, v11
	ds_read_b32 v16, v13
	v_add_u32_e32 v14, 2, v14
	v_cmp_le_i32_e32 vcc, s46, v14
	s_or_b64 s[8:9], vcc, s[8:9]
	v_add_u32_e32 v11, 0x108, v11
	s_waitcnt lgkmcnt(0)
	v_fmac_f32_e32 v16, v12, v15
	ds_write_b32 v13, v16
	v_add_u32_e32 v13, 8, v13
	s_andn2_b64 exec, exec, s[8:9]
	s_cbranch_execnz .LBB11_104
	s_branch .LBB11_94
.LBB11_105:
	s_and_saveexec_b64 s[2:3], s[0:1]
	s_cbranch_execz .LBB11_114
; %bb.106:
	s_mul_i32 s33, s33, s46
	v_add_u32_e32 v2, s33, v1
	v_mul_lo_u32 v4, v2, s46
	s_cmp_lg_u32 s47, 0
	v_mul_u32_u24_e32 v2, 0x84, v1
	s_movk_i32 s8, 0x1080
	v_cmp_gt_i32_e64 s[0:1], s46, v1
	s_cselect_b64 s[4:5], -1, 0
	v_add3_u32 v5, v2, v6, s8
	s_mov_b64 s[8:9], 0
	v_mov_b32_e32 v6, v0
	s_branch .LBB11_110
.LBB11_107:                             ;   in Loop: Header=BB11_110 Depth=1
	v_add_u32_e32 v2, v4, v6
.LBB11_108:                             ;   in Loop: Header=BB11_110 Depth=1
	v_ashrrev_i32_e32 v3, 31, v2
	v_lshlrev_b64 v[2:3], 2, v[2:3]
	v_mov_b32_e32 v8, s21
	v_add_co_u32_e32 v2, vcc, s20, v2
	v_addc_co_u32_e32 v3, vcc, v8, v3, vcc
	s_waitcnt lgkmcnt(0)
	global_store_dword v[2:3], v7, off
.LBB11_109:                             ;   in Loop: Header=BB11_110 Depth=1
	s_or_b64 exec, exec, s[16:17]
	v_add_u32_e32 v6, 2, v6
	v_cmp_le_i32_e32 vcc, s46, v6
	s_or_b64 s[8:9], vcc, s[8:9]
	v_add_u32_e32 v5, 8, v5
	s_andn2_b64 exec, exec, s[8:9]
	s_cbranch_execz .LBB11_114
.LBB11_110:                             ; =>This Inner Loop Header: Depth=1
	s_and_saveexec_b64 s[16:17], s[0:1]
	s_cbranch_execz .LBB11_109
; %bb.111:                              ;   in Loop: Header=BB11_110 Depth=1
	ds_read_b32 v7, v5
	s_and_b64 vcc, exec, s[4:5]
	s_cbranch_vccz .LBB11_113
; %bb.112:                              ;   in Loop: Header=BB11_110 Depth=1
	v_add_u32_e32 v2, s33, v6
	v_mad_u64_u32 v[2:3], s[18:19], v2, s46, v[1:2]
	s_cbranch_execnz .LBB11_108
	s_branch .LBB11_107
.LBB11_113:                             ;   in Loop: Header=BB11_110 Depth=1
                                        ; implicit-def: $vgpr2
	s_branch .LBB11_107
.LBB11_114:
	s_or_b64 exec, exec, s[2:3]
	v_or_b32_e32 v2, v0, v1
	v_cmp_eq_u32_e32 vcc, 0, v2
	s_and_saveexec_b64 s[0:1], vcc
	s_cbranch_execz .LBB11_116
; %bb.115:
	s_add_u32 s2, s10, s6
	s_addc_u32 s3, s11, s7
	v_mov_b32_e32 v2, 0
	v_mov_b32_e32 v3, 1
	s_waitcnt vmcnt(0)
	global_store_dword v2, v3, s[2:3]
.LBB11_116:
	s_or_b64 exec, exec, s[0:1]
.LBB11_117:
	s_endpgm
.LBB11_118:
	s_cbranch_execz .LBB11_117
; %bb.119:
	v_or_b32_e32 v0, v0, v1
	v_cmp_eq_u32_e32 vcc, 0, v0
	s_and_saveexec_b64 s[0:1], vcc
	s_cbranch_execz .LBB11_117
; %bb.120:
	v_mbcnt_lo_u32_b32 v0, exec_lo, 0
	v_mbcnt_hi_u32_b32 v0, exec_hi, v0
	v_cmp_eq_u32_e32 vcc, 0, v0
	s_and_saveexec_b64 s[0:1], vcc
	s_cbranch_execz .LBB11_122
; %bb.121:
	s_add_i32 s2, s12, s13
	v_mov_b32_e32 v0, 0
	v_mov_b32_e32 v1, s2
	global_atomic_smin v0, v1, s[14:15]
.LBB11_122:
	s_or_b64 exec, exec, s[0:1]
	s_add_u32 s0, s10, s6
	s_addc_u32 s1, s11, s7
	v_mov_b32_e32 v0, 0
	v_mov_b32_e32 v1, 1
	s_waitcnt vmcnt(0)
	global_store_dword v0, v1, s[0:1]
	s_endpgm
	.section	.rodata,"a",@progbits
	.p2align	6, 0x0
	.amdhsa_kernel _ZN9rocsparseL19bsric0_17_32_kernelILi64ELi32ELi32EfEEv20rocsparse_direction_iiPKiS3_PT2_S3_PiS3_S6_21rocsparse_index_base_
		.amdhsa_group_segment_fixed_size 13056
		.amdhsa_private_segment_fixed_size 0
		.amdhsa_kernarg_size 76
		.amdhsa_user_sgpr_count 6
		.amdhsa_user_sgpr_private_segment_buffer 1
		.amdhsa_user_sgpr_dispatch_ptr 0
		.amdhsa_user_sgpr_queue_ptr 0
		.amdhsa_user_sgpr_kernarg_segment_ptr 1
		.amdhsa_user_sgpr_dispatch_id 0
		.amdhsa_user_sgpr_flat_scratch_init 0
		.amdhsa_user_sgpr_private_segment_size 0
		.amdhsa_uses_dynamic_stack 0
		.amdhsa_system_sgpr_private_segment_wavefront_offset 0
		.amdhsa_system_sgpr_workgroup_id_x 1
		.amdhsa_system_sgpr_workgroup_id_y 0
		.amdhsa_system_sgpr_workgroup_id_z 0
		.amdhsa_system_sgpr_workgroup_info 0
		.amdhsa_system_vgpr_workitem_id 1
		.amdhsa_next_free_vgpr 85
		.amdhsa_next_free_sgpr 98
		.amdhsa_reserve_vcc 1
		.amdhsa_reserve_flat_scratch 0
		.amdhsa_float_round_mode_32 0
		.amdhsa_float_round_mode_16_64 0
		.amdhsa_float_denorm_mode_32 3
		.amdhsa_float_denorm_mode_16_64 3
		.amdhsa_dx10_clamp 1
		.amdhsa_ieee_mode 1
		.amdhsa_fp16_overflow 0
		.amdhsa_exception_fp_ieee_invalid_op 0
		.amdhsa_exception_fp_denorm_src 0
		.amdhsa_exception_fp_ieee_div_zero 0
		.amdhsa_exception_fp_ieee_overflow 0
		.amdhsa_exception_fp_ieee_underflow 0
		.amdhsa_exception_fp_ieee_inexact 0
		.amdhsa_exception_int_div_zero 0
	.end_amdhsa_kernel
	.section	.text._ZN9rocsparseL19bsric0_17_32_kernelILi64ELi32ELi32EfEEv20rocsparse_direction_iiPKiS3_PT2_S3_PiS3_S6_21rocsparse_index_base_,"axG",@progbits,_ZN9rocsparseL19bsric0_17_32_kernelILi64ELi32ELi32EfEEv20rocsparse_direction_iiPKiS3_PT2_S3_PiS3_S6_21rocsparse_index_base_,comdat
.Lfunc_end11:
	.size	_ZN9rocsparseL19bsric0_17_32_kernelILi64ELi32ELi32EfEEv20rocsparse_direction_iiPKiS3_PT2_S3_PiS3_S6_21rocsparse_index_base_, .Lfunc_end11-_ZN9rocsparseL19bsric0_17_32_kernelILi64ELi32ELi32EfEEv20rocsparse_direction_iiPKiS3_PT2_S3_PiS3_S6_21rocsparse_index_base_
                                        ; -- End function
	.set _ZN9rocsparseL19bsric0_17_32_kernelILi64ELi32ELi32EfEEv20rocsparse_direction_iiPKiS3_PT2_S3_PiS3_S6_21rocsparse_index_base_.num_vgpr, 25
	.set _ZN9rocsparseL19bsric0_17_32_kernelILi64ELi32ELi32EfEEv20rocsparse_direction_iiPKiS3_PT2_S3_PiS3_S6_21rocsparse_index_base_.num_agpr, 0
	.set _ZN9rocsparseL19bsric0_17_32_kernelILi64ELi32ELi32EfEEv20rocsparse_direction_iiPKiS3_PT2_S3_PiS3_S6_21rocsparse_index_base_.numbered_sgpr, 56
	.set _ZN9rocsparseL19bsric0_17_32_kernelILi64ELi32ELi32EfEEv20rocsparse_direction_iiPKiS3_PT2_S3_PiS3_S6_21rocsparse_index_base_.num_named_barrier, 0
	.set _ZN9rocsparseL19bsric0_17_32_kernelILi64ELi32ELi32EfEEv20rocsparse_direction_iiPKiS3_PT2_S3_PiS3_S6_21rocsparse_index_base_.private_seg_size, 0
	.set _ZN9rocsparseL19bsric0_17_32_kernelILi64ELi32ELi32EfEEv20rocsparse_direction_iiPKiS3_PT2_S3_PiS3_S6_21rocsparse_index_base_.uses_vcc, 1
	.set _ZN9rocsparseL19bsric0_17_32_kernelILi64ELi32ELi32EfEEv20rocsparse_direction_iiPKiS3_PT2_S3_PiS3_S6_21rocsparse_index_base_.uses_flat_scratch, 0
	.set _ZN9rocsparseL19bsric0_17_32_kernelILi64ELi32ELi32EfEEv20rocsparse_direction_iiPKiS3_PT2_S3_PiS3_S6_21rocsparse_index_base_.has_dyn_sized_stack, 0
	.set _ZN9rocsparseL19bsric0_17_32_kernelILi64ELi32ELi32EfEEv20rocsparse_direction_iiPKiS3_PT2_S3_PiS3_S6_21rocsparse_index_base_.has_recursion, 0
	.set _ZN9rocsparseL19bsric0_17_32_kernelILi64ELi32ELi32EfEEv20rocsparse_direction_iiPKiS3_PT2_S3_PiS3_S6_21rocsparse_index_base_.has_indirect_call, 0
	.section	.AMDGPU.csdata,"",@progbits
; Kernel info:
; codeLenInByte = 3532
; TotalNumSgprs: 60
; NumVgprs: 25
; ScratchSize: 0
; MemoryBound: 0
; FloatMode: 240
; IeeeMode: 1
; LDSByteSize: 13056 bytes/workgroup (compile time only)
; SGPRBlocks: 12
; VGPRBlocks: 21
; NumSGPRsForWavesPerEU: 102
; NumVGPRsForWavesPerEU: 85
; Occupancy: 2
; WaveLimiterHint : 1
; COMPUTE_PGM_RSRC2:SCRATCH_EN: 0
; COMPUTE_PGM_RSRC2:USER_SGPR: 6
; COMPUTE_PGM_RSRC2:TRAP_HANDLER: 0
; COMPUTE_PGM_RSRC2:TGID_X_EN: 1
; COMPUTE_PGM_RSRC2:TGID_Y_EN: 0
; COMPUTE_PGM_RSRC2:TGID_Z_EN: 0
; COMPUTE_PGM_RSRC2:TIDIG_COMP_CNT: 1
	.section	.text._ZN9rocsparseL23bsric0_binsearch_kernelILj64ELj64ELb0EfEEv20rocsparse_direction_iiPKiS3_PT2_S3_PiS3_S6_21rocsparse_index_base_,"axG",@progbits,_ZN9rocsparseL23bsric0_binsearch_kernelILj64ELj64ELb0EfEEv20rocsparse_direction_iiPKiS3_PT2_S3_PiS3_S6_21rocsparse_index_base_,comdat
	.globl	_ZN9rocsparseL23bsric0_binsearch_kernelILj64ELj64ELb0EfEEv20rocsparse_direction_iiPKiS3_PT2_S3_PiS3_S6_21rocsparse_index_base_ ; -- Begin function _ZN9rocsparseL23bsric0_binsearch_kernelILj64ELj64ELb0EfEEv20rocsparse_direction_iiPKiS3_PT2_S3_PiS3_S6_21rocsparse_index_base_
	.p2align	8
	.type	_ZN9rocsparseL23bsric0_binsearch_kernelILj64ELj64ELb0EfEEv20rocsparse_direction_iiPKiS3_PT2_S3_PiS3_S6_21rocsparse_index_base_,@function
_ZN9rocsparseL23bsric0_binsearch_kernelILj64ELj64ELb0EfEEv20rocsparse_direction_iiPKiS3_PT2_S3_PiS3_S6_21rocsparse_index_base_: ; @_ZN9rocsparseL23bsric0_binsearch_kernelILj64ELj64ELb0EfEEv20rocsparse_direction_iiPKiS3_PT2_S3_PiS3_S6_21rocsparse_index_base_
; %bb.0:
	s_load_dwordx8 s[16:23], s[4:5], 0x28
	s_ashr_i32 s7, s6, 31
	s_lshl_b64 s[0:1], s[6:7], 2
	v_mov_b32_e32 v1, 0
	s_load_dword s33, s[4:5], 0x48
	s_waitcnt lgkmcnt(0)
	s_add_u32 s0, s20, s0
	s_addc_u32 s1, s21, s1
	global_load_dword v3, v1, s[0:1]
	v_mov_b32_e32 v5, s17
	s_waitcnt vmcnt(0)
	v_ashrrev_i32_e32 v4, 31, v3
	v_lshlrev_b64 v[1:2], 2, v[3:4]
	v_add_co_u32_e32 v4, vcc, s16, v1
	v_addc_co_u32_e32 v5, vcc, v5, v2, vcc
	global_load_dword v13, v[4:5], off
	s_waitcnt vmcnt(0)
	v_readfirstlane_b32 s0, v13
	s_cmp_lg_u32 s0, -1
	s_cselect_b64 s[0:1], -1, 0
	s_and_saveexec_b64 s[2:3], s[0:1]
	s_xor_b64 s[14:15], exec, s[2:3]
	s_cbranch_execz .LBB12_69
; %bb.1:
	s_load_dword s50, s[4:5], 0x8
	s_waitcnt lgkmcnt(0)
	v_cmp_gt_i32_e32 vcc, s50, v0
	s_and_saveexec_b64 s[20:21], vcc
	s_cbranch_execz .LBB12_66
; %bb.2:
	s_load_dwordx4 s[24:27], s[4:5], 0x10
	s_load_dword s6, s[4:5], 0x0
	v_add_u32_e32 v14, s33, v3
	s_mul_i32 s51, s50, s50
	s_load_dwordx2 s[28:29], s[4:5], 0x20
	s_waitcnt lgkmcnt(0)
	v_mov_b32_e32 v5, s25
	v_add_co_u32_e32 v4, vcc, s24, v1
	v_addc_co_u32_e32 v5, vcc, v5, v2, vcc
	global_load_dwordx2 v[4:5], v[4:5], off
	v_mul_lo_u32 v17, v13, s51
	s_cmp_eq_u32 s6, 0
	v_mov_b32_e32 v6, s27
	s_cselect_b64 s[2:3], -1, 0
	s_cmp_lg_u32 s6, 0
	v_cmp_ne_u32_e64 s[0:1], 0, v0
	s_mov_b64 s[30:31], 0
	v_mov_b32_e32 v15, 0
	s_mov_b32 s52, 0xf800000
	v_mov_b32_e32 v16, 0x260
	s_cselect_b64 s[34:35], -1, 0
	v_mov_b32_e32 v22, v0
	s_waitcnt vmcnt(0)
	v_subrev_u32_e32 v18, s33, v4
	v_xad_u32 v19, s33, -1, v5
	v_add_u32_e32 v3, v19, v18
	v_ashrrev_i32_e32 v3, 1, v3
	v_mul_lo_u32 v20, s51, v18
	v_ashrrev_i32_e32 v4, 31, v3
	v_lshlrev_b64 v[4:5], 2, v[3:4]
	v_cmp_lt_i32_e64 s[4:5], v18, v13
	v_add_co_u32_e32 v4, vcc, s26, v4
	v_cmp_ge_i32_e64 s[6:7], v18, v13
	v_cmp_lt_i32_e64 s[8:9], v18, v19
	v_add_u32_e32 v21, v20, v0
	v_addc_co_u32_e32 v5, vcc, v6, v5, vcc
	s_branch .LBB12_4
.LBB12_3:                               ;   in Loop: Header=BB12_4 Depth=1
	v_add_u32_e32 v22, 64, v22
	v_cmp_le_i32_e32 vcc, s50, v22
	s_or_b64 s[30:31], vcc, s[30:31]
	v_add_u32_e32 v21, 64, v21
	s_andn2_b64 exec, exec, s[30:31]
	s_cbranch_execz .LBB12_66
.LBB12_4:                               ; =>This Loop Header: Depth=1
                                        ;     Child Loop BB12_9 Depth 2
                                        ;       Child Loop BB12_12 Depth 3
                                        ;       Child Loop BB12_16 Depth 3
                                        ;         Child Loop BB12_18 Depth 4
                                        ;         Child Loop BB12_25 Depth 4
                                        ;           Child Loop BB12_27 Depth 5
                                        ;           Child Loop BB12_33 Depth 5
                                        ;     Child Loop BB12_40 Depth 2
                                        ;       Child Loop BB12_44 Depth 3
                                        ;       Child Loop BB12_52 Depth 3
                                        ;         Child Loop BB12_54 Depth 4
                                        ;       Child Loop BB12_62 Depth 3
	v_mul_lo_u32 v23, v22, s50
	s_and_saveexec_b64 s[10:11], s[6:7]
	s_xor_b64 s[10:11], exec, s[10:11]
; %bb.5:                                ;   in Loop: Header=BB12_4 Depth=1
	v_mul_lo_u32 v23, v22, s50
; %bb.6:                                ;   in Loop: Header=BB12_4 Depth=1
	s_or_saveexec_b64 s[36:37], s[10:11]
	v_mov_b32_e32 v24, 0
	s_xor_b64 exec, exec, s[36:37]
	s_cbranch_execz .LBB12_37
; %bb.7:                                ;   in Loop: Header=BB12_4 Depth=1
	v_mov_b32_e32 v24, 0
	s_mov_b64 s[38:39], 0
	v_mov_b32_e32 v6, v18
	s_branch .LBB12_9
.LBB12_8:                               ;   in Loop: Header=BB12_9 Depth=2
	s_or_b64 exec, exec, s[40:41]
	v_add_u32_e32 v6, 1, v6
	v_cmp_ge_i32_e32 vcc, v6, v13
	s_xor_b64 s[10:11], s[10:11], -1
	s_or_b64 s[10:11], s[10:11], vcc
	s_and_b64 s[10:11], exec, s[10:11]
	s_or_b64 s[38:39], s[10:11], s[38:39]
	s_andn2_b64 exec, exec, s[38:39]
	s_cbranch_execz .LBB12_36
.LBB12_9:                               ;   Parent Loop BB12_4 Depth=1
                                        ; =>  This Loop Header: Depth=2
                                        ;       Child Loop BB12_12 Depth 3
                                        ;       Child Loop BB12_16 Depth 3
                                        ;         Child Loop BB12_18 Depth 4
                                        ;         Child Loop BB12_25 Depth 4
                                        ;           Child Loop BB12_27 Depth 5
                                        ;           Child Loop BB12_33 Depth 5
	v_ashrrev_i32_e32 v7, 31, v6
	v_lshlrev_b64 v[7:8], 2, v[6:7]
	v_mov_b32_e32 v9, s27
	v_add_co_u32_e32 v7, vcc, s26, v7
	v_addc_co_u32_e32 v8, vcc, v9, v8, vcc
	global_load_dword v25, v[7:8], off
	v_mov_b32_e32 v11, s17
	s_waitcnt vmcnt(0)
	v_subrev_u32_e32 v7, s33, v25
	v_ashrrev_i32_e32 v8, 31, v7
	v_lshlrev_b64 v[8:9], 2, v[7:8]
	v_add_co_u32_e32 v10, vcc, s16, v8
	v_addc_co_u32_e32 v11, vcc, v11, v9, vcc
	global_load_dword v26, v[10:11], off
	s_waitcnt vmcnt(0)
	v_cmp_ne_u32_e64 s[10:11], -1, v26
	s_and_saveexec_b64 s[40:41], s[10:11]
	s_cbranch_execz .LBB12_8
; %bb.10:                               ;   in Loop: Header=BB12_9 Depth=2
	v_mov_b32_e32 v11, s25
	v_add_co_u32_e32 v10, vcc, s24, v8
	v_addc_co_u32_e32 v11, vcc, v11, v9, vcc
	global_load_dword v10, v[10:11], off
	v_mov_b32_e32 v11, s19
	v_add_co_u32_e32 v8, vcc, s18, v8
	v_addc_co_u32_e32 v9, vcc, v11, v9, vcc
	global_load_dword v11, v[8:9], off glc
	s_waitcnt vmcnt(0)
	v_cmp_eq_u32_e32 vcc, 0, v11
	s_and_saveexec_b64 s[12:13], vcc
	s_cbranch_execz .LBB12_13
; %bb.11:                               ;   in Loop: Header=BB12_9 Depth=2
	s_mov_b64 s[42:43], 0
.LBB12_12:                              ;   Parent Loop BB12_4 Depth=1
                                        ;     Parent Loop BB12_9 Depth=2
                                        ; =>    This Inner Loop Header: Depth=3
	global_load_dword v11, v[8:9], off glc
	s_waitcnt vmcnt(0)
	v_cmp_ne_u32_e32 vcc, 0, v11
	s_or_b64 s[42:43], vcc, s[42:43]
	s_andn2_b64 exec, exec, s[42:43]
	s_cbranch_execnz .LBB12_12
.LBB12_13:                              ;   in Loop: Header=BB12_9 Depth=2
	s_or_b64 exec, exec, s[12:13]
	v_subrev_u32_e32 v27, s33, v10
	v_mul_lo_u32 v8, v6, s51
	v_mul_lo_u32 v28, v7, s50
	;; [unrolled: 1-line block ×4, first 2 shown]
	v_add_u32_e32 v30, v8, v22
	v_add_u32_e32 v32, v8, v23
	v_cmp_le_i32_e64 s[12:13], v27, v26
	s_mov_b32 s53, 0
	buffer_wbinvl1_vol
	s_branch .LBB12_16
.LBB12_14:                              ;   in Loop: Header=BB12_16 Depth=3
	s_or_b64 exec, exec, s[44:45]
.LBB12_15:                              ;   in Loop: Header=BB12_16 Depth=3
	s_or_b64 exec, exec, s[42:43]
	s_waitcnt vmcnt(0)
	v_sub_f32_e32 v9, v34, v35
	v_div_scale_f32 v10, s[42:43], v33, v33, v9
	v_div_scale_f32 v11, vcc, v9, v33, v9
	s_add_i32 s53, s53, 1
	s_cmp_eq_u32 s53, s50
	v_add_u32_e32 v31, 1, v31
	v_rcp_f32_e32 v12, v10
	v_fma_f32 v34, -v10, v12, 1.0
	v_fmac_f32_e32 v12, v34, v12
	v_mul_f32_e32 v34, v11, v12
	v_fma_f32 v35, -v10, v34, v11
	v_fmac_f32_e32 v34, v35, v12
	v_fma_f32 v10, -v10, v34, v11
	v_div_fmas_f32 v10, v10, v12, v34
	v_div_fixup_f32 v9, v10, v33, v9
	v_fmac_f32_e32 v24, v9, v9
	global_store_dword v[7:8], v9, off
	s_cbranch_scc1 .LBB12_8
.LBB12_16:                              ;   Parent Loop BB12_4 Depth=1
                                        ;     Parent Loop BB12_9 Depth=2
                                        ; =>    This Loop Header: Depth=3
                                        ;         Child Loop BB12_18 Depth 4
                                        ;         Child Loop BB12_25 Depth 4
                                        ;           Child Loop BB12_27 Depth 5
                                        ;           Child Loop BB12_33 Depth 5
	s_mul_i32 s54, s53, s50
	s_add_i32 s42, s54, s53
	v_add_u32_e32 v7, s42, v29
	v_ashrrev_i32_e32 v8, 31, v7
	v_lshlrev_b64 v[7:8], 2, v[7:8]
	v_mov_b32_e32 v9, s29
	v_add_co_u32_e32 v7, vcc, s28, v7
	v_addc_co_u32_e32 v8, vcc, v9, v8, vcc
	global_load_dword v7, v[7:8], off
	s_waitcnt vmcnt(0)
	v_cmp_neq_f32_e32 vcc, 0, v7
	v_cndmask_b32_e32 v33, 1.0, v7, vcc
	s_nor_b64 s[44:45], vcc, s[0:1]
	s_and_saveexec_b64 s[42:43], s[44:45]
	s_cbranch_execz .LBB12_22
; %bb.17:                               ;   in Loop: Header=BB12_16 Depth=3
	s_mov_b64 s[44:45], exec
	s_brev_b32 s46, -2
.LBB12_18:                              ;   Parent Loop BB12_4 Depth=1
                                        ;     Parent Loop BB12_9 Depth=2
                                        ;       Parent Loop BB12_16 Depth=3
                                        ; =>      This Inner Loop Header: Depth=4
	s_ff1_i32_b64 s47, s[44:45]
	v_readlane_b32 s55, v25, s47
	s_lshl_b64 s[48:49], 1, s47
	s_min_i32 s46, s46, s55
	s_andn2_b64 s[44:45], s[44:45], s[48:49]
	s_cmp_lg_u64 s[44:45], 0
	s_cbranch_scc1 .LBB12_18
; %bb.19:                               ;   in Loop: Header=BB12_16 Depth=3
	v_mbcnt_lo_u32_b32 v7, exec_lo, 0
	v_mbcnt_hi_u32_b32 v7, exec_hi, v7
	v_cmp_eq_u32_e32 vcc, 0, v7
	s_and_saveexec_b64 s[44:45], vcc
	s_xor_b64 s[44:45], exec, s[44:45]
	s_cbranch_execz .LBB12_21
; %bb.20:                               ;   in Loop: Header=BB12_16 Depth=3
	v_mov_b32_e32 v7, s46
	global_atomic_smin v15, v7, s[22:23]
.LBB12_21:                              ;   in Loop: Header=BB12_16 Depth=3
	s_or_b64 exec, exec, s[44:45]
	v_mov_b32_e32 v33, 1.0
.LBB12_22:                              ;   in Loop: Header=BB12_16 Depth=3
	s_or_b64 exec, exec, s[42:43]
	v_add_u32_e32 v7, s54, v30
	v_add_u32_e32 v8, s53, v32
	v_cndmask_b32_e64 v7, v7, v8, s[2:3]
	v_ashrrev_i32_e32 v8, 31, v7
	v_lshlrev_b64 v[7:8], 2, v[7:8]
	v_mov_b32_e32 v9, s29
	v_add_co_u32_e32 v7, vcc, s28, v7
	v_addc_co_u32_e32 v8, vcc, v9, v8, vcc
	global_load_dword v34, v[7:8], off
	v_mov_b32_e32 v35, 0
	s_and_saveexec_b64 s[42:43], s[12:13]
	s_cbranch_execz .LBB12_15
; %bb.23:                               ;   in Loop: Header=BB12_16 Depth=3
	global_load_dword v36, v[4:5], off
	v_add_u32_e32 v37, s53, v28
	v_mov_b32_e32 v35, 0
	s_mov_b64 s[44:45], 0
	v_mov_b32_e32 v38, v31
	v_mov_b32_e32 v9, v27
	s_branch .LBB12_25
.LBB12_24:                              ;   in Loop: Header=BB12_25 Depth=4
	s_or_b64 exec, exec, s[46:47]
	v_add_u32_e32 v10, 1, v9
	v_cmp_ge_i32_e32 vcc, v9, v26
	v_add_u32_e32 v38, s51, v38
	s_or_b64 s[44:45], vcc, s[44:45]
	v_mov_b32_e32 v9, v10
	s_andn2_b64 exec, exec, s[44:45]
	s_cbranch_execz .LBB12_14
.LBB12_25:                              ;   Parent Loop BB12_4 Depth=1
                                        ;     Parent Loop BB12_9 Depth=2
                                        ;       Parent Loop BB12_16 Depth=3
                                        ; =>      This Loop Header: Depth=4
                                        ;           Child Loop BB12_27 Depth 5
                                        ;           Child Loop BB12_33 Depth 5
	v_ashrrev_i32_e32 v10, 31, v9
	v_lshlrev_b64 v[10:11], 2, v[9:10]
	v_mov_b32_e32 v12, s27
	v_add_co_u32_e32 v10, vcc, s26, v10
	v_addc_co_u32_e32 v11, vcc, v12, v11, vcc
	global_load_dword v12, v[10:11], off
	s_waitcnt vmcnt(1)
	v_mov_b32_e32 v11, v36
	v_mov_b32_e32 v10, v3
	s_and_saveexec_b64 s[46:47], s[8:9]
	s_cbranch_execz .LBB12_29
; %bb.26:                               ;   in Loop: Header=BB12_25 Depth=4
	s_mov_b64 s[48:49], 0
	v_mov_b32_e32 v11, v36
	v_mov_b32_e32 v10, v3
	;; [unrolled: 1-line block ×4, first 2 shown]
.LBB12_27:                              ;   Parent Loop BB12_4 Depth=1
                                        ;     Parent Loop BB12_9 Depth=2
                                        ;       Parent Loop BB12_16 Depth=3
                                        ;         Parent Loop BB12_25 Depth=4
                                        ; =>        This Inner Loop Header: Depth=5
	v_add_u32_e32 v41, 1, v10
	s_waitcnt vmcnt(0)
	v_cmp_lt_i32_e32 vcc, v11, v12
	v_cndmask_b32_e32 v40, v40, v41, vcc
	v_cndmask_b32_e32 v39, v10, v39, vcc
	v_add_u32_e32 v10, v39, v40
	v_ashrrev_i32_e32 v10, 1, v10
	v_ashrrev_i32_e32 v11, 31, v10
	v_lshlrev_b64 v[41:42], 2, v[10:11]
	v_mov_b32_e32 v11, s27
	v_add_co_u32_e32 v41, vcc, s26, v41
	v_addc_co_u32_e32 v42, vcc, v11, v42, vcc
	global_load_dword v11, v[41:42], off
	v_cmp_ge_i32_e32 vcc, v40, v39
	s_or_b64 s[48:49], vcc, s[48:49]
	s_andn2_b64 exec, exec, s[48:49]
	s_cbranch_execnz .LBB12_27
; %bb.28:                               ;   in Loop: Header=BB12_25 Depth=4
	s_or_b64 exec, exec, s[48:49]
.LBB12_29:                              ;   in Loop: Header=BB12_25 Depth=4
	s_or_b64 exec, exec, s[46:47]
	s_waitcnt vmcnt(0)
	v_cmp_eq_u32_e32 vcc, v11, v12
	s_and_saveexec_b64 s[46:47], vcc
	s_cbranch_execz .LBB12_24
; %bb.30:                               ;   in Loop: Header=BB12_25 Depth=4
	v_mul_lo_u32 v11, v9, s51
	v_mul_lo_u32 v10, v10, s51
	v_subrev_u32_e32 v12, s33, v12
	v_mul_lo_u32 v39, v12, s50
	v_add_u32_e32 v40, s54, v11
	v_add_u32_e32 v41, v10, v23
	;; [unrolled: 1-line block ×3, first 2 shown]
	s_mov_b32 s55, 0
	v_mov_b32_e32 v43, v38
	s_branch .LBB12_33
.LBB12_31:                              ;   in Loop: Header=BB12_33 Depth=5
	v_ashrrev_i32_e32 v12, 31, v11
	v_lshlrev_b64 v[11:12], 2, v[11:12]
	v_mov_b32_e32 v45, s29
	v_add_co_u32_e32 v44, vcc, s28, v11
	v_ashrrev_i32_e32 v11, 31, v10
	v_lshlrev_b64 v[10:11], 2, v[10:11]
	v_addc_co_u32_e32 v45, vcc, v45, v12, vcc
	v_mov_b32_e32 v12, s29
	v_add_co_u32_e32 v10, vcc, s28, v10
	v_addc_co_u32_e32 v11, vcc, v12, v11, vcc
	global_load_dword v12, v[44:45], off
	s_nop 0
	global_load_dword v10, v[10:11], off
	s_waitcnt vmcnt(0)
	v_fmac_f32_e32 v35, v12, v10
.LBB12_32:                              ;   in Loop: Header=BB12_33 Depth=5
	s_or_b64 exec, exec, s[48:49]
	s_add_i32 s55, s55, 1
	v_add_u32_e32 v42, s50, v42
	s_cmp_lg_u32 s50, s55
	v_add_u32_e32 v43, s50, v43
	s_cbranch_scc0 .LBB12_24
.LBB12_33:                              ;   Parent Loop BB12_4 Depth=1
                                        ;     Parent Loop BB12_9 Depth=2
                                        ;       Parent Loop BB12_16 Depth=3
                                        ;         Parent Loop BB12_25 Depth=4
                                        ; =>        This Inner Loop Header: Depth=5
	v_add_u32_e32 v10, s55, v39
	v_cmp_lt_i32_e32 vcc, v10, v37
	s_and_saveexec_b64 s[48:49], vcc
	s_cbranch_execz .LBB12_32
; %bb.34:                               ;   in Loop: Header=BB12_33 Depth=5
	s_andn2_b64 vcc, exec, s[2:3]
	v_mov_b32_e32 v10, v42
	v_mov_b32_e32 v11, v43
	s_cbranch_vccnz .LBB12_31
; %bb.35:                               ;   in Loop: Header=BB12_33 Depth=5
	v_add_u32_e32 v11, s55, v40
	v_add_u32_e32 v10, s55, v41
	s_branch .LBB12_31
.LBB12_36:                              ;   in Loop: Header=BB12_4 Depth=1
	s_or_b64 exec, exec, s[38:39]
.LBB12_37:                              ;   in Loop: Header=BB12_4 Depth=1
	s_or_b64 exec, exec, s[36:37]
	v_add_u32_e32 v11, v23, v17
	s_mov_b32 s40, 0
	v_mov_b32_e32 v12, v20
	s_branch .LBB12_40
.LBB12_38:                              ;   in Loop: Header=BB12_40 Depth=2
	s_waitcnt vmcnt(0)
	v_sub_f32_e32 v8, v27, v28
	v_div_scale_f32 v9, s[12:13], v26, v26, v8
	v_div_scale_f32 v10, vcc, v8, v26, v8
	v_rcp_f32_e32 v25, v9
	v_fma_f32 v27, -v9, v25, 1.0
	v_fmac_f32_e32 v25, v27, v25
	v_mul_f32_e32 v27, v10, v25
	v_fma_f32 v28, -v9, v27, v10
	v_fmac_f32_e32 v27, v28, v25
	v_fma_f32 v9, -v9, v27, v10
	v_div_fmas_f32 v9, v9, v25, v27
	v_div_fixup_f32 v8, v9, v26, v8
	v_fmac_f32_e32 v24, v8, v8
	global_store_dword v[6:7], v8, off
.LBB12_39:                              ;   in Loop: Header=BB12_40 Depth=2
	s_or_b64 exec, exec, s[10:11]
	s_add_i32 s40, s40, 1
	s_cmp_eq_u32 s40, s50
	v_add_u32_e32 v12, 1, v12
	s_waitcnt vmcnt(0)
	buffer_wbinvl1_vol
	s_cbranch_scc1 .LBB12_3
.LBB12_40:                              ;   Parent Loop BB12_4 Depth=1
                                        ; =>  This Loop Header: Depth=2
                                        ;       Child Loop BB12_44 Depth 3
                                        ;       Child Loop BB12_52 Depth 3
                                        ;         Child Loop BB12_54 Depth 4
                                        ;       Child Loop BB12_62 Depth 3
	s_mul_i32 s41, s40, s50
	v_add_u32_e32 v25, s41, v17
	v_add_u32_e32 v6, s40, v25
	v_ashrrev_i32_e32 v7, 31, v6
	v_lshlrev_b64 v[6:7], 2, v[6:7]
	v_cmp_eq_u32_e32 vcc, s40, v22
	s_and_saveexec_b64 s[12:13], vcc
	s_cbranch_execz .LBB12_42
; %bb.41:                               ;   in Loop: Header=BB12_40 Depth=2
	v_mov_b32_e32 v9, s29
	v_add_co_u32_e32 v8, vcc, s28, v6
	v_addc_co_u32_e32 v9, vcc, v9, v7, vcc
	global_load_dword v10, v[8:9], off
	s_waitcnt vmcnt(0)
	v_sub_f32_e32 v10, v10, v24
	v_cmp_gt_f32_e32 vcc, 0, v10
	v_cndmask_b32_e64 v10, v10, -v10, vcc
	v_mul_f32_e32 v26, 0x4f800000, v10
	v_cmp_gt_f32_e32 vcc, s52, v10
	v_cndmask_b32_e32 v10, v10, v26, vcc
	v_sqrt_f32_e32 v26, v10
	v_add_u32_e32 v27, -1, v26
	v_add_u32_e32 v28, 1, v26
	v_fma_f32 v29, -v27, v26, v10
	v_fma_f32 v30, -v28, v26, v10
	v_cmp_ge_f32_e64 s[10:11], 0, v29
	v_cndmask_b32_e64 v26, v26, v27, s[10:11]
	v_cmp_lt_f32_e64 s[10:11], 0, v30
	v_cndmask_b32_e64 v26, v26, v28, s[10:11]
	v_mul_f32_e32 v27, 0x37800000, v26
	v_cndmask_b32_e32 v26, v26, v27, vcc
	v_cmp_class_f32_e32 vcc, v10, v16
	v_cndmask_b32_e32 v10, v26, v10, vcc
	global_store_dword v[8:9], v10, off
.LBB12_42:                              ;   in Loop: Header=BB12_40 Depth=2
	s_or_b64 exec, exec, s[12:13]
	v_mov_b32_e32 v8, s29
	v_add_co_u32_e32 v6, vcc, s28, v6
	v_addc_co_u32_e32 v7, vcc, v8, v7, vcc
	s_waitcnt vmcnt(0)
	buffer_wbinvl1_vol
	global_load_dword v6, v[6:7], off
	s_waitcnt vmcnt(0)
	v_cmp_neq_f32_e32 vcc, 0, v6
	v_cndmask_b32_e32 v26, 1.0, v6, vcc
	s_nor_b64 s[12:13], vcc, s[0:1]
	s_and_saveexec_b64 s[10:11], s[12:13]
	s_cbranch_execz .LBB12_48
; %bb.43:                               ;   in Loop: Header=BB12_40 Depth=2
	s_mov_b64 s[12:13], exec
	s_brev_b32 s36, -2
.LBB12_44:                              ;   Parent Loop BB12_4 Depth=1
                                        ;     Parent Loop BB12_40 Depth=2
                                        ; =>    This Inner Loop Header: Depth=3
	s_ff1_i32_b64 s37, s[12:13]
	v_readlane_b32 s42, v14, s37
	s_lshl_b64 s[38:39], 1, s37
	s_min_i32 s36, s36, s42
	s_andn2_b64 s[12:13], s[12:13], s[38:39]
	s_cmp_lg_u64 s[12:13], 0
	s_cbranch_scc1 .LBB12_44
; %bb.45:                               ;   in Loop: Header=BB12_40 Depth=2
	v_mbcnt_lo_u32_b32 v6, exec_lo, 0
	v_mbcnt_hi_u32_b32 v6, exec_hi, v6
	v_cmp_eq_u32_e32 vcc, 0, v6
	s_and_saveexec_b64 s[12:13], vcc
	s_xor_b64 s[12:13], exec, s[12:13]
	s_cbranch_execz .LBB12_47
; %bb.46:                               ;   in Loop: Header=BB12_40 Depth=2
	v_mov_b32_e32 v6, s36
	global_atomic_smin v15, v6, s[22:23]
.LBB12_47:                              ;   in Loop: Header=BB12_40 Depth=2
	s_or_b64 exec, exec, s[12:13]
	v_mov_b32_e32 v26, 1.0
.LBB12_48:                              ;   in Loop: Header=BB12_40 Depth=2
	s_or_b64 exec, exec, s[10:11]
	v_cmp_lt_i32_e32 vcc, s40, v22
	s_and_saveexec_b64 s[10:11], vcc
	s_cbranch_execz .LBB12_39
; %bb.49:                               ;   in Loop: Header=BB12_40 Depth=2
	v_add_u32_e32 v6, v25, v22
	v_add_u32_e32 v7, s40, v11
	v_cndmask_b32_e64 v6, v6, v7, s[2:3]
	v_ashrrev_i32_e32 v7, 31, v6
	v_lshlrev_b64 v[6:7], 2, v[6:7]
	v_mov_b32_e32 v8, s29
	v_add_co_u32_e32 v6, vcc, s28, v6
	v_addc_co_u32_e32 v7, vcc, v8, v7, vcc
	global_load_dword v27, v[6:7], off
	v_mov_b32_e32 v28, 0
	s_and_saveexec_b64 s[12:13], s[4:5]
	s_cbranch_execz .LBB12_59
; %bb.50:                               ;   in Loop: Header=BB12_40 Depth=2
	v_mov_b32_e32 v28, 0
	s_mov_b64 s[36:37], 0
	v_mov_b32_e32 v29, v12
	v_mov_b32_e32 v30, v21
	;; [unrolled: 1-line block ×3, first 2 shown]
	s_branch .LBB12_52
.LBB12_51:                              ;   in Loop: Header=BB12_52 Depth=3
	v_add_u32_e32 v31, 1, v31
	v_cmp_ge_i32_e32 vcc, v31, v13
	v_add_u32_e32 v30, s51, v30
	s_or_b64 s[36:37], vcc, s[36:37]
	v_add_u32_e32 v29, s51, v29
	s_andn2_b64 exec, exec, s[36:37]
	s_cbranch_execz .LBB12_58
.LBB12_52:                              ;   Parent Loop BB12_4 Depth=1
                                        ;     Parent Loop BB12_40 Depth=2
                                        ; =>    This Loop Header: Depth=3
                                        ;         Child Loop BB12_54 Depth 4
	v_mul_lo_u32 v8, v31, s51
	s_mov_b32 s42, 0
	s_mov_b32 s43, s50
	;; [unrolled: 1-line block ×3, first 2 shown]
	v_add_u32_e32 v32, s41, v8
	v_add_u32_e32 v33, v8, v23
	s_branch .LBB12_54
.LBB12_53:                              ;   in Loop: Header=BB12_54 Depth=4
	v_ashrrev_i32_e32 v10, 31, v9
	v_lshlrev_b64 v[9:10], 2, v[9:10]
	v_mov_b32_e32 v36, s29
	v_add_co_u32_e32 v34, vcc, s28, v9
	v_ashrrev_i32_e32 v9, 31, v8
	v_lshlrev_b64 v[8:9], 2, v[8:9]
	v_addc_co_u32_e32 v35, vcc, v36, v10, vcc
	v_add_co_u32_e32 v8, vcc, s28, v8
	v_addc_co_u32_e32 v9, vcc, v36, v9, vcc
	global_load_dword v10, v[34:35], off
	global_load_dword v36, v[8:9], off
	s_add_i32 s44, s44, 1
	s_add_i32 s42, s42, s50
	s_add_i32 s43, s43, -1
	s_cmp_eq_u32 s43, 0
	s_waitcnt vmcnt(0)
	v_fmac_f32_e32 v28, v10, v36
	s_cbranch_scc1 .LBB12_51
.LBB12_54:                              ;   Parent Loop BB12_4 Depth=1
                                        ;     Parent Loop BB12_40 Depth=2
                                        ;       Parent Loop BB12_52 Depth=3
                                        ; =>      This Inner Loop Header: Depth=4
	s_mov_b64 s[38:39], -1
	s_and_b64 vcc, exec, s[34:35]
                                        ; implicit-def: $vgpr9
                                        ; implicit-def: $vgpr8
	s_cbranch_vccz .LBB12_56
; %bb.55:                               ;   in Loop: Header=BB12_54 Depth=4
	v_add_u32_e32 v9, s42, v29
	v_add_u32_e32 v8, s42, v30
	s_mov_b64 s[38:39], 0
.LBB12_56:                              ;   in Loop: Header=BB12_54 Depth=4
	s_andn2_b64 vcc, exec, s[38:39]
	s_cbranch_vccnz .LBB12_53
; %bb.57:                               ;   in Loop: Header=BB12_54 Depth=4
	v_add_u32_e32 v9, s44, v32
	v_add_u32_e32 v8, s44, v33
	s_branch .LBB12_53
.LBB12_58:                              ;   in Loop: Header=BB12_40 Depth=2
	s_or_b64 exec, exec, s[36:37]
.LBB12_59:                              ;   in Loop: Header=BB12_40 Depth=2
	s_or_b64 exec, exec, s[12:13]
	s_cmp_eq_u32 s40, 0
	s_cbranch_scc1 .LBB12_38
; %bb.60:                               ;   in Loop: Header=BB12_40 Depth=2
	s_mov_b32 s36, 0
	v_mov_b32_e32 v29, v17
	s_branch .LBB12_62
.LBB12_61:                              ;   in Loop: Header=BB12_62 Depth=3
	v_ashrrev_i32_e32 v10, 31, v9
	v_lshlrev_b64 v[9:10], 2, v[9:10]
	v_mov_b32_e32 v32, s29
	v_add_co_u32_e32 v30, vcc, s28, v9
	v_ashrrev_i32_e32 v9, 31, v8
	v_lshlrev_b64 v[8:9], 2, v[8:9]
	v_addc_co_u32_e32 v31, vcc, v32, v10, vcc
	v_add_co_u32_e32 v8, vcc, s28, v8
	v_addc_co_u32_e32 v9, vcc, v32, v9, vcc
	global_load_dword v10, v[30:31], off
	global_load_dword v32, v[8:9], off
	s_add_i32 s36, s36, 1
	s_cmp_eq_u32 s40, s36
	v_add_u32_e32 v29, s50, v29
	s_waitcnt vmcnt(0)
	v_fmac_f32_e32 v28, v10, v32
	s_cbranch_scc1 .LBB12_38
.LBB12_62:                              ;   Parent Loop BB12_4 Depth=1
                                        ;     Parent Loop BB12_40 Depth=2
                                        ; =>    This Inner Loop Header: Depth=3
	s_mov_b64 s[12:13], -1
	s_and_b64 vcc, exec, s[34:35]
                                        ; implicit-def: $vgpr9
                                        ; implicit-def: $vgpr8
	s_cbranch_vccz .LBB12_64
; %bb.63:                               ;   in Loop: Header=BB12_62 Depth=3
	v_add_u32_e32 v9, s40, v29
	v_add_u32_e32 v8, v22, v29
	s_mov_b64 s[12:13], 0
.LBB12_64:                              ;   in Loop: Header=BB12_62 Depth=3
	s_andn2_b64 vcc, exec, s[12:13]
	s_cbranch_vccnz .LBB12_61
; %bb.65:                               ;   in Loop: Header=BB12_62 Depth=3
	v_add_u32_e32 v9, s36, v25
	v_add_u32_e32 v8, s36, v11
	s_branch .LBB12_61
.LBB12_66:
	s_or_b64 exec, exec, s[20:21]
	v_cmp_eq_u32_e32 vcc, 63, v0
	s_and_saveexec_b64 s[0:1], vcc
	s_cbranch_execz .LBB12_68
; %bb.67:
	v_mov_b32_e32 v3, s19
	v_add_co_u32_e32 v0, vcc, s18, v1
	v_addc_co_u32_e32 v1, vcc, v3, v2, vcc
	v_mov_b32_e32 v2, 1
	global_store_dword v[0:1], v2, off
.LBB12_68:
	s_or_b64 exec, exec, s[0:1]
                                        ; implicit-def: $vgpr0
                                        ; implicit-def: $vgpr1_vgpr2
                                        ; implicit-def: $vgpr3_vgpr4
.LBB12_69:
	s_andn2_saveexec_b64 s[0:1], s[14:15]
	s_cbranch_execz .LBB12_76
; %bb.70:
	v_cmp_eq_u32_e32 vcc, 63, v0
	s_and_saveexec_b64 s[0:1], vcc
	s_cbranch_execz .LBB12_76
; %bb.71:
	s_mov_b64 s[0:1], exec
	v_add_u32_e32 v0, s33, v3
	s_brev_b32 s2, -2
.LBB12_72:                              ; =>This Inner Loop Header: Depth=1
	s_ff1_i32_b64 s3, s[0:1]
	v_readlane_b32 s6, v0, s3
	s_lshl_b64 s[4:5], 1, s3
	s_min_i32 s2, s2, s6
	s_andn2_b64 s[0:1], s[0:1], s[4:5]
	s_cmp_lg_u64 s[0:1], 0
	s_cbranch_scc1 .LBB12_72
; %bb.73:
	v_mbcnt_lo_u32_b32 v0, exec_lo, 0
	v_mbcnt_hi_u32_b32 v0, exec_hi, v0
	v_cmp_eq_u32_e32 vcc, 0, v0
	s_and_saveexec_b64 s[0:1], vcc
	s_xor_b64 s[0:1], exec, s[0:1]
	s_cbranch_execz .LBB12_75
; %bb.74:
	v_mov_b32_e32 v0, 0
	v_mov_b32_e32 v3, s2
	global_atomic_smin v0, v3, s[22:23]
.LBB12_75:
	s_or_b64 exec, exec, s[0:1]
	v_mov_b32_e32 v3, s19
	v_add_co_u32_e32 v0, vcc, s18, v1
	v_addc_co_u32_e32 v1, vcc, v3, v2, vcc
	v_mov_b32_e32 v2, 1
	s_waitcnt vmcnt(0)
	global_store_dword v[0:1], v2, off
.LBB12_76:
	s_endpgm
	.section	.rodata,"a",@progbits
	.p2align	6, 0x0
	.amdhsa_kernel _ZN9rocsparseL23bsric0_binsearch_kernelILj64ELj64ELb0EfEEv20rocsparse_direction_iiPKiS3_PT2_S3_PiS3_S6_21rocsparse_index_base_
		.amdhsa_group_segment_fixed_size 0
		.amdhsa_private_segment_fixed_size 0
		.amdhsa_kernarg_size 76
		.amdhsa_user_sgpr_count 6
		.amdhsa_user_sgpr_private_segment_buffer 1
		.amdhsa_user_sgpr_dispatch_ptr 0
		.amdhsa_user_sgpr_queue_ptr 0
		.amdhsa_user_sgpr_kernarg_segment_ptr 1
		.amdhsa_user_sgpr_dispatch_id 0
		.amdhsa_user_sgpr_flat_scratch_init 0
		.amdhsa_user_sgpr_private_segment_size 0
		.amdhsa_uses_dynamic_stack 0
		.amdhsa_system_sgpr_private_segment_wavefront_offset 0
		.amdhsa_system_sgpr_workgroup_id_x 1
		.amdhsa_system_sgpr_workgroup_id_y 0
		.amdhsa_system_sgpr_workgroup_id_z 0
		.amdhsa_system_sgpr_workgroup_info 0
		.amdhsa_system_vgpr_workitem_id 0
		.amdhsa_next_free_vgpr 46
		.amdhsa_next_free_sgpr 56
		.amdhsa_reserve_vcc 1
		.amdhsa_reserve_flat_scratch 0
		.amdhsa_float_round_mode_32 0
		.amdhsa_float_round_mode_16_64 0
		.amdhsa_float_denorm_mode_32 3
		.amdhsa_float_denorm_mode_16_64 3
		.amdhsa_dx10_clamp 1
		.amdhsa_ieee_mode 1
		.amdhsa_fp16_overflow 0
		.amdhsa_exception_fp_ieee_invalid_op 0
		.amdhsa_exception_fp_denorm_src 0
		.amdhsa_exception_fp_ieee_div_zero 0
		.amdhsa_exception_fp_ieee_overflow 0
		.amdhsa_exception_fp_ieee_underflow 0
		.amdhsa_exception_fp_ieee_inexact 0
		.amdhsa_exception_int_div_zero 0
	.end_amdhsa_kernel
	.section	.text._ZN9rocsparseL23bsric0_binsearch_kernelILj64ELj64ELb0EfEEv20rocsparse_direction_iiPKiS3_PT2_S3_PiS3_S6_21rocsparse_index_base_,"axG",@progbits,_ZN9rocsparseL23bsric0_binsearch_kernelILj64ELj64ELb0EfEEv20rocsparse_direction_iiPKiS3_PT2_S3_PiS3_S6_21rocsparse_index_base_,comdat
.Lfunc_end12:
	.size	_ZN9rocsparseL23bsric0_binsearch_kernelILj64ELj64ELb0EfEEv20rocsparse_direction_iiPKiS3_PT2_S3_PiS3_S6_21rocsparse_index_base_, .Lfunc_end12-_ZN9rocsparseL23bsric0_binsearch_kernelILj64ELj64ELb0EfEEv20rocsparse_direction_iiPKiS3_PT2_S3_PiS3_S6_21rocsparse_index_base_
                                        ; -- End function
	.set _ZN9rocsparseL23bsric0_binsearch_kernelILj64ELj64ELb0EfEEv20rocsparse_direction_iiPKiS3_PT2_S3_PiS3_S6_21rocsparse_index_base_.num_vgpr, 46
	.set _ZN9rocsparseL23bsric0_binsearch_kernelILj64ELj64ELb0EfEEv20rocsparse_direction_iiPKiS3_PT2_S3_PiS3_S6_21rocsparse_index_base_.num_agpr, 0
	.set _ZN9rocsparseL23bsric0_binsearch_kernelILj64ELj64ELb0EfEEv20rocsparse_direction_iiPKiS3_PT2_S3_PiS3_S6_21rocsparse_index_base_.numbered_sgpr, 56
	.set _ZN9rocsparseL23bsric0_binsearch_kernelILj64ELj64ELb0EfEEv20rocsparse_direction_iiPKiS3_PT2_S3_PiS3_S6_21rocsparse_index_base_.num_named_barrier, 0
	.set _ZN9rocsparseL23bsric0_binsearch_kernelILj64ELj64ELb0EfEEv20rocsparse_direction_iiPKiS3_PT2_S3_PiS3_S6_21rocsparse_index_base_.private_seg_size, 0
	.set _ZN9rocsparseL23bsric0_binsearch_kernelILj64ELj64ELb0EfEEv20rocsparse_direction_iiPKiS3_PT2_S3_PiS3_S6_21rocsparse_index_base_.uses_vcc, 1
	.set _ZN9rocsparseL23bsric0_binsearch_kernelILj64ELj64ELb0EfEEv20rocsparse_direction_iiPKiS3_PT2_S3_PiS3_S6_21rocsparse_index_base_.uses_flat_scratch, 0
	.set _ZN9rocsparseL23bsric0_binsearch_kernelILj64ELj64ELb0EfEEv20rocsparse_direction_iiPKiS3_PT2_S3_PiS3_S6_21rocsparse_index_base_.has_dyn_sized_stack, 0
	.set _ZN9rocsparseL23bsric0_binsearch_kernelILj64ELj64ELb0EfEEv20rocsparse_direction_iiPKiS3_PT2_S3_PiS3_S6_21rocsparse_index_base_.has_recursion, 0
	.set _ZN9rocsparseL23bsric0_binsearch_kernelILj64ELj64ELb0EfEEv20rocsparse_direction_iiPKiS3_PT2_S3_PiS3_S6_21rocsparse_index_base_.has_indirect_call, 0
	.section	.AMDGPU.csdata,"",@progbits
; Kernel info:
; codeLenInByte = 2600
; TotalNumSgprs: 60
; NumVgprs: 46
; ScratchSize: 0
; MemoryBound: 0
; FloatMode: 240
; IeeeMode: 1
; LDSByteSize: 0 bytes/workgroup (compile time only)
; SGPRBlocks: 7
; VGPRBlocks: 11
; NumSGPRsForWavesPerEU: 60
; NumVGPRsForWavesPerEU: 46
; Occupancy: 5
; WaveLimiterHint : 1
; COMPUTE_PGM_RSRC2:SCRATCH_EN: 0
; COMPUTE_PGM_RSRC2:USER_SGPR: 6
; COMPUTE_PGM_RSRC2:TRAP_HANDLER: 0
; COMPUTE_PGM_RSRC2:TGID_X_EN: 1
; COMPUTE_PGM_RSRC2:TGID_Y_EN: 0
; COMPUTE_PGM_RSRC2:TGID_Z_EN: 0
; COMPUTE_PGM_RSRC2:TIDIG_COMP_CNT: 0
	.section	.text._ZN9rocsparseL17bsric0_2_8_kernelILi64ELi64ELi8EfEEv20rocsparse_direction_iiPKiS3_PT2_S3_PiS3_S6_21rocsparse_index_base_,"axG",@progbits,_ZN9rocsparseL17bsric0_2_8_kernelILi64ELi64ELi8EfEEv20rocsparse_direction_iiPKiS3_PT2_S3_PiS3_S6_21rocsparse_index_base_,comdat
	.globl	_ZN9rocsparseL17bsric0_2_8_kernelILi64ELi64ELi8EfEEv20rocsparse_direction_iiPKiS3_PT2_S3_PiS3_S6_21rocsparse_index_base_ ; -- Begin function _ZN9rocsparseL17bsric0_2_8_kernelILi64ELi64ELi8EfEEv20rocsparse_direction_iiPKiS3_PT2_S3_PiS3_S6_21rocsparse_index_base_
	.p2align	8
	.type	_ZN9rocsparseL17bsric0_2_8_kernelILi64ELi64ELi8EfEEv20rocsparse_direction_iiPKiS3_PT2_S3_PiS3_S6_21rocsparse_index_base_,@function
_ZN9rocsparseL17bsric0_2_8_kernelILi64ELi64ELi8EfEEv20rocsparse_direction_iiPKiS3_PT2_S3_PiS3_S6_21rocsparse_index_base_: ; @_ZN9rocsparseL17bsric0_2_8_kernelILi64ELi64ELi8EfEEv20rocsparse_direction_iiPKiS3_PT2_S3_PiS3_S6_21rocsparse_index_base_
; %bb.0:
	s_load_dwordx8 s[8:15], s[4:5], 0x28
	s_mov_b32 s7, 0
	s_lshl_b64 s[0:1], s[6:7], 2
	s_waitcnt lgkmcnt(0)
	s_add_u32 s0, s12, s0
	s_addc_u32 s1, s13, s1
	s_load_dword s12, s[0:1], 0x0
	s_waitcnt lgkmcnt(0)
	s_ashr_i32 s13, s12, 31
	s_lshl_b64 s[6:7], s[12:13], 2
	s_add_u32 s0, s8, s6
	s_addc_u32 s1, s9, s7
	s_load_dword s40, s[0:1], 0x0
	s_load_dword s13, s[4:5], 0x48
	s_waitcnt lgkmcnt(0)
	s_cmp_lg_u32 s40, -1
	s_cbranch_scc0 .LBB13_79
; %bb.1:
	s_load_dwordx4 s[16:19], s[4:5], 0x10
	s_load_dwordx2 s[20:21], s[4:5], 0x20
	v_lshlrev_b32_e32 v2, 3, v1
	v_lshlrev_b32_e32 v5, 2, v0
	s_waitcnt lgkmcnt(0)
	s_add_u32 s0, s16, s6
	s_addc_u32 s1, s17, s7
	s_load_dword s0, s[0:1], 0x0
	s_waitcnt lgkmcnt(0)
	s_sub_i32 s41, s0, s13
	v_add3_u32 v2, v2, v0, s41
	v_cmp_ge_i32_e32 vcc, s40, v2
	s_and_saveexec_b64 s[0:1], vcc
	s_cbranch_execz .LBB13_4
; %bb.2:
	v_lshlrev_b32_e32 v3, 5, v1
	s_movk_i32 s2, 0x680
	v_add3_u32 v6, v3, v5, s2
	v_ashrrev_i32_e32 v3, 31, v2
	v_lshlrev_b64 v[3:4], 2, v[2:3]
	v_mov_b32_e32 v7, s19
	v_add_co_u32_e32 v3, vcc, s18, v3
	v_addc_co_u32_e32 v4, vcc, v7, v4, vcc
	s_mov_b64 s[2:3], 0
.LBB13_3:                               ; =>This Inner Loop Header: Depth=1
	global_load_dword v7, v[3:4], off
	v_add_co_u32_e32 v3, vcc, 0x100, v3
	v_add_u32_e32 v2, 64, v2
	v_addc_co_u32_e32 v4, vcc, 0, v4, vcc
	v_cmp_lt_i32_e32 vcc, s40, v2
	s_or_b64 s[2:3], vcc, s[2:3]
	s_waitcnt vmcnt(0)
	v_subrev_u32_e32 v7, s13, v7
	ds_write_b32 v6, v7
	v_add_u32_e32 v6, 0x100, v6
	s_andn2_b64 exec, exec, s[2:3]
	s_cbranch_execnz .LBB13_3
.LBB13_4:
	s_or_b64 exec, exec, s[0:1]
	s_load_dword s42, s[4:5], 0x0
	s_load_dword s33, s[4:5], 0x8
	v_mov_b32_e32 v2, 0x360
	v_mad_u32_u24 v8, v1, 36, v2
	v_lshl_add_u32 v7, v0, 2, v8
	v_mov_b32_e32 v9, 0
	s_cmp_ge_i32 s41, s40
	ds_write_b32 v7, v9
	s_waitcnt lgkmcnt(0)
	s_cbranch_scc1 .LBB13_57
; %bb.5:
	s_cmp_lg_u32 s42, 0
	s_cselect_b64 s[22:23], -1, 0
	s_cmp_eq_u32 s42, 0
	v_cmp_gt_i32_e64 s[0:1], s33, v0
	v_cmp_gt_i32_e64 s[2:3], s33, v1
	v_mul_lo_u32 v13, s33, v0
	v_mul_lo_u32 v14, s33, v1
	s_cselect_b64 vcc, -1, 0
	s_and_b64 s[24:25], s[0:1], s[2:3]
	v_mov_b32_e32 v2, 0x240
	v_mov_b32_e32 v3, 0x120
	v_mad_u32_u24 v10, v1, 36, v2
	s_cmp_gt_i32 s33, 0
	v_mad_u32_u24 v15, v1, 36, v3
	v_or_b32_e32 v3, v0, v1
	v_add_u32_e32 v11, v10, v5
	s_mul_i32 s43, s33, s33
	v_mad_u32_u24 v12, v1, 36, v5
	s_cselect_b64 s[26:27], -1, 0
	v_add_u32_e32 v16, v15, v5
	v_cmp_ne_u32_e64 s[4:5], 0, v3
	v_mad_u32_u24 v17, v0, 36, v2
	v_cndmask_b32_e32 v2, v1, v0, vcc
	v_cndmask_b32_e32 v18, v0, v1, vcc
	v_mov_b32_e32 v19, 0
	s_mov_b32 s28, s41
	s_branch .LBB13_7
.LBB13_6:                               ;   in Loop: Header=BB13_7 Depth=1
	s_or_b64 exec, exec, s[30:31]
	s_add_i32 s28, s28, 1
	s_cmp_ge_i32 s28, s40
	s_cselect_b64 s[30:31], -1, 0
	s_waitcnt vmcnt(0)
	buffer_wbinvl1_vol
	s_and_b64 vcc, exec, s[30:31]
	s_cbranch_vccnz .LBB13_57
.LBB13_7:                               ; =>This Loop Header: Depth=1
                                        ;     Child Loop BB13_12 Depth 2
                                        ;     Child Loop BB13_23 Depth 2
	;; [unrolled: 1-line block ×4, first 2 shown]
                                        ;       Child Loop BB13_53 Depth 3
	s_ashr_i32 s29, s28, 31
	s_lshl_b64 s[30:31], s[28:29], 2
	s_add_u32 s30, s18, s30
	s_addc_u32 s31, s19, s31
	s_load_dword s29, s[30:31], 0x0
	s_waitcnt lgkmcnt(0)
	s_sub_i32 s34, s29, s13
	s_ashr_i32 s35, s34, 31
	s_lshl_b64 s[30:31], s[34:35], 2
	s_add_u32 s36, s8, s30
	s_addc_u32 s37, s9, s31
	s_load_dword s35, s[36:37], 0x0
	s_waitcnt lgkmcnt(0)
	s_cmp_eq_u32 s35, -1
	s_cbranch_scc1 .LBB13_56
; %bb.8:                                ;   in Loop: Header=BB13_7 Depth=1
	s_add_u32 s36, s16, s30
	s_mul_i32 s38, s28, s33
	s_addc_u32 s37, s17, s31
	v_mov_b32_e32 v3, 0
	v_add_u32_e32 v20, s38, v18
	s_and_saveexec_b64 s[38:39], s[24:25]
	s_cbranch_execz .LBB13_10
; %bb.9:                                ;   in Loop: Header=BB13_7 Depth=1
	v_mad_u64_u32 v[3:4], s[44:45], v20, s33, v[2:3]
	v_mov_b32_e32 v5, s21
	v_ashrrev_i32_e32 v4, 31, v3
	v_lshlrev_b64 v[3:4], 2, v[3:4]
	v_add_co_u32_e32 v3, vcc, s20, v3
	v_addc_co_u32_e32 v4, vcc, v5, v4, vcc
	global_load_dword v3, v[3:4], off
.LBB13_10:                              ;   in Loop: Header=BB13_7 Depth=1
	s_or_b64 exec, exec, s[38:39]
	s_load_dword s36, s[36:37], 0x0
	ds_read_b32 v4, v19 offset:1664
	s_mov_b32 s37, 0
	s_waitcnt vmcnt(0)
	ds_write_b32 v11, v3
	s_waitcnt lgkmcnt(0)
	s_sub_i32 s36, s36, s13
	s_cmp_le_i32 s36, s35
	v_cmp_ge_i32_e32 vcc, s34, v4
	s_cselect_b64 s[38:39], -1, 0
	s_and_b64 s[38:39], s[38:39], vcc
	s_andn2_b64 vcc, exec, s[38:39]
	s_cbranch_vccnz .LBB13_22
; %bb.11:                               ;   in Loop: Header=BB13_7 Depth=1
	s_mov_b32 s44, 0
	s_mov_b32 s45, 0
.LBB13_12:                              ;   Parent Loop BB13_7 Depth=1
                                        ; =>  This Inner Loop Header: Depth=2
	s_ashr_i32 s37, s36, 31
	s_lshl_b64 s[38:39], s[36:37], 2
	s_add_u32 s38, s18, s38
	s_addc_u32 s39, s19, s39
	s_load_dword s37, s[38:39], 0x0
	s_lshl_b32 s38, s45, 2
	v_mov_b32_e32 v3, s38
	ds_read_b32 v3, v3 offset:1664
	s_mov_b64 s[38:39], -1
	s_waitcnt lgkmcnt(0)
	s_sub_i32 s49, s37, s13
                                        ; implicit-def: $sgpr37
                                        ; implicit-def: $sgpr48
                                        ; implicit-def: $sgpr47
	v_cmp_ge_i32_e32 vcc, s49, v3
	v_readfirstlane_b32 s46, v3
	s_cbranch_vccz .LBB13_18
; %bb.13:                               ;   in Loop: Header=BB13_12 Depth=2
	s_cmp_le_i32 s49, s46
                                        ; implicit-def: $sgpr37
                                        ; implicit-def: $sgpr48
                                        ; implicit-def: $sgpr47
	s_cbranch_scc0 .LBB13_15
; %bb.14:                               ;   in Loop: Header=BB13_12 Depth=2
	s_add_i32 s37, s45, s41
	s_mul_i32 s37, s37, s43
	s_lshl_b32 s38, s44, 2
	v_mov_b32_e32 v3, s38
	v_mov_b32_e32 v4, s37
	s_mul_i32 s37, s36, s43
	v_mov_b32_e32 v5, s37
	v_add_u32_e32 v3, 0x80, v3
	ds_write2st64_b32 v3, v5, v4 offset0:4 offset1:5
	s_add_i32 s47, s45, 1
	s_add_i32 s48, s36, 1
	;; [unrolled: 1-line block ×3, first 2 shown]
	s_mov_b64 s[38:39], 0
.LBB13_15:                              ;   in Loop: Header=BB13_12 Depth=2
	s_andn2_b64 vcc, exec, s[38:39]
	s_cbranch_vccnz .LBB13_17
; %bb.16:                               ;   in Loop: Header=BB13_12 Depth=2
	s_add_i32 s47, s45, 1
	s_mov_b32 s37, s44
	s_mov_b32 s48, s36
.LBB13_17:                              ;   in Loop: Header=BB13_12 Depth=2
	s_mov_b64 s[38:39], 0
.LBB13_18:                              ;   in Loop: Header=BB13_12 Depth=2
	s_andn2_b64 vcc, exec, s[38:39]
	s_cbranch_vccnz .LBB13_20
; %bb.19:                               ;   in Loop: Header=BB13_12 Depth=2
	s_add_i32 s48, s36, 1
	s_mov_b32 s47, s45
	s_mov_b32 s37, s44
.LBB13_20:                              ;   in Loop: Header=BB13_12 Depth=2
	s_cmp_le_i32 s48, s35
	s_cselect_b64 s[38:39], -1, 0
	s_cmp_le_i32 s46, s34
	s_cselect_b64 s[44:45], -1, 0
	s_and_b64 s[38:39], s[38:39], s[44:45]
	s_and_b64 vcc, exec, s[38:39]
	s_cbranch_vccz .LBB13_22
; %bb.21:                               ;   in Loop: Header=BB13_12 Depth=2
	s_mov_b32 s44, s37
	s_mov_b32 s36, s48
	;; [unrolled: 1-line block ×3, first 2 shown]
	s_branch .LBB13_12
.LBB13_22:                              ;   in Loop: Header=BB13_7 Depth=1
	s_add_u32 s30, s10, s30
	s_addc_u32 s31, s11, s31
	s_waitcnt lgkmcnt(0)
.LBB13_23:                              ;   Parent Loop BB13_7 Depth=1
                                        ; =>  This Inner Loop Header: Depth=2
	global_load_dword v3, v19, s[30:31] glc
	s_waitcnt vmcnt(0)
	v_cmp_eq_u32_e32 vcc, 0, v3
	s_cbranch_vccnz .LBB13_23
; %bb.24:                               ;   in Loop: Header=BB13_7 Depth=1
	v_mov_b32_e32 v4, 0
	v_mov_b32_e32 v3, 0
	buffer_wbinvl1_vol
	s_and_saveexec_b64 s[30:31], s[24:25]
	s_cbranch_execz .LBB13_26
; %bb.25:                               ;   in Loop: Header=BB13_7 Depth=1
	s_mul_i32 s35, s35, s33
	v_add_u32_e32 v3, s35, v18
	v_mad_u64_u32 v[5:6], s[34:35], v3, s33, v[2:3]
	v_mov_b32_e32 v3, s21
	v_ashrrev_i32_e32 v6, 31, v5
	v_lshlrev_b64 v[5:6], 2, v[5:6]
	v_add_co_u32_e32 v5, vcc, s20, v5
	v_addc_co_u32_e32 v6, vcc, v3, v6, vcc
	global_load_dword v3, v[5:6], off
.LBB13_26:                              ;   in Loop: Header=BB13_7 Depth=1
	s_or_b64 exec, exec, s[30:31]
	s_cmp_lt_i32 s37, 2
	s_waitcnt vmcnt(0)
	ds_write_b32 v12, v3
	s_waitcnt lgkmcnt(0)
	s_cbranch_scc1 .LBB13_45
; %bb.27:                               ;   in Loop: Header=BB13_7 Depth=1
	s_add_i32 s34, s37, -2
	s_mov_b32 s35, 0
	v_mov_b32_e32 v21, 0
	s_andn2_b64 vcc, exec, s[26:27]
	s_cbranch_vccz .LBB13_30
	s_branch .LBB13_29
.LBB13_28:                              ;   in Loop: Header=BB13_7 Depth=1
	v_mov_b32_e32 v21, v4
	s_mov_b32 s35, s30
	s_andn2_b64 vcc, exec, s[26:27]
	s_cbranch_vccz .LBB13_30
.LBB13_29:                              ;   in Loop: Header=BB13_7 Depth=1
	v_mov_b32_e32 v4, v21
	s_branch .LBB13_44
.LBB13_30:                              ;   in Loop: Header=BB13_7 Depth=1
	s_lshl_b32 s30, s35, 2
	v_mov_b32_e32 v3, s30
	v_add_u32_e32 v3, 0x80, v3
	ds_read2st64_b32 v[4:5], v3 offset0:4 offset1:5
	s_mov_b32 s36, 0
	s_waitcnt lgkmcnt(0)
	v_add_u32_e32 v22, v4, v13
	v_add_u32_e32 v23, v5, v14
	;; [unrolled: 1-line block ×4, first 2 shown]
	s_mov_b64 s[30:31], -1
	s_and_b64 vcc, exec, s[22:23]
                                        ; implicit-def: $vgpr4
	s_cbranch_vccz .LBB13_37
	s_branch .LBB13_32
.LBB13_31:                              ;   in Loop: Header=BB13_37 Depth=2
	v_mov_b32_e32 v21, v4
	s_mov_b64 s[30:31], -1
	s_and_b64 vcc, exec, s[22:23]
                                        ; implicit-def: $vgpr4
	s_cbranch_vccz .LBB13_37
.LBB13_32:                              ;   in Loop: Header=BB13_7 Depth=1
	v_mov_b32_e32 v4, 0
	v_mov_b32_e32 v6, 0
	s_and_saveexec_b64 s[30:31], s[0:1]
	s_cbranch_execz .LBB13_34
; %bb.33:                               ;   in Loop: Header=BB13_7 Depth=1
	v_ashrrev_i32_e32 v6, 31, v5
	v_lshlrev_b64 v[24:25], 2, v[5:6]
	v_mov_b32_e32 v6, s21
	v_add_co_u32_e32 v24, vcc, s20, v24
	v_addc_co_u32_e32 v25, vcc, v6, v25, vcc
	global_load_dword v6, v[24:25], off
.LBB13_34:                              ;   in Loop: Header=BB13_7 Depth=1
	s_or_b64 exec, exec, s[30:31]
	s_and_saveexec_b64 s[30:31], s[2:3]
	s_cbranch_execz .LBB13_36
; %bb.35:                               ;   in Loop: Header=BB13_7 Depth=1
	v_ashrrev_i32_e32 v4, 31, v3
	v_lshlrev_b64 v[24:25], 2, v[3:4]
	v_mov_b32_e32 v4, s21
	v_add_co_u32_e32 v24, vcc, s20, v24
	v_addc_co_u32_e32 v25, vcc, v4, v25, vcc
	global_load_dword v4, v[24:25], off
.LBB13_36:                              ;   in Loop: Header=BB13_7 Depth=1
	s_or_b64 exec, exec, s[30:31]
	s_waitcnt vmcnt(0)
	v_fma_f32 v4, v6, v4, v21
	s_mov_b64 s[30:31], 0
.LBB13_37:                              ;   Parent Loop BB13_7 Depth=1
                                        ; =>  This Inner Loop Header: Depth=2
	s_and_b64 vcc, exec, s[30:31]
	s_cbranch_vccz .LBB13_43
; %bb.38:                               ;   in Loop: Header=BB13_37 Depth=2
	v_mov_b32_e32 v4, 0
	v_mov_b32_e32 v6, 0
	s_and_saveexec_b64 s[30:31], s[0:1]
	s_cbranch_execz .LBB13_40
; %bb.39:                               ;   in Loop: Header=BB13_37 Depth=2
	v_add_u32_e32 v24, s36, v22
	v_ashrrev_i32_e32 v25, 31, v24
	v_lshlrev_b64 v[24:25], 2, v[24:25]
	v_mov_b32_e32 v6, s21
	v_add_co_u32_e32 v24, vcc, s20, v24
	v_addc_co_u32_e32 v25, vcc, v6, v25, vcc
	global_load_dword v6, v[24:25], off
.LBB13_40:                              ;   in Loop: Header=BB13_37 Depth=2
	s_or_b64 exec, exec, s[30:31]
	s_and_saveexec_b64 s[30:31], s[2:3]
	s_cbranch_execz .LBB13_42
; %bb.41:                               ;   in Loop: Header=BB13_37 Depth=2
	v_add_u32_e32 v24, s36, v23
	v_ashrrev_i32_e32 v25, 31, v24
	v_lshlrev_b64 v[24:25], 2, v[24:25]
	v_mov_b32_e32 v4, s21
	v_add_co_u32_e32 v24, vcc, s20, v24
	v_addc_co_u32_e32 v25, vcc, v4, v25, vcc
	global_load_dword v4, v[24:25], off
.LBB13_42:                              ;   in Loop: Header=BB13_37 Depth=2
	s_or_b64 exec, exec, s[30:31]
	s_waitcnt vmcnt(0)
	v_fmac_f32_e32 v21, v6, v4
	v_mov_b32_e32 v4, v21
.LBB13_43:                              ;   in Loop: Header=BB13_37 Depth=2
	s_add_i32 s36, s36, 1
	v_add_u32_e32 v3, s33, v3
	s_cmp_eq_u32 s33, s36
	v_add_u32_e32 v5, s33, v5
	s_cbranch_scc0 .LBB13_31
.LBB13_44:                              ;   in Loop: Header=BB13_7 Depth=1
	s_add_i32 s30, s35, 1
	s_cmp_eq_u32 s35, s34
	s_cbranch_scc0 .LBB13_28
.LBB13_45:                              ;   in Loop: Header=BB13_7 Depth=1
	s_andn2_b64 vcc, exec, s[26:27]
	ds_write_b32 v16, v4
	s_waitcnt lgkmcnt(0)
	s_cbranch_vccnz .LBB13_54
; %bb.46:                               ;   in Loop: Header=BB13_7 Depth=1
	s_mov_b32 s36, 0
	s_mov_b32 s37, 0
	s_branch .LBB13_48
.LBB13_47:                              ;   in Loop: Header=BB13_48 Depth=2
	s_waitcnt lgkmcnt(0)
	v_sub_f32_e32 v5, v5, v6
	v_div_scale_f32 v6, s[30:31], v4, v4, v5
	v_div_scale_f32 v21, vcc, v5, v4, v5
	s_add_i32 s36, s36, 36
	v_rcp_f32_e32 v22, v6
	v_fma_f32 v23, -v6, v22, 1.0
	v_fmac_f32_e32 v22, v23, v22
	v_mul_f32_e32 v23, v21, v22
	v_fma_f32 v24, -v6, v23, v21
	v_fmac_f32_e32 v23, v24, v22
	v_fma_f32 v6, -v6, v23, v21
	v_div_fmas_f32 v6, v6, v22, v23
	v_lshl_add_u32 v21, s37, 2, v17
	s_add_i32 s37, s37, 1
	s_cmp_eq_u32 s37, s33
	v_div_fixup_f32 v4, v6, v4, v5
	ds_write_b32 v3, v4
	s_waitcnt lgkmcnt(0)
	ds_read_b32 v3, v21
	ds_read_b32 v5, v7
	s_waitcnt lgkmcnt(0)
	v_fmac_f32_e32 v5, v4, v3
	ds_write_b32 v7, v5
	s_waitcnt lgkmcnt(0)
	s_cbranch_scc1 .LBB13_54
.LBB13_48:                              ;   Parent Loop BB13_7 Depth=1
                                        ; =>  This Loop Header: Depth=2
                                        ;       Child Loop BB13_53 Depth 3
	s_lshl_b32 s30, s37, 2
	s_mul_i32 s31, s37, 36
	s_add_i32 s31, s31, s30
	v_mov_b32_e32 v3, s31
	ds_read_b32 v4, v3
	v_add_u32_e32 v3, s30, v10
	ds_read_b32 v5, v3
	s_waitcnt lgkmcnt(1)
	v_cmp_neq_f32_e32 vcc, 0, v4
	v_cndmask_b32_e32 v4, 1.0, v4, vcc
	s_nor_b64 s[34:35], vcc, s[4:5]
	s_and_saveexec_b64 s[30:31], s[34:35]
	s_cbranch_execz .LBB13_52
; %bb.49:                               ;   in Loop: Header=BB13_48 Depth=2
	v_mbcnt_lo_u32_b32 v4, exec_lo, 0
	v_mbcnt_hi_u32_b32 v4, exec_hi, v4
	v_cmp_eq_u32_e32 vcc, 0, v4
	s_and_saveexec_b64 s[34:35], vcc
	s_cbranch_execz .LBB13_51
; %bb.50:                               ;   in Loop: Header=BB13_48 Depth=2
	v_mov_b32_e32 v4, s29
	global_atomic_smin v19, v4, s[14:15]
.LBB13_51:                              ;   in Loop: Header=BB13_48 Depth=2
	s_or_b64 exec, exec, s[34:35]
	v_mov_b32_e32 v4, 1.0
.LBB13_52:                              ;   in Loop: Header=BB13_48 Depth=2
	s_or_b64 exec, exec, s[30:31]
	v_lshl_add_u32 v6, s37, 2, v15
	ds_read_b32 v6, v6
	s_cmp_eq_u32 s37, 0
	v_mov_b32_e32 v21, v10
	s_mov_b32 s30, s36
	s_mov_b32 s31, s37
	s_cbranch_scc1 .LBB13_47
.LBB13_53:                              ;   Parent Loop BB13_7 Depth=1
                                        ;     Parent Loop BB13_48 Depth=2
                                        ; =>    This Inner Loop Header: Depth=3
	v_mov_b32_e32 v22, s30
	ds_read_b32 v23, v21
	ds_read_b32 v22, v22
	s_add_i32 s31, s31, -1
	s_add_i32 s30, s30, 4
	v_add_u32_e32 v21, 4, v21
	s_cmp_eq_u32 s31, 0
	s_waitcnt lgkmcnt(0)
	v_fmac_f32_e32 v6, v22, v23
	s_cbranch_scc0 .LBB13_53
	s_branch .LBB13_47
.LBB13_54:                              ;   in Loop: Header=BB13_7 Depth=1
	s_and_saveexec_b64 s[30:31], s[24:25]
	s_cbranch_execz .LBB13_6
; %bb.55:                               ;   in Loop: Header=BB13_7 Depth=1
	v_mad_u64_u32 v[3:4], s[34:35], v20, s33, v[2:3]
	ds_read_b32 v5, v11
	v_mov_b32_e32 v6, s21
	v_ashrrev_i32_e32 v4, 31, v3
	v_lshlrev_b64 v[3:4], 2, v[3:4]
	v_add_co_u32_e32 v3, vcc, s20, v3
	v_addc_co_u32_e32 v4, vcc, v6, v4, vcc
	s_waitcnt lgkmcnt(0)
	global_store_dword v[3:4], v5, off
	s_branch .LBB13_6
.LBB13_56:                              ;   in Loop: Header=BB13_7 Depth=1
                                        ; implicit-def: $sgpr28
	s_cbranch_execz .LBB13_7
.LBB13_57:
	s_cmp_eq_u32 s42, 0
	s_cselect_b64 vcc, -1, 0
	v_max_i32_e32 v2, v0, v1
	v_cndmask_b32_e32 v3, v0, v1, vcc
	s_mul_i32 s40, s40, s33
	v_cmp_gt_i32_e64 s[0:1], s33, v2
	v_cndmask_b32_e32 v2, v1, v0, vcc
	v_add_u32_e32 v3, s40, v3
	s_and_saveexec_b64 s[2:3], s[0:1]
	s_cbranch_execz .LBB13_59
; %bb.58:
	v_mad_u64_u32 v[4:5], s[4:5], v3, s33, v[2:3]
	v_mov_b32_e32 v6, s21
	v_ashrrev_i32_e32 v5, 31, v4
	v_lshlrev_b64 v[4:5], 2, v[4:5]
	v_add_co_u32_e32 v4, vcc, s20, v4
	v_addc_co_u32_e32 v5, vcc, v6, v5, vcc
	global_load_dword v9, v[4:5], off
.LBB13_59:
	s_or_b64 exec, exec, s[2:3]
	v_mov_b32_e32 v4, 0x240
	v_mad_u32_u24 v5, v1, 36, v4
	v_lshl_add_u32 v4, v0, 2, v5
	s_cmp_lt_i32 s33, 1
	s_waitcnt vmcnt(0)
	ds_write_b32 v4, v9
	s_waitcnt lgkmcnt(0)
	s_cbranch_scc1 .LBB13_92
; %bb.60:
	v_or_b32_e32 v6, v0, v1
	s_add_i32 s16, s12, s13
	v_lshlrev_b32_e32 v9, 2, v1
	s_mov_b32 s17, 0
	v_cmp_ne_u32_e64 s[2:3], 0, v6
	v_add_u32_e32 v6, v5, v9
	s_cmp_eq_u32 s33, 1
	v_add_u32_e32 v9, v8, v9
	s_cbranch_scc1 .LBB13_82
; %bb.61:
	v_mov_b32_e32 v10, 0x240
	s_and_b32 s17, s33, 0x7ffffffe
	s_movk_i32 s18, 0x240
	v_mad_u32_u24 v10, v0, 36, v10
	s_mov_b32 s4, 0
	s_mov_b32 s19, 0xf800000
	v_mov_b32_e32 v11, 0x260
	v_mov_b32_e32 v12, 0
	;; [unrolled: 1-line block ×3, first 2 shown]
	s_branch .LBB13_63
.LBB13_62:                              ;   in Loop: Header=BB13_63 Depth=1
	s_or_b64 exec, exec, s[4:5]
	s_addk_i32 s18, 0x50
	s_add_i32 s4, s23, 1
	v_add_u32_e32 v10, 8, v10
	s_cmp_eq_u32 s4, s17
	v_add_u32_e32 v13, 8, v13
	s_waitcnt lgkmcnt(0)
	s_cbranch_scc1 .LBB13_81
.LBB13_63:                              ; =>This Inner Loop Header: Depth=1
	s_mov_b32 s22, s4
	v_cmp_eq_u32_e32 vcc, s22, v1
	s_and_saveexec_b64 s[8:9], vcc
	s_cbranch_execz .LBB13_65
; %bb.64:                               ;   in Loop: Header=BB13_63 Depth=1
	ds_read_b32 v14, v6
	ds_read_b32 v15, v9
	s_waitcnt lgkmcnt(0)
	v_sub_f32_e32 v14, v14, v15
	v_cmp_gt_f32_e32 vcc, 0, v14
	v_cndmask_b32_e64 v14, v14, -v14, vcc
	v_mul_f32_e32 v15, 0x4f800000, v14
	v_cmp_gt_f32_e32 vcc, s19, v14
	v_cndmask_b32_e32 v14, v14, v15, vcc
	v_sqrt_f32_e32 v15, v14
	v_add_u32_e32 v16, -1, v15
	v_add_u32_e32 v17, 1, v15
	v_fma_f32 v18, -v16, v15, v14
	v_fma_f32 v19, -v17, v15, v14
	v_cmp_ge_f32_e64 s[4:5], 0, v18
	v_cndmask_b32_e64 v15, v15, v16, s[4:5]
	v_cmp_lt_f32_e64 s[4:5], 0, v19
	v_cndmask_b32_e64 v15, v15, v17, s[4:5]
	v_mul_f32_e32 v16, 0x37800000, v15
	v_cndmask_b32_e32 v15, v15, v16, vcc
	v_cmp_class_f32_e32 vcc, v14, v11
	v_cndmask_b32_e32 v14, v15, v14, vcc
	ds_write_b32 v6, v14
.LBB13_65:                              ;   in Loop: Header=BB13_63 Depth=1
	s_or_b64 exec, exec, s[8:9]
	v_mov_b32_e32 v14, s18
	s_waitcnt lgkmcnt(0)
	ds_read_b32 v14, v14
	s_waitcnt lgkmcnt(0)
	v_cmp_neq_f32_e32 vcc, 0, v14
	v_cndmask_b32_e32 v14, 1.0, v14, vcc
	s_nor_b64 s[8:9], vcc, s[2:3]
	s_and_saveexec_b64 s[4:5], s[8:9]
	s_cbranch_execz .LBB13_69
; %bb.66:                               ;   in Loop: Header=BB13_63 Depth=1
	v_mbcnt_lo_u32_b32 v14, exec_lo, 0
	v_mbcnt_hi_u32_b32 v14, exec_hi, v14
	v_cmp_eq_u32_e32 vcc, 0, v14
	s_and_saveexec_b64 s[8:9], vcc
	s_cbranch_execz .LBB13_68
; %bb.67:                               ;   in Loop: Header=BB13_63 Depth=1
	v_mov_b32_e32 v14, s16
	global_atomic_smin v12, v14, s[14:15]
.LBB13_68:                              ;   in Loop: Header=BB13_63 Depth=1
	s_or_b64 exec, exec, s[8:9]
	v_mov_b32_e32 v14, 1.0
.LBB13_69:                              ;   in Loop: Header=BB13_63 Depth=1
	s_or_b64 exec, exec, s[4:5]
	v_cmp_lt_u32_e32 vcc, s22, v1
	s_and_saveexec_b64 s[4:5], vcc
	s_cbranch_execz .LBB13_71
; %bb.70:                               ;   in Loop: Header=BB13_63 Depth=1
	ds_read2_b32 v[15:16], v13 offset1:72
	s_waitcnt lgkmcnt(0)
	v_sub_f32_e32 v15, v15, v16
	v_div_scale_f32 v16, s[8:9], v14, v14, v15
	v_div_scale_f32 v17, vcc, v15, v14, v15
	v_rcp_f32_e32 v18, v16
	v_fma_f32 v19, -v16, v18, 1.0
	v_fmac_f32_e32 v18, v19, v18
	v_mul_f32_e32 v19, v17, v18
	v_fma_f32 v20, -v16, v19, v17
	v_fmac_f32_e32 v19, v20, v18
	v_fma_f32 v16, -v16, v19, v17
	v_div_fmas_f32 v16, v16, v18, v19
	v_div_fixup_f32 v14, v16, v14, v15
	ds_write_b32 v13, v14
	s_waitcnt lgkmcnt(0)
	ds_read_b32 v15, v10
	ds_read_b32 v16, v7
	s_waitcnt lgkmcnt(0)
	v_fmac_f32_e32 v16, v14, v15
	ds_write_b32 v7, v16
.LBB13_71:                              ;   in Loop: Header=BB13_63 Depth=1
	s_or_b64 exec, exec, s[4:5]
	s_add_i32 s23, s22, 1
	v_cmp_eq_u32_e32 vcc, s23, v1
	s_waitcnt lgkmcnt(0)
	s_and_saveexec_b64 s[8:9], vcc
	s_cbranch_execz .LBB13_73
; %bb.72:                               ;   in Loop: Header=BB13_63 Depth=1
	ds_read_b32 v14, v6
	ds_read_b32 v15, v9
	s_waitcnt lgkmcnt(0)
	v_sub_f32_e32 v14, v14, v15
	v_cmp_gt_f32_e32 vcc, 0, v14
	v_cndmask_b32_e64 v14, v14, -v14, vcc
	v_mul_f32_e32 v15, 0x4f800000, v14
	v_cmp_gt_f32_e32 vcc, s19, v14
	v_cndmask_b32_e32 v14, v14, v15, vcc
	v_sqrt_f32_e32 v15, v14
	v_add_u32_e32 v16, -1, v15
	v_add_u32_e32 v17, 1, v15
	v_fma_f32 v18, -v16, v15, v14
	v_fma_f32 v19, -v17, v15, v14
	v_cmp_ge_f32_e64 s[4:5], 0, v18
	v_cndmask_b32_e64 v15, v15, v16, s[4:5]
	v_cmp_lt_f32_e64 s[4:5], 0, v19
	v_cndmask_b32_e64 v15, v15, v17, s[4:5]
	v_mul_f32_e32 v16, 0x37800000, v15
	v_cndmask_b32_e32 v15, v15, v16, vcc
	v_cmp_class_f32_e32 vcc, v14, v11
	v_cndmask_b32_e32 v14, v15, v14, vcc
	ds_write_b32 v6, v14
.LBB13_73:                              ;   in Loop: Header=BB13_63 Depth=1
	s_or_b64 exec, exec, s[8:9]
	v_mov_b32_e32 v14, s18
	s_waitcnt lgkmcnt(0)
	ds_read_b32 v14, v14 offset:40
	s_waitcnt lgkmcnt(0)
	v_cmp_neq_f32_e32 vcc, 0, v14
	v_cndmask_b32_e32 v14, 1.0, v14, vcc
	s_nor_b64 s[8:9], vcc, s[2:3]
	s_and_saveexec_b64 s[4:5], s[8:9]
	s_cbranch_execz .LBB13_77
; %bb.74:                               ;   in Loop: Header=BB13_63 Depth=1
	v_mbcnt_lo_u32_b32 v14, exec_lo, 0
	v_mbcnt_hi_u32_b32 v14, exec_hi, v14
	v_cmp_eq_u32_e32 vcc, 0, v14
	s_and_saveexec_b64 s[8:9], vcc
	s_cbranch_execz .LBB13_76
; %bb.75:                               ;   in Loop: Header=BB13_63 Depth=1
	v_mov_b32_e32 v14, s16
	global_atomic_smin v12, v14, s[14:15]
.LBB13_76:                              ;   in Loop: Header=BB13_63 Depth=1
	s_or_b64 exec, exec, s[8:9]
	v_mov_b32_e32 v14, 1.0
.LBB13_77:                              ;   in Loop: Header=BB13_63 Depth=1
	s_or_b64 exec, exec, s[4:5]
	v_cmp_lt_u32_e32 vcc, s23, v1
	s_and_saveexec_b64 s[4:5], vcc
	s_cbranch_execz .LBB13_62
; %bb.78:                               ;   in Loop: Header=BB13_63 Depth=1
	ds_read2_b32 v[15:16], v13 offset0:1 offset1:73
	s_waitcnt lgkmcnt(0)
	v_sub_f32_e32 v15, v15, v16
	v_div_scale_f32 v16, s[8:9], v14, v14, v15
	v_div_scale_f32 v17, vcc, v15, v14, v15
	v_rcp_f32_e32 v18, v16
	v_fma_f32 v19, -v16, v18, 1.0
	v_fmac_f32_e32 v18, v19, v18
	v_mul_f32_e32 v19, v17, v18
	v_fma_f32 v20, -v16, v19, v17
	v_fmac_f32_e32 v19, v20, v18
	v_fma_f32 v16, -v16, v19, v17
	v_div_fmas_f32 v16, v16, v18, v19
	v_div_fixup_f32 v14, v16, v14, v15
	ds_write_b32 v13, v14 offset:4
	s_waitcnt lgkmcnt(0)
	ds_read_b32 v15, v10 offset:4
	ds_read_b32 v16, v7
	s_waitcnt lgkmcnt(0)
	v_fmac_f32_e32 v16, v14, v15
	ds_write_b32 v7, v16
	s_branch .LBB13_62
.LBB13_79:
	s_cbranch_execnz .LBB13_97
.LBB13_80:
	s_endpgm
.LBB13_81:
	s_add_i32 s17, s22, 2
.LBB13_82:
	s_bitcmp0_b32 s33, 0
	s_cbranch_scc1 .LBB13_92
; %bb.83:
	v_cmp_eq_u32_e32 vcc, s17, v1
	s_and_saveexec_b64 s[8:9], vcc
	s_cbranch_execz .LBB13_85
; %bb.84:
	ds_read_b32 v10, v6
	ds_read_b32 v9, v9
	s_mov_b32 s4, 0xf800000
	s_waitcnt lgkmcnt(0)
	v_sub_f32_e32 v9, v10, v9
	v_cmp_gt_f32_e32 vcc, 0, v9
	v_cndmask_b32_e64 v9, v9, -v9, vcc
	v_mul_f32_e32 v10, 0x4f800000, v9
	v_cmp_gt_f32_e32 vcc, s4, v9
	v_cndmask_b32_e32 v9, v9, v10, vcc
	v_sqrt_f32_e32 v10, v9
	v_add_u32_e32 v11, -1, v10
	v_add_u32_e32 v12, 1, v10
	v_fma_f32 v13, -v11, v10, v9
	v_fma_f32 v14, -v12, v10, v9
	v_cmp_ge_f32_e64 s[4:5], 0, v13
	v_cndmask_b32_e64 v10, v10, v11, s[4:5]
	v_cmp_lt_f32_e64 s[4:5], 0, v14
	v_cndmask_b32_e64 v10, v10, v12, s[4:5]
	v_mul_f32_e32 v11, 0x37800000, v10
	v_cndmask_b32_e32 v10, v10, v11, vcc
	v_mov_b32_e32 v11, 0x260
	v_cmp_class_f32_e32 vcc, v9, v11
	v_cndmask_b32_e32 v9, v10, v9, vcc
	ds_write_b32 v6, v9
.LBB13_85:
	s_or_b64 exec, exec, s[8:9]
	s_mul_i32 s4, s17, 36
	s_lshl_b32 s8, s17, 2
	s_add_i32 s4, s4, s8
	v_mov_b32_e32 v6, s4
	s_waitcnt lgkmcnt(0)
	ds_read_b32 v6, v6 offset:576
	s_waitcnt lgkmcnt(0)
	v_cmp_neq_f32_e32 vcc, 0, v6
	v_cndmask_b32_e32 v6, 1.0, v6, vcc
	s_nor_b64 s[4:5], vcc, s[2:3]
	s_and_saveexec_b64 s[2:3], s[4:5]
	s_cbranch_execz .LBB13_89
; %bb.86:
	v_mbcnt_lo_u32_b32 v6, exec_lo, 0
	v_mbcnt_hi_u32_b32 v6, exec_hi, v6
	v_cmp_eq_u32_e32 vcc, 0, v6
	s_and_saveexec_b64 s[4:5], vcc
	s_cbranch_execz .LBB13_88
; %bb.87:
	v_mov_b32_e32 v6, 0
	v_mov_b32_e32 v9, s16
	global_atomic_smin v6, v9, s[14:15]
.LBB13_88:
	s_or_b64 exec, exec, s[4:5]
	v_mov_b32_e32 v6, 1.0
.LBB13_89:
	s_or_b64 exec, exec, s[2:3]
	v_cmp_lt_u32_e32 vcc, s17, v1
	s_and_saveexec_b64 s[2:3], vcc
	s_cbranch_execz .LBB13_91
; %bb.90:
	v_add_u32_e32 v5, s8, v5
	v_add_u32_e32 v8, s8, v8
	ds_read_b32 v9, v5
	ds_read_b32 v8, v8
	s_waitcnt lgkmcnt(0)
	v_sub_f32_e32 v8, v9, v8
	v_div_scale_f32 v9, s[4:5], v6, v6, v8
	v_div_scale_f32 v10, vcc, v8, v6, v8
	v_rcp_f32_e32 v11, v9
	v_fma_f32 v12, -v9, v11, 1.0
	v_fmac_f32_e32 v11, v12, v11
	v_mul_f32_e32 v12, v10, v11
	v_fma_f32 v13, -v9, v12, v10
	v_fmac_f32_e32 v12, v13, v11
	v_fma_f32 v9, -v9, v12, v10
	v_div_fmas_f32 v9, v9, v11, v12
	v_mad_u32_u24 v10, v0, 36, s8
	v_div_fixup_f32 v6, v9, v6, v8
	ds_write_b32 v5, v6
	s_waitcnt lgkmcnt(0)
	ds_read_b32 v5, v10 offset:576
	ds_read_b32 v8, v7
	s_waitcnt lgkmcnt(0)
	v_fmac_f32_e32 v8, v6, v5
	ds_write_b32 v7, v8
.LBB13_91:
	s_or_b64 exec, exec, s[2:3]
	s_waitcnt lgkmcnt(0)
.LBB13_92:
	s_and_saveexec_b64 s[2:3], s[0:1]
	s_cbranch_execz .LBB13_94
; %bb.93:
	v_mad_u64_u32 v[2:3], s[0:1], v3, s33, v[2:3]
	ds_read_b32 v4, v4
	v_mov_b32_e32 v5, s21
	v_ashrrev_i32_e32 v3, 31, v2
	v_lshlrev_b64 v[2:3], 2, v[2:3]
	v_add_co_u32_e32 v2, vcc, s20, v2
	v_addc_co_u32_e32 v3, vcc, v5, v3, vcc
	s_waitcnt lgkmcnt(0)
	global_store_dword v[2:3], v4, off
.LBB13_94:
	s_or_b64 exec, exec, s[2:3]
	v_or_b32_e32 v2, v0, v1
	v_cmp_eq_u32_e32 vcc, 0, v2
	s_and_saveexec_b64 s[0:1], vcc
	s_cbranch_execz .LBB13_96
; %bb.95:
	s_add_u32 s2, s10, s6
	s_addc_u32 s3, s11, s7
	v_mov_b32_e32 v2, 0
	v_mov_b32_e32 v3, 1
	s_waitcnt vmcnt(0)
	global_store_dword v2, v3, s[2:3]
.LBB13_96:
	s_or_b64 exec, exec, s[0:1]
	s_branch .LBB13_80
.LBB13_97:
	v_or_b32_e32 v0, v0, v1
	v_cmp_eq_u32_e32 vcc, 0, v0
	s_and_saveexec_b64 s[0:1], vcc
	s_cbranch_execz .LBB13_80
; %bb.98:
	v_mbcnt_lo_u32_b32 v0, exec_lo, 0
	v_mbcnt_hi_u32_b32 v0, exec_hi, v0
	v_cmp_eq_u32_e32 vcc, 0, v0
	s_and_saveexec_b64 s[0:1], vcc
	s_cbranch_execz .LBB13_100
; %bb.99:
	s_add_i32 s2, s12, s13
	v_mov_b32_e32 v0, 0
	v_mov_b32_e32 v1, s2
	global_atomic_smin v0, v1, s[14:15]
.LBB13_100:
	s_or_b64 exec, exec, s[0:1]
	s_add_u32 s0, s10, s6
	s_addc_u32 s1, s11, s7
	v_mov_b32_e32 v0, 0
	v_mov_b32_e32 v1, 1
	s_waitcnt vmcnt(0)
	global_store_dword v0, v1, s[0:1]
	s_endpgm
	.section	.rodata,"a",@progbits
	.p2align	6, 0x0
	.amdhsa_kernel _ZN9rocsparseL17bsric0_2_8_kernelILi64ELi64ELi8EfEEv20rocsparse_direction_iiPKiS3_PT2_S3_PiS3_S6_21rocsparse_index_base_
		.amdhsa_group_segment_fixed_size 1920
		.amdhsa_private_segment_fixed_size 0
		.amdhsa_kernarg_size 76
		.amdhsa_user_sgpr_count 6
		.amdhsa_user_sgpr_private_segment_buffer 1
		.amdhsa_user_sgpr_dispatch_ptr 0
		.amdhsa_user_sgpr_queue_ptr 0
		.amdhsa_user_sgpr_kernarg_segment_ptr 1
		.amdhsa_user_sgpr_dispatch_id 0
		.amdhsa_user_sgpr_flat_scratch_init 0
		.amdhsa_user_sgpr_private_segment_size 0
		.amdhsa_uses_dynamic_stack 0
		.amdhsa_system_sgpr_private_segment_wavefront_offset 0
		.amdhsa_system_sgpr_workgroup_id_x 1
		.amdhsa_system_sgpr_workgroup_id_y 0
		.amdhsa_system_sgpr_workgroup_id_z 0
		.amdhsa_system_sgpr_workgroup_info 0
		.amdhsa_system_vgpr_workitem_id 1
		.amdhsa_next_free_vgpr 26
		.amdhsa_next_free_sgpr 61
		.amdhsa_reserve_vcc 1
		.amdhsa_reserve_flat_scratch 0
		.amdhsa_float_round_mode_32 0
		.amdhsa_float_round_mode_16_64 0
		.amdhsa_float_denorm_mode_32 3
		.amdhsa_float_denorm_mode_16_64 3
		.amdhsa_dx10_clamp 1
		.amdhsa_ieee_mode 1
		.amdhsa_fp16_overflow 0
		.amdhsa_exception_fp_ieee_invalid_op 0
		.amdhsa_exception_fp_denorm_src 0
		.amdhsa_exception_fp_ieee_div_zero 0
		.amdhsa_exception_fp_ieee_overflow 0
		.amdhsa_exception_fp_ieee_underflow 0
		.amdhsa_exception_fp_ieee_inexact 0
		.amdhsa_exception_int_div_zero 0
	.end_amdhsa_kernel
	.section	.text._ZN9rocsparseL17bsric0_2_8_kernelILi64ELi64ELi8EfEEv20rocsparse_direction_iiPKiS3_PT2_S3_PiS3_S6_21rocsparse_index_base_,"axG",@progbits,_ZN9rocsparseL17bsric0_2_8_kernelILi64ELi64ELi8EfEEv20rocsparse_direction_iiPKiS3_PT2_S3_PiS3_S6_21rocsparse_index_base_,comdat
.Lfunc_end13:
	.size	_ZN9rocsparseL17bsric0_2_8_kernelILi64ELi64ELi8EfEEv20rocsparse_direction_iiPKiS3_PT2_S3_PiS3_S6_21rocsparse_index_base_, .Lfunc_end13-_ZN9rocsparseL17bsric0_2_8_kernelILi64ELi64ELi8EfEEv20rocsparse_direction_iiPKiS3_PT2_S3_PiS3_S6_21rocsparse_index_base_
                                        ; -- End function
	.set _ZN9rocsparseL17bsric0_2_8_kernelILi64ELi64ELi8EfEEv20rocsparse_direction_iiPKiS3_PT2_S3_PiS3_S6_21rocsparse_index_base_.num_vgpr, 26
	.set _ZN9rocsparseL17bsric0_2_8_kernelILi64ELi64ELi8EfEEv20rocsparse_direction_iiPKiS3_PT2_S3_PiS3_S6_21rocsparse_index_base_.num_agpr, 0
	.set _ZN9rocsparseL17bsric0_2_8_kernelILi64ELi64ELi8EfEEv20rocsparse_direction_iiPKiS3_PT2_S3_PiS3_S6_21rocsparse_index_base_.numbered_sgpr, 50
	.set _ZN9rocsparseL17bsric0_2_8_kernelILi64ELi64ELi8EfEEv20rocsparse_direction_iiPKiS3_PT2_S3_PiS3_S6_21rocsparse_index_base_.num_named_barrier, 0
	.set _ZN9rocsparseL17bsric0_2_8_kernelILi64ELi64ELi8EfEEv20rocsparse_direction_iiPKiS3_PT2_S3_PiS3_S6_21rocsparse_index_base_.private_seg_size, 0
	.set _ZN9rocsparseL17bsric0_2_8_kernelILi64ELi64ELi8EfEEv20rocsparse_direction_iiPKiS3_PT2_S3_PiS3_S6_21rocsparse_index_base_.uses_vcc, 1
	.set _ZN9rocsparseL17bsric0_2_8_kernelILi64ELi64ELi8EfEEv20rocsparse_direction_iiPKiS3_PT2_S3_PiS3_S6_21rocsparse_index_base_.uses_flat_scratch, 0
	.set _ZN9rocsparseL17bsric0_2_8_kernelILi64ELi64ELi8EfEEv20rocsparse_direction_iiPKiS3_PT2_S3_PiS3_S6_21rocsparse_index_base_.has_dyn_sized_stack, 0
	.set _ZN9rocsparseL17bsric0_2_8_kernelILi64ELi64ELi8EfEEv20rocsparse_direction_iiPKiS3_PT2_S3_PiS3_S6_21rocsparse_index_base_.has_recursion, 0
	.set _ZN9rocsparseL17bsric0_2_8_kernelILi64ELi64ELi8EfEEv20rocsparse_direction_iiPKiS3_PT2_S3_PiS3_S6_21rocsparse_index_base_.has_indirect_call, 0
	.section	.AMDGPU.csdata,"",@progbits
; Kernel info:
; codeLenInByte = 3696
; TotalNumSgprs: 54
; NumVgprs: 26
; ScratchSize: 0
; MemoryBound: 0
; FloatMode: 240
; IeeeMode: 1
; LDSByteSize: 1920 bytes/workgroup (compile time only)
; SGPRBlocks: 8
; VGPRBlocks: 6
; NumSGPRsForWavesPerEU: 65
; NumVGPRsForWavesPerEU: 26
; Occupancy: 9
; WaveLimiterHint : 1
; COMPUTE_PGM_RSRC2:SCRATCH_EN: 0
; COMPUTE_PGM_RSRC2:USER_SGPR: 6
; COMPUTE_PGM_RSRC2:TRAP_HANDLER: 0
; COMPUTE_PGM_RSRC2:TGID_X_EN: 1
; COMPUTE_PGM_RSRC2:TGID_Y_EN: 0
; COMPUTE_PGM_RSRC2:TGID_Z_EN: 0
; COMPUTE_PGM_RSRC2:TIDIG_COMP_CNT: 1
	.section	.text._ZN9rocsparseL18bsric0_9_16_kernelILi64ELi64ELi16EfEEv20rocsparse_direction_iiPKiS3_PT2_S3_PiS3_S6_21rocsparse_index_base_,"axG",@progbits,_ZN9rocsparseL18bsric0_9_16_kernelILi64ELi64ELi16EfEEv20rocsparse_direction_iiPKiS3_PT2_S3_PiS3_S6_21rocsparse_index_base_,comdat
	.globl	_ZN9rocsparseL18bsric0_9_16_kernelILi64ELi64ELi16EfEEv20rocsparse_direction_iiPKiS3_PT2_S3_PiS3_S6_21rocsparse_index_base_ ; -- Begin function _ZN9rocsparseL18bsric0_9_16_kernelILi64ELi64ELi16EfEEv20rocsparse_direction_iiPKiS3_PT2_S3_PiS3_S6_21rocsparse_index_base_
	.p2align	8
	.type	_ZN9rocsparseL18bsric0_9_16_kernelILi64ELi64ELi16EfEEv20rocsparse_direction_iiPKiS3_PT2_S3_PiS3_S6_21rocsparse_index_base_,@function
_ZN9rocsparseL18bsric0_9_16_kernelILi64ELi64ELi16EfEEv20rocsparse_direction_iiPKiS3_PT2_S3_PiS3_S6_21rocsparse_index_base_: ; @_ZN9rocsparseL18bsric0_9_16_kernelILi64ELi64ELi16EfEEv20rocsparse_direction_iiPKiS3_PT2_S3_PiS3_S6_21rocsparse_index_base_
; %bb.0:
	s_load_dwordx8 s[8:15], s[4:5], 0x28
	s_mov_b32 s7, 0
	s_lshl_b64 s[0:1], s[6:7], 2
	s_waitcnt lgkmcnt(0)
	s_add_u32 s0, s12, s0
	s_addc_u32 s1, s13, s1
	s_load_dword s12, s[0:1], 0x0
	s_waitcnt lgkmcnt(0)
	s_ashr_i32 s13, s12, 31
	s_lshl_b64 s[6:7], s[12:13], 2
	s_add_u32 s0, s8, s6
	s_addc_u32 s1, s9, s7
	s_load_dword s33, s[0:1], 0x0
	s_load_dword s13, s[4:5], 0x48
	s_waitcnt lgkmcnt(0)
	s_cmp_lg_u32 s33, -1
	s_cbranch_scc0 .LBB14_128
; %bb.1:
	s_load_dwordx4 s[16:19], s[4:5], 0x10
	s_load_dwordx2 s[20:21], s[4:5], 0x20
	v_lshlrev_b32_e32 v7, 2, v1
	v_lshlrev_b32_e32 v6, 2, v0
	s_waitcnt lgkmcnt(0)
	s_add_u32 s0, s16, s6
	s_addc_u32 s1, s17, s7
	s_load_dword s0, s[0:1], 0x0
	s_waitcnt lgkmcnt(0)
	s_sub_i32 s46, s0, s13
	v_add3_u32 v2, v7, v0, s46
	v_cmp_ge_i32_e32 vcc, s33, v2
	s_and_saveexec_b64 s[0:1], vcc
	s_cbranch_execz .LBB14_4
; %bb.2:
	v_lshlrev_b32_e32 v3, 4, v1
	s_movk_i32 s2, 0x1300
	v_add3_u32 v4, v3, v6, s2
	s_mov_b64 s[2:3], 0
	v_mov_b32_e32 v5, s19
.LBB14_3:                               ; =>This Inner Loop Header: Depth=1
	v_ashrrev_i32_e32 v3, 31, v2
	v_lshlrev_b64 v[8:9], 2, v[2:3]
	v_add_u32_e32 v2, 64, v2
	v_add_co_u32_e32 v8, vcc, s18, v8
	v_addc_co_u32_e32 v9, vcc, v5, v9, vcc
	global_load_dword v3, v[8:9], off
	v_cmp_lt_i32_e32 vcc, s33, v2
	s_or_b64 s[2:3], vcc, s[2:3]
	s_waitcnt vmcnt(0)
	v_subrev_u32_e32 v3, s13, v3
	ds_write_b32 v4, v3
	v_add_u32_e32 v4, 0x100, v4
	s_andn2_b64 exec, exec, s[2:3]
	s_cbranch_execnz .LBB14_3
.LBB14_4:
	s_or_b64 exec, exec, s[0:1]
	v_cmp_gt_u32_e32 vcc, 16, v0
	s_and_saveexec_b64 s[0:1], vcc
	s_cbranch_execz .LBB14_7
; %bb.5:
	v_mul_u32_u24_e32 v3, 0x44, v1
	s_movk_i32 s2, 0xcc0
	v_add_u32_e32 v2, -4, v0
	v_add3_u32 v3, v3, v6, s2
	s_mov_b64 s[2:3], 0
	v_mov_b32_e32 v4, 0
.LBB14_6:                               ; =>This Inner Loop Header: Depth=1
	v_add_u32_e32 v2, 4, v2
	v_cmp_lt_u32_e32 vcc, 11, v2
	ds_write_b32 v3, v4
	s_or_b64 s[2:3], vcc, s[2:3]
	v_add_u32_e32 v3, 16, v3
	s_andn2_b64 exec, exec, s[2:3]
	s_cbranch_execnz .LBB14_6
.LBB14_7:
	s_or_b64 exec, exec, s[0:1]
	s_load_dword s44, s[4:5], 0x8
	s_load_dword s45, s[4:5], 0x0
	s_cmp_ge_i32 s46, s33
	s_waitcnt lgkmcnt(0)
	v_cmp_gt_i32_e64 s[0:1], s44, v0
	s_cbranch_scc1 .LBB14_89
; %bb.8:
	s_movk_i32 s26, 0x44
	v_mov_b32_e32 v3, 0x440
	v_mad_u32_u24 v9, v1, s26, v3
	v_or_b32_e32 v3, v0, v1
	s_mul_i32 s27, s44, s46
	v_cmp_ne_u32_e64 s[4:5], 0, v3
	v_add_u32_e32 v3, s27, v1
	v_mul_lo_u32 v10, s44, v1
	v_mul_lo_u32 v14, s44, v3
	;; [unrolled: 1-line block ×3, first 2 shown]
	s_cmp_lg_u32 s45, 0
	s_cselect_b64 s[22:23], -1, 0
	v_mov_b32_e32 v2, 0x880
	s_cmp_gt_i32 s44, 0
	v_mad_u32_u24 v11, v1, s26, v6
	v_cmp_gt_i32_e64 s[2:3], s44, v1
	v_mad_u32_u24 v8, v1, s26, v2
	s_mul_i32 s47, s44, s44
	s_cselect_b64 s[24:25], -1, 0
	v_add_u32_e32 v12, 0x440, v11
	s_lshl_b32 s48, s44, 2
	v_add_u32_e32 v15, 0xcc0, v11
	v_mad_u32_u24 v16, v0, s26, v2
	v_add_u32_e32 v17, 0x880, v11
	v_mov_b32_e32 v18, 0
	s_mov_b32 s26, s46
	s_branch .LBB14_10
.LBB14_9:                               ;   in Loop: Header=BB14_10 Depth=1
	s_or_b64 exec, exec, s[28:29]
	s_add_i32 s26, s26, 1
	s_cmp_ge_i32 s26, s33
	s_waitcnt vmcnt(0)
	buffer_wbinvl1_vol
	v_add_u32_e32 v14, s47, v14
	s_cselect_b64 s[28:29], -1, 0
	s_and_b64 vcc, exec, s[28:29]
	s_cbranch_vccnz .LBB14_89
.LBB14_10:                              ; =>This Loop Header: Depth=1
                                        ;     Child Loop BB14_14 Depth 2
                                        ;     Child Loop BB14_26 Depth 2
	;; [unrolled: 1-line block ×5, first 2 shown]
                                        ;       Child Loop BB14_56 Depth 3
                                        ;     Child Loop BB14_70 Depth 2
                                        ;       Child Loop BB14_75 Depth 3
                                        ;       Child Loop BB14_78 Depth 3
                                        ;     Child Loop BB14_84 Depth 2
	s_ashr_i32 s27, s26, 31
	s_lshl_b64 s[28:29], s[26:27], 2
	s_add_u32 s28, s18, s28
	s_addc_u32 s29, s19, s29
	s_load_dword s49, s[28:29], 0x0
	s_waitcnt lgkmcnt(0)
	s_sub_i32 s30, s49, s13
	s_ashr_i32 s31, s30, 31
	s_lshl_b64 s[28:29], s[30:31], 2
	s_add_u32 s34, s8, s28
	s_addc_u32 s35, s9, s29
	s_load_dword s31, s[34:35], 0x0
	s_waitcnt lgkmcnt(0)
	s_cmp_eq_u32 s31, -1
	s_cbranch_scc1 .LBB14_88
; %bb.11:                               ;   in Loop: Header=BB14_10 Depth=1
	s_add_u32 s34, s16, s28
	s_addc_u32 s35, s17, s29
	s_load_dword s50, s[34:35], 0x0
	s_mul_i32 s27, s26, s44
	s_and_saveexec_b64 s[34:35], s[0:1]
	s_cbranch_execz .LBB14_24
; %bb.12:                               ;   in Loop: Header=BB14_10 Depth=1
	s_mov_b64 s[36:37], 0
	v_mov_b32_e32 v4, v12
	v_mov_b32_e32 v5, v0
	s_branch .LBB14_14
.LBB14_13:                              ;   in Loop: Header=BB14_14 Depth=2
	s_or_b64 exec, exec, s[40:41]
	v_add_u32_e32 v5, 4, v5
	v_cmp_le_i32_e32 vcc, s44, v5
	s_waitcnt vmcnt(0)
	ds_write_b32 v4, v3 offset:1088
	ds_write_b32 v4, v18
	s_or_b64 s[36:37], vcc, s[36:37]
	v_add_u32_e32 v4, 16, v4
	s_andn2_b64 exec, exec, s[36:37]
	s_cbranch_execz .LBB14_24
.LBB14_14:                              ;   Parent Loop BB14_10 Depth=1
                                        ; =>  This Inner Loop Header: Depth=2
	s_and_b64 vcc, exec, s[22:23]
	s_cbranch_vccz .LBB14_21
; %bb.15:                               ;   in Loop: Header=BB14_14 Depth=2
	s_mov_b64 s[40:41], 0
	s_mov_b64 s[38:39], 0
                                        ; implicit-def: $vgpr2
	s_and_saveexec_b64 s[42:43], s[2:3]
	s_xor_b64 s[42:43], exec, s[42:43]
; %bb.16:                               ;   in Loop: Header=BB14_14 Depth=2
	v_add_u32_e32 v2, s27, v5
	s_mov_b64 s[38:39], exec
	v_mad_u64_u32 v[2:3], s[52:53], v2, s44, v[1:2]
; %bb.17:                               ;   in Loop: Header=BB14_14 Depth=2
	s_or_b64 exec, exec, s[42:43]
	s_and_b64 vcc, exec, s[40:41]
	s_cbranch_vccz .LBB14_22
.LBB14_18:                              ;   in Loop: Header=BB14_14 Depth=2
                                        ; implicit-def: $vgpr2
	s_and_saveexec_b64 s[40:41], s[2:3]
; %bb.19:                               ;   in Loop: Header=BB14_14 Depth=2
	v_add_u32_e32 v2, v14, v5
	s_or_b64 s[38:39], s[38:39], exec
; %bb.20:                               ;   in Loop: Header=BB14_14 Depth=2
	s_or_b64 exec, exec, s[40:41]
	v_mov_b32_e32 v3, 0
	s_and_saveexec_b64 s[40:41], s[38:39]
	s_cbranch_execz .LBB14_13
	s_branch .LBB14_23
.LBB14_21:                              ;   in Loop: Header=BB14_14 Depth=2
	s_mov_b64 s[38:39], 0
                                        ; implicit-def: $vgpr2
	s_cbranch_execnz .LBB14_18
.LBB14_22:                              ;   in Loop: Header=BB14_14 Depth=2
	v_mov_b32_e32 v3, 0
	s_and_saveexec_b64 s[40:41], s[38:39]
	s_cbranch_execz .LBB14_13
.LBB14_23:                              ;   in Loop: Header=BB14_14 Depth=2
	v_ashrrev_i32_e32 v3, 31, v2
	v_lshlrev_b64 v[2:3], 2, v[2:3]
	v_mov_b32_e32 v19, s21
	v_add_co_u32_e32 v2, vcc, s20, v2
	v_addc_co_u32_e32 v3, vcc, v19, v3, vcc
	global_load_dword v3, v[2:3], off
	s_branch .LBB14_13
.LBB14_24:                              ;   in Loop: Header=BB14_10 Depth=1
	s_or_b64 exec, exec, s[34:35]
	ds_read_b32 v2, v18 offset:4864
	s_waitcnt lgkmcnt(0)
	s_sub_i32 s34, s50, s13
	s_cmp_le_i32 s34, s31
	s_cselect_b64 s[36:37], -1, 0
	s_mov_b32 s40, 0
	v_cmp_ge_i32_e32 vcc, s30, v2
	s_and_b64 s[36:37], s[36:37], vcc
	s_andn2_b64 vcc, exec, s[36:37]
	s_cbranch_vccnz .LBB14_36
; %bb.25:                               ;   in Loop: Header=BB14_10 Depth=1
	s_mov_b32 s38, 0
	s_mov_b32 s39, 0
.LBB14_26:                              ;   Parent Loop BB14_10 Depth=1
                                        ; =>  This Inner Loop Header: Depth=2
	s_ashr_i32 s35, s34, 31
	s_lshl_b64 s[36:37], s[34:35], 2
	s_add_u32 s36, s18, s36
	s_addc_u32 s37, s19, s37
	s_load_dword s35, s[36:37], 0x0
	s_lshl_b32 s36, s39, 2
	v_mov_b32_e32 v2, s36
	ds_read_b32 v2, v2 offset:4864
	s_mov_b64 s[36:37], -1
	s_waitcnt lgkmcnt(0)
	s_sub_i32 s43, s35, s13
                                        ; implicit-def: $sgpr40
                                        ; implicit-def: $sgpr42
                                        ; implicit-def: $sgpr41
	v_cmp_ge_i32_e32 vcc, s43, v2
	v_readfirstlane_b32 s35, v2
	s_cbranch_vccz .LBB14_32
; %bb.27:                               ;   in Loop: Header=BB14_26 Depth=2
	s_cmp_le_i32 s43, s35
                                        ; implicit-def: $sgpr40
                                        ; implicit-def: $sgpr42
                                        ; implicit-def: $sgpr41
	s_cbranch_scc0 .LBB14_29
; %bb.28:                               ;   in Loop: Header=BB14_26 Depth=2
	s_add_i32 s36, s39, s46
	s_mul_i32 s36, s36, s47
	s_lshl_b32 s37, s38, 2
	v_mov_b32_e32 v3, s36
	s_mul_i32 s36, s34, s47
	v_mov_b32_e32 v2, s37
	v_mov_b32_e32 v4, s36
	ds_write2st64_b32 v2, v4, v3 offset0:17 offset1:18
	s_add_i32 s41, s39, 1
	s_add_i32 s42, s34, 1
	;; [unrolled: 1-line block ×3, first 2 shown]
	s_mov_b64 s[36:37], 0
.LBB14_29:                              ;   in Loop: Header=BB14_26 Depth=2
	s_andn2_b64 vcc, exec, s[36:37]
	s_cbranch_vccnz .LBB14_31
; %bb.30:                               ;   in Loop: Header=BB14_26 Depth=2
	s_add_i32 s41, s39, 1
	s_mov_b32 s40, s38
	s_mov_b32 s42, s34
.LBB14_31:                              ;   in Loop: Header=BB14_26 Depth=2
	s_mov_b64 s[36:37], 0
.LBB14_32:                              ;   in Loop: Header=BB14_26 Depth=2
	s_andn2_b64 vcc, exec, s[36:37]
	s_cbranch_vccnz .LBB14_34
; %bb.33:                               ;   in Loop: Header=BB14_26 Depth=2
	s_add_i32 s42, s34, 1
	s_mov_b32 s41, s39
	s_mov_b32 s40, s38
.LBB14_34:                              ;   in Loop: Header=BB14_26 Depth=2
	s_cmp_le_i32 s42, s31
	s_cselect_b64 s[36:37], -1, 0
	s_cmp_le_i32 s35, s30
	s_cselect_b64 s[34:35], -1, 0
	s_and_b64 s[34:35], s[36:37], s[34:35]
	s_and_b64 vcc, exec, s[34:35]
	s_cbranch_vccz .LBB14_36
; %bb.35:                               ;   in Loop: Header=BB14_26 Depth=2
	s_mov_b32 s38, s40
	s_mov_b32 s34, s42
	;; [unrolled: 1-line block ×3, first 2 shown]
	s_branch .LBB14_26
.LBB14_36:                              ;   in Loop: Header=BB14_10 Depth=1
	s_add_u32 s28, s10, s28
	s_addc_u32 s29, s11, s29
	s_waitcnt lgkmcnt(0)
.LBB14_37:                              ;   Parent Loop BB14_10 Depth=1
                                        ; =>  This Inner Loop Header: Depth=2
	global_load_dword v2, v18, s[28:29] glc
	s_waitcnt vmcnt(0)
	v_cmp_eq_u32_e32 vcc, 0, v2
	s_cbranch_vccnz .LBB14_37
; %bb.38:                               ;   in Loop: Header=BB14_10 Depth=1
	buffer_wbinvl1_vol
	s_and_saveexec_b64 s[28:29], s[0:1]
	s_cbranch_execz .LBB14_51
; %bb.39:                               ;   in Loop: Header=BB14_10 Depth=1
	s_mul_i32 s41, s31, s44
	v_add_u32_e32 v2, s41, v1
	v_mul_lo_u32 v4, v2, s44
	s_mov_b64 s[30:31], 0
	v_mov_b32_e32 v5, v11
	v_mov_b32_e32 v19, v0
	s_branch .LBB14_41
.LBB14_40:                              ;   in Loop: Header=BB14_41 Depth=2
	s_or_b64 exec, exec, s[36:37]
	v_add_u32_e32 v19, 4, v19
	v_cmp_le_i32_e32 vcc, s44, v19
	s_waitcnt vmcnt(0)
	ds_write_b32 v5, v3
	s_or_b64 s[30:31], vcc, s[30:31]
	v_add_u32_e32 v5, 16, v5
	s_andn2_b64 exec, exec, s[30:31]
	s_cbranch_execz .LBB14_51
.LBB14_41:                              ;   Parent Loop BB14_10 Depth=1
                                        ; =>  This Inner Loop Header: Depth=2
	s_and_b64 vcc, exec, s[22:23]
	s_cbranch_vccz .LBB14_48
; %bb.42:                               ;   in Loop: Header=BB14_41 Depth=2
	s_mov_b64 s[36:37], 0
	s_mov_b64 s[34:35], 0
                                        ; implicit-def: $vgpr2
	s_and_saveexec_b64 s[38:39], s[2:3]
	s_xor_b64 s[38:39], exec, s[38:39]
; %bb.43:                               ;   in Loop: Header=BB14_41 Depth=2
	v_add_u32_e32 v2, s41, v19
	s_mov_b64 s[34:35], exec
	v_mad_u64_u32 v[2:3], s[42:43], v2, s44, v[1:2]
; %bb.44:                               ;   in Loop: Header=BB14_41 Depth=2
	s_or_b64 exec, exec, s[38:39]
	s_and_b64 vcc, exec, s[36:37]
	s_cbranch_vccz .LBB14_49
.LBB14_45:                              ;   in Loop: Header=BB14_41 Depth=2
                                        ; implicit-def: $vgpr2
	s_and_saveexec_b64 s[36:37], s[2:3]
; %bb.46:                               ;   in Loop: Header=BB14_41 Depth=2
	v_add_u32_e32 v2, v4, v19
	s_or_b64 s[34:35], s[34:35], exec
; %bb.47:                               ;   in Loop: Header=BB14_41 Depth=2
	s_or_b64 exec, exec, s[36:37]
	v_mov_b32_e32 v3, 0
	s_and_saveexec_b64 s[36:37], s[34:35]
	s_cbranch_execz .LBB14_40
	s_branch .LBB14_50
.LBB14_48:                              ;   in Loop: Header=BB14_41 Depth=2
	s_mov_b64 s[34:35], 0
                                        ; implicit-def: $vgpr2
	s_cbranch_execnz .LBB14_45
.LBB14_49:                              ;   in Loop: Header=BB14_41 Depth=2
	v_mov_b32_e32 v3, 0
	s_and_saveexec_b64 s[36:37], s[34:35]
	s_cbranch_execz .LBB14_40
.LBB14_50:                              ;   in Loop: Header=BB14_41 Depth=2
	v_ashrrev_i32_e32 v3, 31, v2
	v_lshlrev_b64 v[2:3], 2, v[2:3]
	v_mov_b32_e32 v20, s21
	v_add_co_u32_e32 v2, vcc, s20, v2
	v_addc_co_u32_e32 v3, vcc, v20, v3, vcc
	global_load_dword v3, v[2:3], off
	s_branch .LBB14_40
.LBB14_51:                              ;   in Loop: Header=BB14_10 Depth=1
	s_or_b64 exec, exec, s[28:29]
	s_cmp_lt_i32 s40, 2
	s_cbranch_scc1 .LBB14_67
; %bb.52:                               ;   in Loop: Header=BB14_10 Depth=1
	s_add_i32 s36, s40, -2
	s_mov_b32 s37, 0
	s_branch .LBB14_54
.LBB14_53:                              ;   in Loop: Header=BB14_54 Depth=2
	s_or_b64 exec, exec, s[28:29]
	s_add_i32 s28, s37, 1
	s_cmp_eq_u32 s37, s36
	s_mov_b32 s37, s28
	s_cbranch_scc1 .LBB14_67
.LBB14_54:                              ;   Parent Loop BB14_10 Depth=1
                                        ; =>  This Loop Header: Depth=2
                                        ;       Child Loop BB14_56 Depth 3
	s_and_saveexec_b64 s[28:29], s[0:1]
	s_cbranch_execz .LBB14_53
; %bb.55:                               ;   in Loop: Header=BB14_54 Depth=2
	s_lshl_b32 s30, s37, 2
	v_mov_b32_e32 v2, s30
	ds_read2st64_b32 v[2:3], v2 offset0:17 offset1:18
	s_mov_b64 s[30:31], 0
	v_mov_b32_e32 v23, v0
	s_waitcnt lgkmcnt(0)
	v_add_u32_e32 v19, v3, v10
	v_add_u32_e32 v20, v1, v3
	;; [unrolled: 1-line block ×4, first 2 shown]
.LBB14_56:                              ;   Parent Loop BB14_10 Depth=1
                                        ;     Parent Loop BB14_54 Depth=2
                                        ; =>    This Inner Loop Header: Depth=3
	v_mov_b32_e32 v24, 0
	s_mov_b32 s38, 0
	v_mov_b32_e32 v2, v21
	v_mov_b32_e32 v4, v20
	s_and_b64 vcc, exec, s[22:23]
	s_cbranch_vccnz .LBB14_59
	s_branch .LBB14_58
.LBB14_57:                              ;   in Loop: Header=BB14_56 Depth=3
	v_mov_b32_e32 v24, v3
	s_and_b64 vcc, exec, s[22:23]
	s_cbranch_vccnz .LBB14_59
.LBB14_58:                              ;   in Loop: Header=BB14_56 Depth=3
                                        ; implicit-def: $vgpr3
	s_cbranch_execz .LBB14_65
	s_branch .LBB14_62
.LBB14_59:                              ;   in Loop: Header=BB14_56 Depth=3
	v_ashrrev_i32_e32 v3, 31, v2
	v_lshlrev_b64 v[25:26], 2, v[2:3]
	v_mov_b32_e32 v3, s21
	v_add_co_u32_e32 v25, vcc, s20, v25
	v_addc_co_u32_e32 v26, vcc, v3, v26, vcc
	global_load_dword v3, v[25:26], off
	v_mov_b32_e32 v5, 0
	s_and_saveexec_b64 s[34:35], s[2:3]
	s_cbranch_execz .LBB14_61
; %bb.60:                               ;   in Loop: Header=BB14_56 Depth=3
	v_ashrrev_i32_e32 v5, 31, v4
	v_lshlrev_b64 v[25:26], 2, v[4:5]
	v_mov_b32_e32 v5, s21
	v_add_co_u32_e32 v25, vcc, s20, v25
	v_addc_co_u32_e32 v26, vcc, v5, v26, vcc
	global_load_dword v5, v[25:26], off
.LBB14_61:                              ;   in Loop: Header=BB14_56 Depth=3
	s_or_b64 exec, exec, s[34:35]
	s_waitcnt vmcnt(0)
	v_fma_f32 v3, v3, v5, v24
	s_branch .LBB14_65
.LBB14_62:                              ;   in Loop: Header=BB14_56 Depth=3
	v_add_u32_e32 v25, s38, v22
	v_ashrrev_i32_e32 v26, 31, v25
	v_lshlrev_b64 v[25:26], 2, v[25:26]
	v_mov_b32_e32 v3, s21
	v_add_co_u32_e32 v25, vcc, s20, v25
	v_addc_co_u32_e32 v26, vcc, v3, v26, vcc
	global_load_dword v3, v[25:26], off
	v_mov_b32_e32 v5, 0
	s_and_saveexec_b64 s[34:35], s[2:3]
	s_cbranch_execz .LBB14_64
; %bb.63:                               ;   in Loop: Header=BB14_56 Depth=3
	v_add_u32_e32 v25, s38, v19
	v_ashrrev_i32_e32 v26, 31, v25
	v_lshlrev_b64 v[25:26], 2, v[25:26]
	v_mov_b32_e32 v5, s21
	v_add_co_u32_e32 v25, vcc, s20, v25
	v_addc_co_u32_e32 v26, vcc, v5, v26, vcc
	global_load_dword v5, v[25:26], off
.LBB14_64:                              ;   in Loop: Header=BB14_56 Depth=3
	s_or_b64 exec, exec, s[34:35]
	s_waitcnt vmcnt(0)
	v_fmac_f32_e32 v24, v3, v5
	v_mov_b32_e32 v3, v24
.LBB14_65:                              ;   in Loop: Header=BB14_56 Depth=3
	s_add_i32 s38, s38, 1
	v_add_u32_e32 v4, s44, v4
	s_cmp_eq_u32 s44, s38
	v_add_u32_e32 v2, s44, v2
	s_cbranch_scc0 .LBB14_57
; %bb.66:                               ;   in Loop: Header=BB14_56 Depth=3
	v_lshl_add_u32 v2, v23, 2, v9
	ds_read_b32 v4, v2
	v_add_u32_e32 v23, 4, v23
	v_cmp_le_i32_e32 vcc, s44, v23
	v_add_u32_e32 v21, 4, v21
	s_or_b64 s[30:31], vcc, s[30:31]
	s_waitcnt lgkmcnt(0)
	v_add_f32_e32 v3, v3, v4
	v_add_u32_e32 v22, s48, v22
	ds_write_b32 v2, v3
	s_andn2_b64 exec, exec, s[30:31]
	s_cbranch_execnz .LBB14_56
	s_branch .LBB14_53
.LBB14_67:                              ;   in Loop: Header=BB14_10 Depth=1
	s_andn2_b64 vcc, exec, s[24:25]
	s_waitcnt lgkmcnt(0)
	s_cbranch_vccnz .LBB14_79
; %bb.68:                               ;   in Loop: Header=BB14_10 Depth=1
	s_mov_b32 s34, 0
	v_mov_b32_e32 v2, v16
	s_mov_b32 s35, 0
	s_branch .LBB14_70
.LBB14_69:                              ;   in Loop: Header=BB14_70 Depth=2
	s_or_b64 exec, exec, s[28:29]
	s_add_i32 s35, s35, 1
	s_addk_i32 s34, 0x44
	s_cmp_eq_u32 s35, s44
	v_add_u32_e32 v2, 4, v2
	s_waitcnt lgkmcnt(0)
	s_cbranch_scc1 .LBB14_79
.LBB14_70:                              ;   Parent Loop BB14_10 Depth=1
                                        ; =>  This Loop Header: Depth=2
                                        ;       Child Loop BB14_75 Depth 3
                                        ;       Child Loop BB14_78 Depth 3
	s_lshl_b32 s28, s35, 2
	s_mul_i32 s29, s35, 0x44
	s_add_i32 s29, s29, s28
	v_mov_b32_e32 v3, s29
	ds_read_b32 v5, v3
	v_add_u32_e32 v3, s28, v8
	ds_read_b32 v4, v3
	s_waitcnt lgkmcnt(1)
	v_cmp_neq_f32_e32 vcc, 0, v5
	v_cndmask_b32_e32 v5, 1.0, v5, vcc
	s_nor_b64 s[30:31], vcc, s[4:5]
	s_and_saveexec_b64 s[28:29], s[30:31]
	s_cbranch_execz .LBB14_74
; %bb.71:                               ;   in Loop: Header=BB14_70 Depth=2
	v_mbcnt_lo_u32_b32 v5, exec_lo, 0
	v_mbcnt_hi_u32_b32 v5, exec_hi, v5
	v_cmp_eq_u32_e32 vcc, 0, v5
	s_and_saveexec_b64 s[30:31], vcc
	s_cbranch_execz .LBB14_73
; %bb.72:                               ;   in Loop: Header=BB14_70 Depth=2
	v_mov_b32_e32 v5, s49
	global_atomic_smin v18, v5, s[14:15]
.LBB14_73:                              ;   in Loop: Header=BB14_70 Depth=2
	s_or_b64 exec, exec, s[30:31]
	v_mov_b32_e32 v5, 1.0
.LBB14_74:                              ;   in Loop: Header=BB14_70 Depth=2
	s_or_b64 exec, exec, s[28:29]
	v_lshl_add_u32 v19, s35, 2, v9
	ds_read_b32 v19, v19
	s_cmp_eq_u32 s35, 0
	v_mov_b32_e32 v20, v8
	s_mov_b32 s28, s34
	s_mov_b32 s29, s35
	s_cbranch_scc1 .LBB14_76
.LBB14_75:                              ;   Parent Loop BB14_10 Depth=1
                                        ;     Parent Loop BB14_70 Depth=2
                                        ; =>    This Inner Loop Header: Depth=3
	v_mov_b32_e32 v21, s28
	ds_read_b32 v22, v20
	ds_read_b32 v21, v21
	s_add_i32 s29, s29, -1
	s_add_i32 s28, s28, 4
	v_add_u32_e32 v20, 4, v20
	s_cmp_eq_u32 s29, 0
	s_waitcnt lgkmcnt(0)
	v_fmac_f32_e32 v19, v21, v22
	s_cbranch_scc0 .LBB14_75
.LBB14_76:                              ;   in Loop: Header=BB14_70 Depth=2
	s_waitcnt lgkmcnt(0)
	v_sub_f32_e32 v4, v4, v19
	v_div_scale_f32 v19, s[28:29], v5, v5, v4
	v_div_scale_f32 v20, vcc, v4, v5, v4
	v_rcp_f32_e32 v21, v19
	v_fma_f32 v22, -v19, v21, 1.0
	v_fmac_f32_e32 v21, v22, v21
	v_mul_f32_e32 v22, v20, v21
	v_fma_f32 v23, -v19, v22, v20
	v_fmac_f32_e32 v22, v23, v21
	v_fma_f32 v19, -v19, v22, v20
	v_div_fmas_f32 v19, v19, v21, v22
	v_div_fixup_f32 v4, v19, v5, v4
	ds_write_b32 v3, v4
	s_waitcnt lgkmcnt(0)
	s_and_saveexec_b64 s[28:29], s[0:1]
	s_cbranch_execz .LBB14_69
; %bb.77:                               ;   in Loop: Header=BB14_70 Depth=2
	s_mov_b64 s[30:31], 0
	v_mov_b32_e32 v3, v2
	v_mov_b32_e32 v5, v15
	v_mov_b32_e32 v19, v0
.LBB14_78:                              ;   Parent Loop BB14_10 Depth=1
                                        ;     Parent Loop BB14_70 Depth=2
                                        ; =>    This Inner Loop Header: Depth=3
	ds_read_b32 v20, v3
	ds_read_b32 v21, v5
	v_add_u32_e32 v19, 4, v19
	v_cmp_le_i32_e32 vcc, s44, v19
	s_or_b64 s[30:31], vcc, s[30:31]
	v_add_u32_e32 v3, 0x110, v3
	s_waitcnt lgkmcnt(0)
	v_fmac_f32_e32 v21, v4, v20
	ds_write_b32 v5, v21
	v_add_u32_e32 v5, 16, v5
	s_andn2_b64 exec, exec, s[30:31]
	s_cbranch_execnz .LBB14_78
	s_branch .LBB14_69
.LBB14_79:                              ;   in Loop: Header=BB14_10 Depth=1
	s_and_saveexec_b64 s[28:29], s[0:1]
	s_cbranch_execz .LBB14_9
; %bb.80:                               ;   in Loop: Header=BB14_10 Depth=1
	s_mov_b64 s[30:31], 0
	v_mov_b32_e32 v4, v17
	v_mov_b32_e32 v5, v0
	s_branch .LBB14_84
.LBB14_81:                              ;   in Loop: Header=BB14_84 Depth=2
	v_add_u32_e32 v2, v14, v5
.LBB14_82:                              ;   in Loop: Header=BB14_84 Depth=2
	v_ashrrev_i32_e32 v3, 31, v2
	v_lshlrev_b64 v[2:3], 2, v[2:3]
	v_mov_b32_e32 v20, s21
	v_add_co_u32_e32 v2, vcc, s20, v2
	v_addc_co_u32_e32 v3, vcc, v20, v3, vcc
	s_waitcnt lgkmcnt(0)
	global_store_dword v[2:3], v19, off
.LBB14_83:                              ;   in Loop: Header=BB14_84 Depth=2
	s_or_b64 exec, exec, s[34:35]
	v_add_u32_e32 v5, 4, v5
	v_cmp_le_i32_e32 vcc, s44, v5
	s_or_b64 s[30:31], vcc, s[30:31]
	v_add_u32_e32 v4, 16, v4
	s_andn2_b64 exec, exec, s[30:31]
	s_cbranch_execz .LBB14_9
.LBB14_84:                              ;   Parent Loop BB14_10 Depth=1
                                        ; =>  This Inner Loop Header: Depth=2
	s_and_saveexec_b64 s[34:35], s[2:3]
	s_cbranch_execz .LBB14_83
; %bb.85:                               ;   in Loop: Header=BB14_84 Depth=2
	ds_read_b32 v19, v4
	s_and_b64 vcc, exec, s[22:23]
	s_cbranch_vccz .LBB14_87
; %bb.86:                               ;   in Loop: Header=BB14_84 Depth=2
	v_add_u32_e32 v2, s27, v5
	v_mad_u64_u32 v[2:3], s[36:37], v2, s44, v[1:2]
	s_cbranch_execnz .LBB14_82
	s_branch .LBB14_81
.LBB14_87:                              ;   in Loop: Header=BB14_84 Depth=2
                                        ; implicit-def: $vgpr2
	s_branch .LBB14_81
.LBB14_88:                              ;   in Loop: Header=BB14_10 Depth=1
                                        ; implicit-def: $sgpr26
                                        ; implicit-def: $vgpr14
	s_cbranch_execz .LBB14_10
.LBB14_89:
	v_cmp_gt_i32_e64 s[0:1], s44, v0
	s_and_saveexec_b64 s[4:5], s[0:1]
	s_cbranch_execz .LBB14_102
; %bb.90:
	s_mul_i32 s26, s33, s44
	v_add_u32_e32 v2, s26, v1
	v_mul_lo_u32 v4, v2, s44
	s_cmp_lg_u32 s45, 0
	v_mul_u32_u24_e32 v2, 0x44, v1
	s_movk_i32 s16, 0x880
	s_cselect_b64 s[8:9], -1, 0
	v_cmp_gt_i32_e64 s[2:3], s44, v1
	v_add3_u32 v5, v2, v6, s16
	s_mov_b64 s[16:17], 0
	v_mov_b32_e32 v8, v0
	s_branch .LBB14_92
.LBB14_91:                              ;   in Loop: Header=BB14_92 Depth=1
	s_or_b64 exec, exec, s[22:23]
	v_add_u32_e32 v8, 4, v8
	v_cmp_le_i32_e32 vcc, s44, v8
	s_waitcnt vmcnt(0)
	ds_write_b32 v5, v3
	s_or_b64 s[16:17], vcc, s[16:17]
	v_add_u32_e32 v5, 16, v5
	s_andn2_b64 exec, exec, s[16:17]
	s_cbranch_execz .LBB14_102
.LBB14_92:                              ; =>This Inner Loop Header: Depth=1
	s_and_b64 vcc, exec, s[8:9]
	s_cbranch_vccz .LBB14_99
; %bb.93:                               ;   in Loop: Header=BB14_92 Depth=1
	s_mov_b64 s[22:23], 0
	s_mov_b64 s[18:19], 0
                                        ; implicit-def: $vgpr2
	s_and_saveexec_b64 s[24:25], s[2:3]
	s_xor_b64 s[24:25], exec, s[24:25]
; %bb.94:                               ;   in Loop: Header=BB14_92 Depth=1
	v_add_u32_e32 v2, s26, v8
	s_mov_b64 s[18:19], exec
	v_mad_u64_u32 v[2:3], s[28:29], v2, s44, v[1:2]
; %bb.95:                               ;   in Loop: Header=BB14_92 Depth=1
	s_or_b64 exec, exec, s[24:25]
	s_and_b64 vcc, exec, s[22:23]
	s_cbranch_vccz .LBB14_100
.LBB14_96:                              ;   in Loop: Header=BB14_92 Depth=1
                                        ; implicit-def: $vgpr2
	s_and_saveexec_b64 s[22:23], s[2:3]
; %bb.97:                               ;   in Loop: Header=BB14_92 Depth=1
	v_add_u32_e32 v2, v4, v8
	s_or_b64 s[18:19], s[18:19], exec
; %bb.98:                               ;   in Loop: Header=BB14_92 Depth=1
	s_or_b64 exec, exec, s[22:23]
	v_mov_b32_e32 v3, 0
	s_and_saveexec_b64 s[22:23], s[18:19]
	s_cbranch_execz .LBB14_91
	s_branch .LBB14_101
.LBB14_99:                              ;   in Loop: Header=BB14_92 Depth=1
	s_mov_b64 s[18:19], 0
                                        ; implicit-def: $vgpr2
	s_cbranch_execnz .LBB14_96
.LBB14_100:                             ;   in Loop: Header=BB14_92 Depth=1
	v_mov_b32_e32 v3, 0
	s_and_saveexec_b64 s[22:23], s[18:19]
	s_cbranch_execz .LBB14_91
.LBB14_101:                             ;   in Loop: Header=BB14_92 Depth=1
	v_ashrrev_i32_e32 v3, 31, v2
	v_lshlrev_b64 v[2:3], 2, v[2:3]
	v_mov_b32_e32 v9, s21
	v_add_co_u32_e32 v2, vcc, s20, v2
	v_addc_co_u32_e32 v3, vcc, v9, v3, vcc
	global_load_dword v3, v[2:3], off
	s_branch .LBB14_91
.LBB14_102:
	s_or_b64 exec, exec, s[4:5]
	s_cmp_lt_i32 s44, 1
	s_waitcnt lgkmcnt(0)
	s_cbranch_scc1 .LBB14_115
; %bb.103:
	v_or_b32_e32 v3, v0, v1
	s_movk_i32 s4, 0x44
	v_mov_b32_e32 v8, 0x880
	v_cmp_ne_u32_e64 s[2:3], 0, v3
	v_mov_b32_e32 v3, 0xcc0
	v_mad_u32_u24 v2, v1, s4, v8
	v_mul_u32_u24_e32 v9, 0x44, v1
	s_movk_i32 s5, 0xcc0
	v_mad_u32_u24 v3, v1, s4, v3
	s_mov_b32 s16, 0
	s_add_i32 s17, s12, s13
	v_add_u32_e32 v4, v2, v7
	v_add_u32_e32 v5, v3, v7
	v_add3_u32 v7, v9, v6, s5
	v_mad_u32_u24 v8, v0, s4, v8
	s_mov_b32 s18, 0xf800000
	v_mov_b32_e32 v9, 0x260
	v_mov_b32_e32 v10, 0
	s_branch .LBB14_105
.LBB14_104:                             ;   in Loop: Header=BB14_105 Depth=1
	s_or_b64 exec, exec, s[4:5]
	s_add_i32 s16, s16, 1
	s_cmp_eq_u32 s16, s44
	v_add_u32_e32 v8, 4, v8
	s_waitcnt lgkmcnt(0)
	s_cbranch_scc1 .LBB14_115
.LBB14_105:                             ; =>This Loop Header: Depth=1
                                        ;     Child Loop BB14_114 Depth 2
	v_cmp_eq_u32_e32 vcc, s16, v1
	s_and_saveexec_b64 s[8:9], vcc
	s_cbranch_execz .LBB14_107
; %bb.106:                              ;   in Loop: Header=BB14_105 Depth=1
	ds_read_b32 v11, v4
	ds_read_b32 v12, v5
	s_waitcnt lgkmcnt(0)
	v_sub_f32_e32 v11, v11, v12
	v_cmp_gt_f32_e32 vcc, 0, v11
	v_cndmask_b32_e64 v11, v11, -v11, vcc
	v_mul_f32_e32 v12, 0x4f800000, v11
	v_cmp_gt_f32_e32 vcc, s18, v11
	v_cndmask_b32_e32 v11, v11, v12, vcc
	v_sqrt_f32_e32 v12, v11
	v_add_u32_e32 v13, -1, v12
	v_add_u32_e32 v14, 1, v12
	v_fma_f32 v15, -v13, v12, v11
	v_fma_f32 v16, -v14, v12, v11
	v_cmp_ge_f32_e64 s[4:5], 0, v15
	v_cndmask_b32_e64 v12, v12, v13, s[4:5]
	v_cmp_lt_f32_e64 s[4:5], 0, v16
	v_cndmask_b32_e64 v12, v12, v14, s[4:5]
	v_mul_f32_e32 v13, 0x37800000, v12
	v_cndmask_b32_e32 v12, v12, v13, vcc
	v_cmp_class_f32_e32 vcc, v11, v9
	v_cndmask_b32_e32 v11, v12, v11, vcc
	ds_write_b32 v4, v11
.LBB14_107:                             ;   in Loop: Header=BB14_105 Depth=1
	s_or_b64 exec, exec, s[8:9]
	s_lshl_b32 s4, s16, 2
	s_mul_i32 s5, s16, 0x44
	s_add_i32 s5, s5, s4
	v_mov_b32_e32 v11, s5
	s_waitcnt lgkmcnt(0)
	ds_read_b32 v13, v11 offset:2176
	v_add_u32_e32 v11, s4, v2
	ds_read_b32 v12, v11
	s_waitcnt lgkmcnt(1)
	v_cmp_neq_f32_e32 vcc, 0, v13
	v_cndmask_b32_e32 v13, 1.0, v13, vcc
	s_nor_b64 s[8:9], vcc, s[2:3]
	s_and_saveexec_b64 s[4:5], s[8:9]
	s_cbranch_execz .LBB14_111
; %bb.108:                              ;   in Loop: Header=BB14_105 Depth=1
	v_mbcnt_lo_u32_b32 v13, exec_lo, 0
	v_mbcnt_hi_u32_b32 v13, exec_hi, v13
	v_cmp_eq_u32_e32 vcc, 0, v13
	s_and_saveexec_b64 s[8:9], vcc
	s_cbranch_execz .LBB14_110
; %bb.109:                              ;   in Loop: Header=BB14_105 Depth=1
	v_mov_b32_e32 v13, s17
	global_atomic_smin v10, v13, s[14:15]
.LBB14_110:                             ;   in Loop: Header=BB14_105 Depth=1
	s_or_b64 exec, exec, s[8:9]
	v_mov_b32_e32 v13, 1.0
.LBB14_111:                             ;   in Loop: Header=BB14_105 Depth=1
	s_or_b64 exec, exec, s[4:5]
	v_cmp_lt_u32_e32 vcc, s16, v1
	s_and_saveexec_b64 s[4:5], vcc
	s_cbranch_execz .LBB14_104
; %bb.112:                              ;   in Loop: Header=BB14_105 Depth=1
	v_lshl_add_u32 v14, s16, 2, v3
	ds_read_b32 v14, v14
	s_waitcnt lgkmcnt(0)
	v_sub_f32_e32 v12, v12, v14
	v_div_scale_f32 v14, s[8:9], v13, v13, v12
	v_div_scale_f32 v15, vcc, v12, v13, v12
	v_rcp_f32_e32 v16, v14
	v_fma_f32 v17, -v14, v16, 1.0
	v_fmac_f32_e32 v16, v17, v16
	v_mul_f32_e32 v17, v15, v16
	v_fma_f32 v18, -v14, v17, v15
	v_fmac_f32_e32 v17, v18, v16
	v_fma_f32 v14, -v14, v17, v15
	v_div_fmas_f32 v14, v14, v16, v17
	v_div_fixup_f32 v12, v14, v13, v12
	ds_write_b32 v11, v12
	s_waitcnt lgkmcnt(0)
	s_and_b64 exec, exec, s[0:1]
	s_cbranch_execz .LBB14_104
; %bb.113:                              ;   in Loop: Header=BB14_105 Depth=1
	s_mov_b64 s[8:9], 0
	v_mov_b32_e32 v11, v8
	v_mov_b32_e32 v13, v7
	;; [unrolled: 1-line block ×3, first 2 shown]
.LBB14_114:                             ;   Parent Loop BB14_105 Depth=1
                                        ; =>  This Inner Loop Header: Depth=2
	ds_read_b32 v15, v11
	ds_read_b32 v16, v13
	v_add_u32_e32 v14, 4, v14
	v_cmp_le_i32_e32 vcc, s44, v14
	s_or_b64 s[8:9], vcc, s[8:9]
	v_add_u32_e32 v11, 0x110, v11
	s_waitcnt lgkmcnt(0)
	v_fmac_f32_e32 v16, v12, v15
	ds_write_b32 v13, v16
	v_add_u32_e32 v13, 16, v13
	s_andn2_b64 exec, exec, s[8:9]
	s_cbranch_execnz .LBB14_114
	s_branch .LBB14_104
.LBB14_115:
	s_and_saveexec_b64 s[2:3], s[0:1]
	s_cbranch_execz .LBB14_124
; %bb.116:
	s_mul_i32 s33, s33, s44
	v_add_u32_e32 v2, s33, v1
	v_mul_lo_u32 v4, v2, s44
	s_cmp_lg_u32 s45, 0
	v_mul_u32_u24_e32 v2, 0x44, v1
	s_movk_i32 s8, 0x880
	v_cmp_gt_i32_e64 s[0:1], s44, v1
	s_cselect_b64 s[4:5], -1, 0
	v_add3_u32 v5, v2, v6, s8
	s_mov_b64 s[8:9], 0
	v_mov_b32_e32 v6, v0
	s_branch .LBB14_120
.LBB14_117:                             ;   in Loop: Header=BB14_120 Depth=1
	v_add_u32_e32 v2, v4, v6
.LBB14_118:                             ;   in Loop: Header=BB14_120 Depth=1
	v_ashrrev_i32_e32 v3, 31, v2
	v_lshlrev_b64 v[2:3], 2, v[2:3]
	v_mov_b32_e32 v8, s21
	v_add_co_u32_e32 v2, vcc, s20, v2
	v_addc_co_u32_e32 v3, vcc, v8, v3, vcc
	s_waitcnt lgkmcnt(0)
	global_store_dword v[2:3], v7, off
.LBB14_119:                             ;   in Loop: Header=BB14_120 Depth=1
	s_or_b64 exec, exec, s[16:17]
	v_add_u32_e32 v6, 4, v6
	v_cmp_le_i32_e32 vcc, s44, v6
	s_or_b64 s[8:9], vcc, s[8:9]
	v_add_u32_e32 v5, 16, v5
	s_andn2_b64 exec, exec, s[8:9]
	s_cbranch_execz .LBB14_124
.LBB14_120:                             ; =>This Inner Loop Header: Depth=1
	s_and_saveexec_b64 s[16:17], s[0:1]
	s_cbranch_execz .LBB14_119
; %bb.121:                              ;   in Loop: Header=BB14_120 Depth=1
	ds_read_b32 v7, v5
	s_and_b64 vcc, exec, s[4:5]
	s_cbranch_vccz .LBB14_123
; %bb.122:                              ;   in Loop: Header=BB14_120 Depth=1
	v_add_u32_e32 v2, s33, v6
	v_mad_u64_u32 v[2:3], s[18:19], v2, s44, v[1:2]
	s_cbranch_execnz .LBB14_118
	s_branch .LBB14_117
.LBB14_123:                             ;   in Loop: Header=BB14_120 Depth=1
                                        ; implicit-def: $vgpr2
	s_branch .LBB14_117
.LBB14_124:
	s_or_b64 exec, exec, s[2:3]
	v_or_b32_e32 v2, v0, v1
	v_cmp_eq_u32_e32 vcc, 0, v2
	s_and_saveexec_b64 s[0:1], vcc
	s_cbranch_execz .LBB14_126
; %bb.125:
	s_add_u32 s2, s10, s6
	s_addc_u32 s3, s11, s7
	v_mov_b32_e32 v2, 0
	v_mov_b32_e32 v3, 1
	s_waitcnt vmcnt(0)
	global_store_dword v2, v3, s[2:3]
.LBB14_126:
	s_or_b64 exec, exec, s[0:1]
.LBB14_127:
	s_endpgm
.LBB14_128:
	s_cbranch_execz .LBB14_127
; %bb.129:
	v_or_b32_e32 v0, v0, v1
	v_cmp_eq_u32_e32 vcc, 0, v0
	s_and_saveexec_b64 s[0:1], vcc
	s_cbranch_execz .LBB14_127
; %bb.130:
	v_mbcnt_lo_u32_b32 v0, exec_lo, 0
	v_mbcnt_hi_u32_b32 v0, exec_hi, v0
	v_cmp_eq_u32_e32 vcc, 0, v0
	s_and_saveexec_b64 s[0:1], vcc
	s_cbranch_execz .LBB14_132
; %bb.131:
	s_add_i32 s2, s12, s13
	v_mov_b32_e32 v0, 0
	v_mov_b32_e32 v1, s2
	global_atomic_smin v0, v1, s[14:15]
.LBB14_132:
	s_or_b64 exec, exec, s[0:1]
	s_add_u32 s0, s10, s6
	s_addc_u32 s1, s11, s7
	v_mov_b32_e32 v0, 0
	v_mov_b32_e32 v1, 1
	s_waitcnt vmcnt(0)
	global_store_dword v0, v1, s[0:1]
	s_endpgm
	.section	.rodata,"a",@progbits
	.p2align	6, 0x0
	.amdhsa_kernel _ZN9rocsparseL18bsric0_9_16_kernelILi64ELi64ELi16EfEEv20rocsparse_direction_iiPKiS3_PT2_S3_PiS3_S6_21rocsparse_index_base_
		.amdhsa_group_segment_fixed_size 5120
		.amdhsa_private_segment_fixed_size 0
		.amdhsa_kernarg_size 76
		.amdhsa_user_sgpr_count 6
		.amdhsa_user_sgpr_private_segment_buffer 1
		.amdhsa_user_sgpr_dispatch_ptr 0
		.amdhsa_user_sgpr_queue_ptr 0
		.amdhsa_user_sgpr_kernarg_segment_ptr 1
		.amdhsa_user_sgpr_dispatch_id 0
		.amdhsa_user_sgpr_flat_scratch_init 0
		.amdhsa_user_sgpr_private_segment_size 0
		.amdhsa_uses_dynamic_stack 0
		.amdhsa_system_sgpr_private_segment_wavefront_offset 0
		.amdhsa_system_sgpr_workgroup_id_x 1
		.amdhsa_system_sgpr_workgroup_id_y 0
		.amdhsa_system_sgpr_workgroup_id_z 0
		.amdhsa_system_sgpr_workgroup_info 0
		.amdhsa_system_vgpr_workitem_id 1
		.amdhsa_next_free_vgpr 65
		.amdhsa_next_free_sgpr 98
		.amdhsa_reserve_vcc 1
		.amdhsa_reserve_flat_scratch 0
		.amdhsa_float_round_mode_32 0
		.amdhsa_float_round_mode_16_64 0
		.amdhsa_float_denorm_mode_32 3
		.amdhsa_float_denorm_mode_16_64 3
		.amdhsa_dx10_clamp 1
		.amdhsa_ieee_mode 1
		.amdhsa_fp16_overflow 0
		.amdhsa_exception_fp_ieee_invalid_op 0
		.amdhsa_exception_fp_denorm_src 0
		.amdhsa_exception_fp_ieee_div_zero 0
		.amdhsa_exception_fp_ieee_overflow 0
		.amdhsa_exception_fp_ieee_underflow 0
		.amdhsa_exception_fp_ieee_inexact 0
		.amdhsa_exception_int_div_zero 0
	.end_amdhsa_kernel
	.section	.text._ZN9rocsparseL18bsric0_9_16_kernelILi64ELi64ELi16EfEEv20rocsparse_direction_iiPKiS3_PT2_S3_PiS3_S6_21rocsparse_index_base_,"axG",@progbits,_ZN9rocsparseL18bsric0_9_16_kernelILi64ELi64ELi16EfEEv20rocsparse_direction_iiPKiS3_PT2_S3_PiS3_S6_21rocsparse_index_base_,comdat
.Lfunc_end14:
	.size	_ZN9rocsparseL18bsric0_9_16_kernelILi64ELi64ELi16EfEEv20rocsparse_direction_iiPKiS3_PT2_S3_PiS3_S6_21rocsparse_index_base_, .Lfunc_end14-_ZN9rocsparseL18bsric0_9_16_kernelILi64ELi64ELi16EfEEv20rocsparse_direction_iiPKiS3_PT2_S3_PiS3_S6_21rocsparse_index_base_
                                        ; -- End function
	.set _ZN9rocsparseL18bsric0_9_16_kernelILi64ELi64ELi16EfEEv20rocsparse_direction_iiPKiS3_PT2_S3_PiS3_S6_21rocsparse_index_base_.num_vgpr, 27
	.set _ZN9rocsparseL18bsric0_9_16_kernelILi64ELi64ELi16EfEEv20rocsparse_direction_iiPKiS3_PT2_S3_PiS3_S6_21rocsparse_index_base_.num_agpr, 0
	.set _ZN9rocsparseL18bsric0_9_16_kernelILi64ELi64ELi16EfEEv20rocsparse_direction_iiPKiS3_PT2_S3_PiS3_S6_21rocsparse_index_base_.numbered_sgpr, 54
	.set _ZN9rocsparseL18bsric0_9_16_kernelILi64ELi64ELi16EfEEv20rocsparse_direction_iiPKiS3_PT2_S3_PiS3_S6_21rocsparse_index_base_.num_named_barrier, 0
	.set _ZN9rocsparseL18bsric0_9_16_kernelILi64ELi64ELi16EfEEv20rocsparse_direction_iiPKiS3_PT2_S3_PiS3_S6_21rocsparse_index_base_.private_seg_size, 0
	.set _ZN9rocsparseL18bsric0_9_16_kernelILi64ELi64ELi16EfEEv20rocsparse_direction_iiPKiS3_PT2_S3_PiS3_S6_21rocsparse_index_base_.uses_vcc, 1
	.set _ZN9rocsparseL18bsric0_9_16_kernelILi64ELi64ELi16EfEEv20rocsparse_direction_iiPKiS3_PT2_S3_PiS3_S6_21rocsparse_index_base_.uses_flat_scratch, 0
	.set _ZN9rocsparseL18bsric0_9_16_kernelILi64ELi64ELi16EfEEv20rocsparse_direction_iiPKiS3_PT2_S3_PiS3_S6_21rocsparse_index_base_.has_dyn_sized_stack, 0
	.set _ZN9rocsparseL18bsric0_9_16_kernelILi64ELi64ELi16EfEEv20rocsparse_direction_iiPKiS3_PT2_S3_PiS3_S6_21rocsparse_index_base_.has_recursion, 0
	.set _ZN9rocsparseL18bsric0_9_16_kernelILi64ELi64ELi16EfEEv20rocsparse_direction_iiPKiS3_PT2_S3_PiS3_S6_21rocsparse_index_base_.has_indirect_call, 0
	.section	.AMDGPU.csdata,"",@progbits
; Kernel info:
; codeLenInByte = 3664
; TotalNumSgprs: 58
; NumVgprs: 27
; ScratchSize: 0
; MemoryBound: 0
; FloatMode: 240
; IeeeMode: 1
; LDSByteSize: 5120 bytes/workgroup (compile time only)
; SGPRBlocks: 12
; VGPRBlocks: 16
; NumSGPRsForWavesPerEU: 102
; NumVGPRsForWavesPerEU: 65
; Occupancy: 3
; WaveLimiterHint : 1
; COMPUTE_PGM_RSRC2:SCRATCH_EN: 0
; COMPUTE_PGM_RSRC2:USER_SGPR: 6
; COMPUTE_PGM_RSRC2:TRAP_HANDLER: 0
; COMPUTE_PGM_RSRC2:TGID_X_EN: 1
; COMPUTE_PGM_RSRC2:TGID_Y_EN: 0
; COMPUTE_PGM_RSRC2:TGID_Z_EN: 0
; COMPUTE_PGM_RSRC2:TIDIG_COMP_CNT: 1
	.section	.text._ZN9rocsparseL19bsric0_17_32_kernelILi64ELi64ELi32EfEEv20rocsparse_direction_iiPKiS3_PT2_S3_PiS3_S6_21rocsparse_index_base_,"axG",@progbits,_ZN9rocsparseL19bsric0_17_32_kernelILi64ELi64ELi32EfEEv20rocsparse_direction_iiPKiS3_PT2_S3_PiS3_S6_21rocsparse_index_base_,comdat
	.globl	_ZN9rocsparseL19bsric0_17_32_kernelILi64ELi64ELi32EfEEv20rocsparse_direction_iiPKiS3_PT2_S3_PiS3_S6_21rocsparse_index_base_ ; -- Begin function _ZN9rocsparseL19bsric0_17_32_kernelILi64ELi64ELi32EfEEv20rocsparse_direction_iiPKiS3_PT2_S3_PiS3_S6_21rocsparse_index_base_
	.p2align	8
	.type	_ZN9rocsparseL19bsric0_17_32_kernelILi64ELi64ELi32EfEEv20rocsparse_direction_iiPKiS3_PT2_S3_PiS3_S6_21rocsparse_index_base_,@function
_ZN9rocsparseL19bsric0_17_32_kernelILi64ELi64ELi32EfEEv20rocsparse_direction_iiPKiS3_PT2_S3_PiS3_S6_21rocsparse_index_base_: ; @_ZN9rocsparseL19bsric0_17_32_kernelILi64ELi64ELi32EfEEv20rocsparse_direction_iiPKiS3_PT2_S3_PiS3_S6_21rocsparse_index_base_
; %bb.0:
	s_load_dwordx8 s[8:15], s[4:5], 0x28
	s_mov_b32 s7, 0
	s_lshl_b64 s[0:1], s[6:7], 2
	s_waitcnt lgkmcnt(0)
	s_add_u32 s0, s12, s0
	s_addc_u32 s1, s13, s1
	s_load_dword s12, s[0:1], 0x0
	s_waitcnt lgkmcnt(0)
	s_ashr_i32 s13, s12, 31
	s_lshl_b64 s[6:7], s[12:13], 2
	s_add_u32 s0, s8, s6
	s_addc_u32 s1, s9, s7
	s_load_dword s33, s[0:1], 0x0
	s_load_dword s13, s[4:5], 0x48
	s_waitcnt lgkmcnt(0)
	s_cmp_lg_u32 s33, -1
	s_cbranch_scc0 .LBB15_118
; %bb.1:
	s_load_dwordx4 s[16:19], s[4:5], 0x10
	s_load_dwordx2 s[20:21], s[4:5], 0x20
	v_lshlrev_b32_e32 v2, 1, v1
	v_lshlrev_b32_e32 v6, 2, v0
	s_waitcnt lgkmcnt(0)
	s_add_u32 s0, s16, s6
	s_addc_u32 s1, s17, s7
	s_load_dword s0, s[0:1], 0x0
	s_waitcnt lgkmcnt(0)
	s_sub_i32 s48, s0, s13
	v_add3_u32 v2, v2, v0, s48
	v_cmp_ge_i32_e32 vcc, s33, v2
	s_and_saveexec_b64 s[0:1], vcc
	s_cbranch_execz .LBB15_4
; %bb.2:
	v_lshlrev_b32_e32 v3, 3, v1
	s_movk_i32 s2, 0x3380
	v_add3_u32 v4, v3, v6, s2
	s_mov_b64 s[2:3], 0
	v_mov_b32_e32 v5, s19
.LBB15_3:                               ; =>This Inner Loop Header: Depth=1
	v_ashrrev_i32_e32 v3, 31, v2
	v_lshlrev_b64 v[7:8], 2, v[2:3]
	v_add_u32_e32 v2, 64, v2
	v_add_co_u32_e32 v7, vcc, s18, v7
	v_addc_co_u32_e32 v8, vcc, v5, v8, vcc
	global_load_dword v3, v[7:8], off
	v_cmp_lt_i32_e32 vcc, s33, v2
	s_or_b64 s[2:3], vcc, s[2:3]
	s_waitcnt vmcnt(0)
	v_subrev_u32_e32 v3, s13, v3
	ds_write_b32 v4, v3
	v_add_u32_e32 v4, 0x100, v4
	s_andn2_b64 exec, exec, s[2:3]
	s_cbranch_execnz .LBB15_3
.LBB15_4:
	s_or_b64 exec, exec, s[0:1]
	v_cmp_gt_u32_e32 vcc, 32, v0
	s_and_saveexec_b64 s[0:1], vcc
	s_cbranch_execz .LBB15_7
; %bb.5:
	v_mul_u32_u24_e32 v3, 0x84, v1
	s_movk_i32 s2, 0x2100
	v_add_u32_e32 v2, -2, v0
	v_add3_u32 v3, v3, v6, s2
	s_mov_b64 s[2:3], 0
	v_mov_b32_e32 v4, 0
.LBB15_6:                               ; =>This Inner Loop Header: Depth=1
	v_add_u32_e32 v2, 2, v2
	v_cmp_lt_u32_e32 vcc, 29, v2
	ds_write_b32 v3, v4
	s_or_b64 s[2:3], vcc, s[2:3]
	v_add_u32_e32 v3, 8, v3
	s_andn2_b64 exec, exec, s[2:3]
	s_cbranch_execnz .LBB15_6
.LBB15_7:
	s_or_b64 exec, exec, s[0:1]
	s_load_dword s46, s[4:5], 0x8
	s_load_dword s47, s[4:5], 0x0
	s_cmp_ge_i32 s48, s33
	s_waitcnt lgkmcnt(0)
	v_cmp_gt_i32_e64 s[0:1], s46, v0
	s_cbranch_scc1 .LBB15_79
; %bb.8:
	v_or_b32_e32 v3, v0, v1
	s_mul_i32 s29, s46, s48
	v_cmp_ne_u32_e64 s[4:5], 0, v3
	v_add_u32_e32 v3, s29, v1
	s_cmp_eq_u32 s47, 0
	v_mul_lo_u32 v9, s46, v1
	v_mul_lo_u32 v12, s46, v3
	;; [unrolled: 1-line block ×3, first 2 shown]
	s_cselect_b64 s[22:23], -1, 0
	s_cmp_lg_u32 s47, 0
	s_movk_i32 s28, 0x84
	s_cselect_b64 s[24:25], -1, 0
	v_mov_b32_e32 v2, 0x1080
	s_cmp_gt_i32 s46, 0
	v_mad_u32_u24 v10, v1, s28, v6
	s_mul_i32 s49, s46, s46
	v_cmp_gt_i32_e64 s[2:3], s46, v1
	v_mul_u32_u24_e32 v7, 0x84, v1
	v_mad_u32_u24 v8, v1, s28, v2
	s_cselect_b64 s[26:27], -1, 0
	s_lshl_b32 s50, s46, 1
	v_add_u32_e32 v13, 0x2100, v10
	v_mad_u32_u24 v14, v0, s28, v2
	v_add_u32_e32 v15, 0x1080, v10
	v_mov_b32_e32 v16, 0
	s_mov_b32 s28, s48
	s_branch .LBB15_10
.LBB15_9:                               ;   in Loop: Header=BB15_10 Depth=1
	s_or_b64 exec, exec, s[30:31]
	s_add_i32 s28, s28, 1
	s_cmp_ge_i32 s28, s33
	s_waitcnt vmcnt(0)
	buffer_wbinvl1_vol
	v_add_u32_e32 v12, s49, v12
	s_cselect_b64 s[30:31], -1, 0
	s_and_b64 vcc, exec, s[30:31]
	s_cbranch_vccnz .LBB15_79
.LBB15_10:                              ; =>This Loop Header: Depth=1
                                        ;     Child Loop BB15_14 Depth 2
                                        ;     Child Loop BB15_26 Depth 2
	;; [unrolled: 1-line block ×4, first 2 shown]
                                        ;       Child Loop BB15_43 Depth 3
                                        ;         Child Loop BB15_48 Depth 4
                                        ;     Child Loop BB15_57 Depth 2
                                        ;       Child Loop BB15_64 Depth 3
                                        ;       Child Loop BB15_68 Depth 3
                                        ;     Child Loop BB15_73 Depth 2
	s_ashr_i32 s29, s28, 31
	s_lshl_b64 s[30:31], s[28:29], 2
	s_add_u32 s30, s18, s30
	s_addc_u32 s31, s19, s31
	s_load_dword s51, s[30:31], 0x0
	s_waitcnt lgkmcnt(0)
	s_sub_i32 s34, s51, s13
	s_ashr_i32 s35, s34, 31
	s_lshl_b64 s[30:31], s[34:35], 2
	s_add_u32 s36, s8, s30
	s_addc_u32 s37, s9, s31
	s_load_dword s52, s[36:37], 0x0
	s_waitcnt lgkmcnt(0)
	s_cmp_eq_u32 s52, -1
	s_cbranch_scc1 .LBB15_78
; %bb.11:                               ;   in Loop: Header=BB15_10 Depth=1
	s_add_u32 s36, s16, s30
	s_addc_u32 s37, s17, s31
	s_load_dword s35, s[36:37], 0x0
	s_mul_i32 s29, s28, s46
	s_and_saveexec_b64 s[36:37], s[0:1]
	s_cbranch_execz .LBB15_24
; %bb.12:                               ;   in Loop: Header=BB15_10 Depth=1
	s_mov_b64 s[38:39], 0
	v_mov_b32_e32 v4, v10
	v_mov_b32_e32 v5, v0
	s_branch .LBB15_14
.LBB15_13:                              ;   in Loop: Header=BB15_14 Depth=2
	s_or_b64 exec, exec, s[42:43]
	v_add_u32_e32 v5, 2, v5
	v_cmp_le_i32_e32 vcc, s46, v5
	s_waitcnt vmcnt(0)
	ds_write_b32 v4, v3 offset:4224
	ds_write_b32 v4, v16
	s_or_b64 s[38:39], vcc, s[38:39]
	v_add_u32_e32 v4, 8, v4
	s_andn2_b64 exec, exec, s[38:39]
	s_cbranch_execz .LBB15_24
.LBB15_14:                              ;   Parent Loop BB15_10 Depth=1
                                        ; =>  This Inner Loop Header: Depth=2
	s_mov_b64 s[42:43], -1
	s_and_b64 vcc, exec, s[24:25]
	s_mov_b64 s[40:41], 0
                                        ; implicit-def: $vgpr2
	s_cbranch_vccz .LBB15_19
; %bb.15:                               ;   in Loop: Header=BB15_14 Depth=2
	s_mov_b64 s[42:43], 0
                                        ; implicit-def: $vgpr2
	s_and_saveexec_b64 s[44:45], s[2:3]
	s_xor_b64 s[44:45], exec, s[44:45]
; %bb.16:                               ;   in Loop: Header=BB15_14 Depth=2
	v_add_u32_e32 v2, s29, v5
	v_mad_u64_u32 v[2:3], s[54:55], v2, s46, v[1:2]
	s_mov_b64 s[40:41], exec
; %bb.17:                               ;   in Loop: Header=BB15_14 Depth=2
	s_or_b64 exec, exec, s[44:45]
	s_and_b64 vcc, exec, s[42:43]
	s_cbranch_vccnz .LBB15_20
.LBB15_18:                              ;   in Loop: Header=BB15_14 Depth=2
	v_mov_b32_e32 v3, 0
	s_and_saveexec_b64 s[42:43], s[40:41]
	s_cbranch_execz .LBB15_13
	s_branch .LBB15_23
.LBB15_19:                              ;   in Loop: Header=BB15_14 Depth=2
	s_and_b64 vcc, exec, s[42:43]
	s_cbranch_vccz .LBB15_18
.LBB15_20:                              ;   in Loop: Header=BB15_14 Depth=2
                                        ; implicit-def: $vgpr2
	s_and_saveexec_b64 s[42:43], s[2:3]
; %bb.21:                               ;   in Loop: Header=BB15_14 Depth=2
	v_add_u32_e32 v2, v12, v5
	s_or_b64 s[40:41], s[40:41], exec
; %bb.22:                               ;   in Loop: Header=BB15_14 Depth=2
	s_or_b64 exec, exec, s[42:43]
	v_mov_b32_e32 v3, 0
	s_and_saveexec_b64 s[42:43], s[40:41]
	s_cbranch_execz .LBB15_13
.LBB15_23:                              ;   in Loop: Header=BB15_14 Depth=2
	v_ashrrev_i32_e32 v3, 31, v2
	v_lshlrev_b64 v[2:3], 2, v[2:3]
	v_mov_b32_e32 v17, s21
	v_add_co_u32_e32 v2, vcc, s20, v2
	v_addc_co_u32_e32 v3, vcc, v17, v3, vcc
	global_load_dword v3, v[2:3], off
	s_branch .LBB15_13
.LBB15_24:                              ;   in Loop: Header=BB15_10 Depth=1
	s_or_b64 exec, exec, s[36:37]
	ds_read_b32 v2, v16 offset:13184
	s_waitcnt lgkmcnt(0)
	s_sub_i32 s36, s35, s13
	s_cmp_le_i32 s36, s52
	s_cselect_b64 s[38:39], -1, 0
	s_mov_b32 s37, 0
	v_cmp_ge_i32_e32 vcc, s34, v2
	s_and_b64 s[38:39], s[38:39], vcc
	s_andn2_b64 vcc, exec, s[38:39]
	s_cbranch_vccnz .LBB15_36
; %bb.25:                               ;   in Loop: Header=BB15_10 Depth=1
	s_mov_b32 s35, 0
	s_mov_b32 s40, 0
.LBB15_26:                              ;   Parent Loop BB15_10 Depth=1
                                        ; =>  This Inner Loop Header: Depth=2
	s_ashr_i32 s37, s36, 31
	s_lshl_b64 s[38:39], s[36:37], 2
	s_add_u32 s38, s18, s38
	s_addc_u32 s39, s19, s39
	s_load_dword s37, s[38:39], 0x0
	s_lshl_b32 s38, s40, 2
	v_mov_b32_e32 v2, s38
	ds_read_b32 v2, v2 offset:13184
	s_mov_b64 s[38:39], -1
	s_waitcnt lgkmcnt(0)
	s_sub_i32 s44, s37, s13
                                        ; implicit-def: $sgpr37
                                        ; implicit-def: $sgpr43
                                        ; implicit-def: $sgpr42
	v_cmp_ge_i32_e32 vcc, s44, v2
	v_readfirstlane_b32 s41, v2
	s_cbranch_vccz .LBB15_32
; %bb.27:                               ;   in Loop: Header=BB15_26 Depth=2
	s_cmp_le_i32 s44, s41
                                        ; implicit-def: $sgpr37
                                        ; implicit-def: $sgpr43
                                        ; implicit-def: $sgpr42
	s_cbranch_scc0 .LBB15_29
; %bb.28:                               ;   in Loop: Header=BB15_26 Depth=2
	s_add_i32 s37, s40, s48
	s_mul_i32 s37, s37, s49
	s_lshl_b32 s38, s35, 2
	v_mov_b32_e32 v2, s38
	v_mov_b32_e32 v3, s37
	s_mul_i32 s37, s36, s49
	v_mov_b32_e32 v4, s37
	v_add_u32_e32 v2, 0x80, v2
	ds_write2st64_b32 v2, v4, v3 offset0:49 offset1:50
	s_add_i32 s42, s40, 1
	s_add_i32 s43, s36, 1
	;; [unrolled: 1-line block ×3, first 2 shown]
	s_mov_b64 s[38:39], 0
.LBB15_29:                              ;   in Loop: Header=BB15_26 Depth=2
	s_andn2_b64 vcc, exec, s[38:39]
	s_cbranch_vccnz .LBB15_31
; %bb.30:                               ;   in Loop: Header=BB15_26 Depth=2
	s_add_i32 s42, s40, 1
	s_mov_b32 s37, s35
	s_mov_b32 s43, s36
.LBB15_31:                              ;   in Loop: Header=BB15_26 Depth=2
	s_mov_b64 s[38:39], 0
.LBB15_32:                              ;   in Loop: Header=BB15_26 Depth=2
	s_andn2_b64 vcc, exec, s[38:39]
	s_cbranch_vccnz .LBB15_34
; %bb.33:                               ;   in Loop: Header=BB15_26 Depth=2
	s_add_i32 s43, s36, 1
	s_mov_b32 s42, s40
	s_mov_b32 s37, s35
.LBB15_34:                              ;   in Loop: Header=BB15_26 Depth=2
	s_cmp_le_i32 s43, s52
	s_cselect_b64 s[38:39], -1, 0
	s_cmp_le_i32 s41, s34
	s_cselect_b64 s[40:41], -1, 0
	s_and_b64 s[38:39], s[38:39], s[40:41]
	s_and_b64 vcc, exec, s[38:39]
	s_cbranch_vccz .LBB15_36
; %bb.35:                               ;   in Loop: Header=BB15_26 Depth=2
	s_mov_b32 s35, s37
	s_mov_b32 s36, s43
	;; [unrolled: 1-line block ×3, first 2 shown]
	s_branch .LBB15_26
.LBB15_36:                              ;   in Loop: Header=BB15_10 Depth=1
	s_add_u32 s30, s10, s30
	s_addc_u32 s31, s11, s31
	s_waitcnt lgkmcnt(0)
.LBB15_37:                              ;   Parent Loop BB15_10 Depth=1
                                        ; =>  This Inner Loop Header: Depth=2
	global_load_dword v2, v16, s[30:31] glc
	s_waitcnt vmcnt(0)
	v_cmp_eq_u32_e32 vcc, 0, v2
	s_cbranch_vccnz .LBB15_37
; %bb.38:                               ;   in Loop: Header=BB15_10 Depth=1
	s_cmp_lt_i32 s37, 2
	buffer_wbinvl1_vol
	s_cbranch_scc1 .LBB15_54
; %bb.39:                               ;   in Loop: Header=BB15_10 Depth=1
	s_add_i32 s38, s37, -2
	s_mov_b32 s39, 0
	s_branch .LBB15_41
.LBB15_40:                              ;   in Loop: Header=BB15_41 Depth=2
	s_or_b64 exec, exec, s[30:31]
	s_add_i32 s30, s39, 1
	s_cmp_eq_u32 s39, s38
	s_mov_b32 s39, s30
	s_cbranch_scc1 .LBB15_54
.LBB15_41:                              ;   Parent Loop BB15_10 Depth=1
                                        ; =>  This Loop Header: Depth=2
                                        ;       Child Loop BB15_43 Depth 3
                                        ;         Child Loop BB15_48 Depth 4
	s_and_saveexec_b64 s[30:31], s[0:1]
	s_cbranch_execz .LBB15_40
; %bb.42:                               ;   in Loop: Header=BB15_41 Depth=2
	s_lshl_b32 s34, s39, 2
	v_mov_b32_e32 v2, s34
	v_add_u32_e32 v2, 0x80, v2
	ds_read2st64_b32 v[2:3], v2 offset0:49 offset1:50
	s_mov_b64 s[34:35], 0
	v_mov_b32_e32 v21, v0
	s_waitcnt lgkmcnt(0)
	v_add_u32_e32 v17, v3, v9
	v_add_u32_e32 v18, v1, v3
	;; [unrolled: 1-line block ×4, first 2 shown]
.LBB15_43:                              ;   Parent Loop BB15_10 Depth=1
                                        ;     Parent Loop BB15_41 Depth=2
                                        ; =>    This Loop Header: Depth=3
                                        ;         Child Loop BB15_48 Depth 4
	v_mov_b32_e32 v22, 0
	s_mov_b32 s40, 0
	v_mov_b32_e32 v2, v19
	v_mov_b32_e32 v4, v18
	s_mov_b64 s[36:37], -1
	s_and_b64 vcc, exec, s[24:25]
                                        ; implicit-def: $vgpr3
	s_cbranch_vccz .LBB15_48
	s_branch .LBB15_45
.LBB15_44:                              ;   in Loop: Header=BB15_48 Depth=4
	v_mov_b32_e32 v22, v3
	s_mov_b64 s[36:37], -1
	s_and_b64 vcc, exec, s[24:25]
                                        ; implicit-def: $vgpr3
	s_cbranch_vccz .LBB15_48
.LBB15_45:                              ;   in Loop: Header=BB15_43 Depth=3
	v_ashrrev_i32_e32 v3, 31, v2
	v_lshlrev_b64 v[23:24], 2, v[2:3]
	v_mov_b32_e32 v3, s21
	v_add_co_u32_e32 v23, vcc, s20, v23
	v_addc_co_u32_e32 v24, vcc, v3, v24, vcc
	global_load_dword v3, v[23:24], off
	v_mov_b32_e32 v5, 0
	s_and_saveexec_b64 s[36:37], s[2:3]
	s_cbranch_execz .LBB15_47
; %bb.46:                               ;   in Loop: Header=BB15_43 Depth=3
	v_ashrrev_i32_e32 v5, 31, v4
	v_lshlrev_b64 v[23:24], 2, v[4:5]
	v_mov_b32_e32 v5, s21
	v_add_co_u32_e32 v23, vcc, s20, v23
	v_addc_co_u32_e32 v24, vcc, v5, v24, vcc
	global_load_dword v5, v[23:24], off
.LBB15_47:                              ;   in Loop: Header=BB15_43 Depth=3
	s_or_b64 exec, exec, s[36:37]
	s_waitcnt vmcnt(0)
	v_fma_f32 v3, v3, v5, v22
	s_mov_b64 s[36:37], 0
.LBB15_48:                              ;   Parent Loop BB15_10 Depth=1
                                        ;     Parent Loop BB15_41 Depth=2
                                        ;       Parent Loop BB15_43 Depth=3
                                        ; =>      This Inner Loop Header: Depth=4
	s_and_b64 vcc, exec, s[36:37]
	s_cbranch_vccz .LBB15_52
; %bb.49:                               ;   in Loop: Header=BB15_48 Depth=4
	v_add_u32_e32 v23, s40, v20
	v_ashrrev_i32_e32 v24, 31, v23
	v_lshlrev_b64 v[23:24], 2, v[23:24]
	v_mov_b32_e32 v3, s21
	v_add_co_u32_e32 v23, vcc, s20, v23
	v_addc_co_u32_e32 v24, vcc, v3, v24, vcc
	global_load_dword v3, v[23:24], off
	v_mov_b32_e32 v5, 0
	s_and_saveexec_b64 s[36:37], s[2:3]
	s_cbranch_execz .LBB15_51
; %bb.50:                               ;   in Loop: Header=BB15_48 Depth=4
	v_add_u32_e32 v23, s40, v17
	v_ashrrev_i32_e32 v24, 31, v23
	v_lshlrev_b64 v[23:24], 2, v[23:24]
	v_mov_b32_e32 v5, s21
	v_add_co_u32_e32 v23, vcc, s20, v23
	v_addc_co_u32_e32 v24, vcc, v5, v24, vcc
	global_load_dword v5, v[23:24], off
.LBB15_51:                              ;   in Loop: Header=BB15_48 Depth=4
	s_or_b64 exec, exec, s[36:37]
	s_waitcnt vmcnt(0)
	v_fmac_f32_e32 v22, v3, v5
	v_mov_b32_e32 v3, v22
.LBB15_52:                              ;   in Loop: Header=BB15_48 Depth=4
	s_add_i32 s40, s40, 1
	v_add_u32_e32 v4, s46, v4
	s_cmp_eq_u32 s46, s40
	v_add_u32_e32 v2, s46, v2
	s_cbranch_scc0 .LBB15_44
; %bb.53:                               ;   in Loop: Header=BB15_43 Depth=3
	v_lshl_add_u32 v2, v21, 2, v7
	ds_read_b32 v4, v2
	v_add_u32_e32 v21, 2, v21
	v_cmp_le_i32_e32 vcc, s46, v21
	v_add_u32_e32 v19, 2, v19
	s_or_b64 s[34:35], vcc, s[34:35]
	s_waitcnt lgkmcnt(0)
	v_add_f32_e32 v3, v3, v4
	v_add_u32_e32 v20, s50, v20
	ds_write_b32 v2, v3
	s_andn2_b64 exec, exec, s[34:35]
	s_cbranch_execnz .LBB15_43
	s_branch .LBB15_40
.LBB15_54:                              ;   in Loop: Header=BB15_10 Depth=1
	s_andn2_b64 vcc, exec, s[26:27]
	s_waitcnt lgkmcnt(0)
	s_cbranch_vccnz .LBB15_69
; %bb.55:                               ;   in Loop: Header=BB15_10 Depth=1
	s_mul_i32 s36, s49, s52
	s_mov_b32 s37, 0
	v_mov_b32_e32 v2, v14
	s_mov_b32 s38, s36
	s_branch .LBB15_57
.LBB15_56:                              ;   in Loop: Header=BB15_57 Depth=2
	s_or_b64 exec, exec, s[30:31]
	s_add_i32 s37, s37, 1
	s_add_i32 s38, s38, 1
	s_cmp_eq_u32 s37, s46
	v_add_u32_e32 v2, 4, v2
	s_waitcnt lgkmcnt(0)
	s_cbranch_scc1 .LBB15_69
.LBB15_57:                              ;   Parent Loop BB15_10 Depth=1
                                        ; =>  This Loop Header: Depth=2
                                        ;       Child Loop BB15_64 Depth 3
                                        ;       Child Loop BB15_68 Depth 3
	s_mul_i32 s39, s37, s46
	s_add_i32 s39, s39, s36
	s_add_i32 s30, s39, s37
	s_ashr_i32 s31, s30, 31
	s_lshl_b64 s[30:31], s[30:31], 2
	s_add_u32 s30, s20, s30
	s_addc_u32 s31, s21, s31
	global_load_dword v5, v16, s[30:31]
	v_lshl_add_u32 v3, s37, 2, v8
	ds_read_b32 v4, v3
	s_waitcnt vmcnt(0)
	v_cmp_neq_f32_e32 vcc, 0, v5
	v_cndmask_b32_e32 v5, 1.0, v5, vcc
	s_nor_b64 s[34:35], vcc, s[4:5]
	s_and_saveexec_b64 s[30:31], s[34:35]
	s_cbranch_execz .LBB15_61
; %bb.58:                               ;   in Loop: Header=BB15_57 Depth=2
	v_mbcnt_lo_u32_b32 v5, exec_lo, 0
	v_mbcnt_hi_u32_b32 v5, exec_hi, v5
	v_cmp_eq_u32_e32 vcc, 0, v5
	s_and_saveexec_b64 s[34:35], vcc
	s_cbranch_execz .LBB15_60
; %bb.59:                               ;   in Loop: Header=BB15_57 Depth=2
	v_mov_b32_e32 v5, s51
	global_atomic_smin v16, v5, s[14:15]
.LBB15_60:                              ;   in Loop: Header=BB15_57 Depth=2
	s_or_b64 exec, exec, s[34:35]
	v_mov_b32_e32 v5, 1.0
.LBB15_61:                              ;   in Loop: Header=BB15_57 Depth=2
	s_or_b64 exec, exec, s[30:31]
	v_lshl_add_u32 v17, s37, 2, v7
	ds_read_b32 v17, v17
	s_cmp_eq_u32 s37, 0
	s_cbranch_scc1 .LBB15_66
; %bb.62:                               ;   in Loop: Header=BB15_57 Depth=2
	s_mov_b32 s34, 0
	s_mov_b32 s35, s37
	;; [unrolled: 1-line block ×3, first 2 shown]
	v_mov_b32_e32 v18, v8
	s_branch .LBB15_64
.LBB15_63:                              ;   in Loop: Header=BB15_64 Depth=3
	s_ashr_i32 s31, s30, 31
	s_lshl_b64 s[30:31], s[30:31], 2
	s_add_u32 s30, s20, s30
	s_addc_u32 s31, s21, s31
	global_load_dword v19, v16, s[30:31]
	ds_read_b32 v20, v18
	s_add_i32 s34, s34, 1
	s_add_i32 s40, s40, s46
	s_add_i32 s35, s35, -1
	s_cmp_eq_u32 s35, 0
	v_add_u32_e32 v18, 4, v18
	s_waitcnt vmcnt(0) lgkmcnt(0)
	v_fmac_f32_e32 v17, v19, v20
	s_cbranch_scc1 .LBB15_66
.LBB15_64:                              ;   Parent Loop BB15_10 Depth=1
                                        ;     Parent Loop BB15_57 Depth=2
                                        ; =>    This Inner Loop Header: Depth=3
	s_andn2_b64 vcc, exec, s[22:23]
	s_mov_b32 s30, s40
	s_cbranch_vccnz .LBB15_63
; %bb.65:                               ;   in Loop: Header=BB15_64 Depth=3
	s_add_i32 s30, s34, s39
	s_branch .LBB15_63
.LBB15_66:                              ;   in Loop: Header=BB15_57 Depth=2
	s_waitcnt lgkmcnt(0)
	v_sub_f32_e32 v4, v4, v17
	v_div_scale_f32 v17, s[30:31], v5, v5, v4
	v_div_scale_f32 v18, vcc, v4, v5, v4
	v_rcp_f32_e32 v19, v17
	v_fma_f32 v20, -v17, v19, 1.0
	v_fmac_f32_e32 v19, v20, v19
	v_mul_f32_e32 v20, v18, v19
	v_fma_f32 v21, -v17, v20, v18
	v_fmac_f32_e32 v20, v21, v19
	v_fma_f32 v17, -v17, v20, v18
	v_div_fmas_f32 v17, v17, v19, v20
	v_div_fixup_f32 v4, v17, v5, v4
	ds_write_b32 v3, v4
	s_waitcnt lgkmcnt(0)
	s_and_saveexec_b64 s[30:31], s[0:1]
	s_cbranch_execz .LBB15_56
; %bb.67:                               ;   in Loop: Header=BB15_57 Depth=2
	s_mov_b64 s[34:35], 0
	v_mov_b32_e32 v3, v2
	v_mov_b32_e32 v5, v13
	;; [unrolled: 1-line block ×3, first 2 shown]
.LBB15_68:                              ;   Parent Loop BB15_10 Depth=1
                                        ;     Parent Loop BB15_57 Depth=2
                                        ; =>    This Inner Loop Header: Depth=3
	ds_read_b32 v18, v3
	ds_read_b32 v19, v5
	v_add_u32_e32 v17, 2, v17
	v_cmp_le_i32_e32 vcc, s46, v17
	s_or_b64 s[34:35], vcc, s[34:35]
	v_add_u32_e32 v3, 0x108, v3
	s_waitcnt lgkmcnt(0)
	v_fmac_f32_e32 v19, v4, v18
	ds_write_b32 v5, v19
	v_add_u32_e32 v5, 8, v5
	s_andn2_b64 exec, exec, s[34:35]
	s_cbranch_execnz .LBB15_68
	s_branch .LBB15_56
.LBB15_69:                              ;   in Loop: Header=BB15_10 Depth=1
	s_and_saveexec_b64 s[30:31], s[0:1]
	s_cbranch_execz .LBB15_9
; %bb.70:                               ;   in Loop: Header=BB15_10 Depth=1
	s_mov_b64 s[34:35], 0
	v_mov_b32_e32 v4, v15
	v_mov_b32_e32 v5, v0
	s_branch .LBB15_73
.LBB15_71:                              ;   in Loop: Header=BB15_73 Depth=2
	v_ashrrev_i32_e32 v3, 31, v2
	v_lshlrev_b64 v[2:3], 2, v[2:3]
	v_mov_b32_e32 v18, s21
	v_add_co_u32_e32 v2, vcc, s20, v2
	v_addc_co_u32_e32 v3, vcc, v18, v3, vcc
	s_waitcnt lgkmcnt(0)
	global_store_dword v[2:3], v17, off
.LBB15_72:                              ;   in Loop: Header=BB15_73 Depth=2
	s_or_b64 exec, exec, s[36:37]
	v_add_u32_e32 v5, 2, v5
	v_cmp_le_i32_e32 vcc, s46, v5
	s_or_b64 s[34:35], vcc, s[34:35]
	v_add_u32_e32 v4, 8, v4
	s_andn2_b64 exec, exec, s[34:35]
	s_cbranch_execz .LBB15_9
.LBB15_73:                              ;   Parent Loop BB15_10 Depth=1
                                        ; =>  This Inner Loop Header: Depth=2
	s_and_saveexec_b64 s[36:37], s[2:3]
	s_cbranch_execz .LBB15_72
; %bb.74:                               ;   in Loop: Header=BB15_73 Depth=2
	ds_read_b32 v17, v4
	s_mov_b64 s[38:39], -1
	s_and_b64 vcc, exec, s[24:25]
                                        ; implicit-def: $vgpr2
	s_cbranch_vccz .LBB15_76
; %bb.75:                               ;   in Loop: Header=BB15_73 Depth=2
	v_add_u32_e32 v2, s29, v5
	v_mad_u64_u32 v[2:3], s[38:39], v2, s46, v[1:2]
	s_mov_b64 s[38:39], 0
.LBB15_76:                              ;   in Loop: Header=BB15_73 Depth=2
	s_andn2_b64 vcc, exec, s[38:39]
	s_cbranch_vccnz .LBB15_71
; %bb.77:                               ;   in Loop: Header=BB15_73 Depth=2
	v_add_u32_e32 v2, v12, v5
	s_branch .LBB15_71
.LBB15_78:                              ;   in Loop: Header=BB15_10 Depth=1
                                        ; implicit-def: $sgpr28
                                        ; implicit-def: $vgpr12
	s_cbranch_execz .LBB15_10
.LBB15_79:
	v_cmp_gt_i32_e64 s[0:1], s46, v0
	s_and_saveexec_b64 s[4:5], s[0:1]
	s_cbranch_execz .LBB15_92
; %bb.80:
	s_mul_i32 s26, s33, s46
	v_add_u32_e32 v2, s26, v1
	v_mul_lo_u32 v4, v2, s46
	s_cmp_lg_u32 s47, 0
	v_mul_u32_u24_e32 v2, 0x84, v1
	s_movk_i32 s16, 0x1080
	s_cselect_b64 s[8:9], -1, 0
	v_cmp_gt_i32_e64 s[2:3], s46, v1
	v_add3_u32 v5, v2, v6, s16
	s_mov_b64 s[16:17], 0
	v_mov_b32_e32 v7, v0
	s_branch .LBB15_82
.LBB15_81:                              ;   in Loop: Header=BB15_82 Depth=1
	s_or_b64 exec, exec, s[22:23]
	v_add_u32_e32 v7, 2, v7
	v_cmp_le_i32_e32 vcc, s46, v7
	s_waitcnt vmcnt(0)
	ds_write_b32 v5, v3
	s_or_b64 s[16:17], vcc, s[16:17]
	v_add_u32_e32 v5, 8, v5
	s_andn2_b64 exec, exec, s[16:17]
	s_cbranch_execz .LBB15_92
.LBB15_82:                              ; =>This Inner Loop Header: Depth=1
	s_and_b64 vcc, exec, s[8:9]
	s_cbranch_vccz .LBB15_89
; %bb.83:                               ;   in Loop: Header=BB15_82 Depth=1
	s_mov_b64 s[22:23], 0
	s_mov_b64 s[18:19], 0
                                        ; implicit-def: $vgpr2
	s_and_saveexec_b64 s[24:25], s[2:3]
	s_xor_b64 s[24:25], exec, s[24:25]
; %bb.84:                               ;   in Loop: Header=BB15_82 Depth=1
	v_add_u32_e32 v2, s26, v7
	s_mov_b64 s[18:19], exec
	v_mad_u64_u32 v[2:3], s[28:29], v2, s46, v[1:2]
; %bb.85:                               ;   in Loop: Header=BB15_82 Depth=1
	s_or_b64 exec, exec, s[24:25]
	s_and_b64 vcc, exec, s[22:23]
	s_cbranch_vccz .LBB15_90
.LBB15_86:                              ;   in Loop: Header=BB15_82 Depth=1
                                        ; implicit-def: $vgpr2
	s_and_saveexec_b64 s[22:23], s[2:3]
; %bb.87:                               ;   in Loop: Header=BB15_82 Depth=1
	v_add_u32_e32 v2, v4, v7
	s_or_b64 s[18:19], s[18:19], exec
; %bb.88:                               ;   in Loop: Header=BB15_82 Depth=1
	s_or_b64 exec, exec, s[22:23]
	v_mov_b32_e32 v3, 0
	s_and_saveexec_b64 s[22:23], s[18:19]
	s_cbranch_execz .LBB15_81
	s_branch .LBB15_91
.LBB15_89:                              ;   in Loop: Header=BB15_82 Depth=1
	s_mov_b64 s[18:19], 0
                                        ; implicit-def: $vgpr2
	s_cbranch_execnz .LBB15_86
.LBB15_90:                              ;   in Loop: Header=BB15_82 Depth=1
	v_mov_b32_e32 v3, 0
	s_and_saveexec_b64 s[22:23], s[18:19]
	s_cbranch_execz .LBB15_81
.LBB15_91:                              ;   in Loop: Header=BB15_82 Depth=1
	v_ashrrev_i32_e32 v3, 31, v2
	v_lshlrev_b64 v[2:3], 2, v[2:3]
	v_mov_b32_e32 v8, s21
	v_add_co_u32_e32 v2, vcc, s20, v2
	v_addc_co_u32_e32 v3, vcc, v8, v3, vcc
	global_load_dword v3, v[2:3], off
	s_branch .LBB15_81
.LBB15_92:
	s_or_b64 exec, exec, s[4:5]
	s_cmp_lt_i32 s46, 1
	s_waitcnt lgkmcnt(0)
	s_cbranch_scc1 .LBB15_105
; %bb.93:
	v_or_b32_e32 v3, v0, v1
	s_movk_i32 s4, 0x84
	v_mov_b32_e32 v8, 0x1080
	v_cmp_ne_u32_e64 s[2:3], 0, v3
	v_mov_b32_e32 v3, 0x2100
	v_mad_u32_u24 v2, v1, s4, v8
	v_mul_u32_u24_e32 v7, 0x84, v1
	s_movk_i32 s5, 0x2100
	v_mad_u32_u24 v3, v1, s4, v3
	v_lshlrev_b32_e32 v5, 2, v1
	s_mov_b32 s16, 0
	s_add_i32 s17, s12, s13
	v_add_u32_e32 v4, v2, v5
	v_add_u32_e32 v5, v3, v5
	v_add3_u32 v7, v7, v6, s5
	v_mad_u32_u24 v8, v0, s4, v8
	s_mov_b32 s18, 0xf800000
	v_mov_b32_e32 v9, 0x260
	v_mov_b32_e32 v10, 0
	s_branch .LBB15_95
.LBB15_94:                              ;   in Loop: Header=BB15_95 Depth=1
	s_or_b64 exec, exec, s[4:5]
	s_add_i32 s16, s16, 1
	s_cmp_eq_u32 s16, s46
	v_add_u32_e32 v8, 4, v8
	s_waitcnt lgkmcnt(0)
	s_cbranch_scc1 .LBB15_105
.LBB15_95:                              ; =>This Loop Header: Depth=1
                                        ;     Child Loop BB15_104 Depth 2
	v_cmp_eq_u32_e32 vcc, s16, v1
	s_and_saveexec_b64 s[8:9], vcc
	s_cbranch_execz .LBB15_97
; %bb.96:                               ;   in Loop: Header=BB15_95 Depth=1
	ds_read_b32 v11, v4
	ds_read_b32 v12, v5
	s_waitcnt lgkmcnt(0)
	v_sub_f32_e32 v11, v11, v12
	v_cmp_gt_f32_e32 vcc, 0, v11
	v_cndmask_b32_e64 v11, v11, -v11, vcc
	v_mul_f32_e32 v12, 0x4f800000, v11
	v_cmp_gt_f32_e32 vcc, s18, v11
	v_cndmask_b32_e32 v11, v11, v12, vcc
	v_sqrt_f32_e32 v12, v11
	v_add_u32_e32 v13, -1, v12
	v_add_u32_e32 v14, 1, v12
	v_fma_f32 v15, -v13, v12, v11
	v_fma_f32 v16, -v14, v12, v11
	v_cmp_ge_f32_e64 s[4:5], 0, v15
	v_cndmask_b32_e64 v12, v12, v13, s[4:5]
	v_cmp_lt_f32_e64 s[4:5], 0, v16
	v_cndmask_b32_e64 v12, v12, v14, s[4:5]
	v_mul_f32_e32 v13, 0x37800000, v12
	v_cndmask_b32_e32 v12, v12, v13, vcc
	v_cmp_class_f32_e32 vcc, v11, v9
	v_cndmask_b32_e32 v11, v12, v11, vcc
	ds_write_b32 v4, v11
.LBB15_97:                              ;   in Loop: Header=BB15_95 Depth=1
	s_or_b64 exec, exec, s[8:9]
	s_lshl_b32 s4, s16, 2
	s_mul_i32 s5, s16, 0x84
	s_add_i32 s5, s5, s4
	v_mov_b32_e32 v11, s5
	s_waitcnt lgkmcnt(0)
	ds_read_b32 v13, v11 offset:4224
	v_add_u32_e32 v11, s4, v2
	ds_read_b32 v12, v11
	s_waitcnt lgkmcnt(1)
	v_cmp_neq_f32_e32 vcc, 0, v13
	v_cndmask_b32_e32 v13, 1.0, v13, vcc
	s_nor_b64 s[8:9], vcc, s[2:3]
	s_and_saveexec_b64 s[4:5], s[8:9]
	s_cbranch_execz .LBB15_101
; %bb.98:                               ;   in Loop: Header=BB15_95 Depth=1
	v_mbcnt_lo_u32_b32 v13, exec_lo, 0
	v_mbcnt_hi_u32_b32 v13, exec_hi, v13
	v_cmp_eq_u32_e32 vcc, 0, v13
	s_and_saveexec_b64 s[8:9], vcc
	s_cbranch_execz .LBB15_100
; %bb.99:                               ;   in Loop: Header=BB15_95 Depth=1
	v_mov_b32_e32 v13, s17
	global_atomic_smin v10, v13, s[14:15]
.LBB15_100:                             ;   in Loop: Header=BB15_95 Depth=1
	s_or_b64 exec, exec, s[8:9]
	v_mov_b32_e32 v13, 1.0
.LBB15_101:                             ;   in Loop: Header=BB15_95 Depth=1
	s_or_b64 exec, exec, s[4:5]
	v_cmp_lt_u32_e32 vcc, s16, v1
	s_and_saveexec_b64 s[4:5], vcc
	s_cbranch_execz .LBB15_94
; %bb.102:                              ;   in Loop: Header=BB15_95 Depth=1
	v_lshl_add_u32 v14, s16, 2, v3
	ds_read_b32 v14, v14
	s_waitcnt lgkmcnt(0)
	v_sub_f32_e32 v12, v12, v14
	v_div_scale_f32 v14, s[8:9], v13, v13, v12
	v_div_scale_f32 v15, vcc, v12, v13, v12
	v_rcp_f32_e32 v16, v14
	v_fma_f32 v17, -v14, v16, 1.0
	v_fmac_f32_e32 v16, v17, v16
	v_mul_f32_e32 v17, v15, v16
	v_fma_f32 v18, -v14, v17, v15
	v_fmac_f32_e32 v17, v18, v16
	v_fma_f32 v14, -v14, v17, v15
	v_div_fmas_f32 v14, v14, v16, v17
	v_div_fixup_f32 v12, v14, v13, v12
	ds_write_b32 v11, v12
	s_waitcnt lgkmcnt(0)
	s_and_b64 exec, exec, s[0:1]
	s_cbranch_execz .LBB15_94
; %bb.103:                              ;   in Loop: Header=BB15_95 Depth=1
	s_mov_b64 s[8:9], 0
	v_mov_b32_e32 v11, v8
	v_mov_b32_e32 v13, v7
	;; [unrolled: 1-line block ×3, first 2 shown]
.LBB15_104:                             ;   Parent Loop BB15_95 Depth=1
                                        ; =>  This Inner Loop Header: Depth=2
	ds_read_b32 v15, v11
	ds_read_b32 v16, v13
	v_add_u32_e32 v14, 2, v14
	v_cmp_le_i32_e32 vcc, s46, v14
	s_or_b64 s[8:9], vcc, s[8:9]
	v_add_u32_e32 v11, 0x108, v11
	s_waitcnt lgkmcnt(0)
	v_fmac_f32_e32 v16, v12, v15
	ds_write_b32 v13, v16
	v_add_u32_e32 v13, 8, v13
	s_andn2_b64 exec, exec, s[8:9]
	s_cbranch_execnz .LBB15_104
	s_branch .LBB15_94
.LBB15_105:
	s_and_saveexec_b64 s[2:3], s[0:1]
	s_cbranch_execz .LBB15_114
; %bb.106:
	s_mul_i32 s33, s33, s46
	v_add_u32_e32 v2, s33, v1
	v_mul_lo_u32 v4, v2, s46
	s_cmp_lg_u32 s47, 0
	v_mul_u32_u24_e32 v2, 0x84, v1
	s_movk_i32 s8, 0x1080
	v_cmp_gt_i32_e64 s[0:1], s46, v1
	s_cselect_b64 s[4:5], -1, 0
	v_add3_u32 v5, v2, v6, s8
	s_mov_b64 s[8:9], 0
	v_mov_b32_e32 v6, v0
	s_branch .LBB15_110
.LBB15_107:                             ;   in Loop: Header=BB15_110 Depth=1
	v_add_u32_e32 v2, v4, v6
.LBB15_108:                             ;   in Loop: Header=BB15_110 Depth=1
	v_ashrrev_i32_e32 v3, 31, v2
	v_lshlrev_b64 v[2:3], 2, v[2:3]
	v_mov_b32_e32 v8, s21
	v_add_co_u32_e32 v2, vcc, s20, v2
	v_addc_co_u32_e32 v3, vcc, v8, v3, vcc
	s_waitcnt lgkmcnt(0)
	global_store_dword v[2:3], v7, off
.LBB15_109:                             ;   in Loop: Header=BB15_110 Depth=1
	s_or_b64 exec, exec, s[16:17]
	v_add_u32_e32 v6, 2, v6
	v_cmp_le_i32_e32 vcc, s46, v6
	s_or_b64 s[8:9], vcc, s[8:9]
	v_add_u32_e32 v5, 8, v5
	s_andn2_b64 exec, exec, s[8:9]
	s_cbranch_execz .LBB15_114
.LBB15_110:                             ; =>This Inner Loop Header: Depth=1
	s_and_saveexec_b64 s[16:17], s[0:1]
	s_cbranch_execz .LBB15_109
; %bb.111:                              ;   in Loop: Header=BB15_110 Depth=1
	ds_read_b32 v7, v5
	s_and_b64 vcc, exec, s[4:5]
	s_cbranch_vccz .LBB15_113
; %bb.112:                              ;   in Loop: Header=BB15_110 Depth=1
	v_add_u32_e32 v2, s33, v6
	v_mad_u64_u32 v[2:3], s[18:19], v2, s46, v[1:2]
	s_cbranch_execnz .LBB15_108
	s_branch .LBB15_107
.LBB15_113:                             ;   in Loop: Header=BB15_110 Depth=1
                                        ; implicit-def: $vgpr2
	s_branch .LBB15_107
.LBB15_114:
	s_or_b64 exec, exec, s[2:3]
	v_or_b32_e32 v2, v0, v1
	v_cmp_eq_u32_e32 vcc, 0, v2
	s_and_saveexec_b64 s[0:1], vcc
	s_cbranch_execz .LBB15_116
; %bb.115:
	s_add_u32 s2, s10, s6
	s_addc_u32 s3, s11, s7
	v_mov_b32_e32 v2, 0
	v_mov_b32_e32 v3, 1
	s_waitcnt vmcnt(0)
	global_store_dword v2, v3, s[2:3]
.LBB15_116:
	s_or_b64 exec, exec, s[0:1]
.LBB15_117:
	s_endpgm
.LBB15_118:
	s_cbranch_execz .LBB15_117
; %bb.119:
	v_or_b32_e32 v0, v0, v1
	v_cmp_eq_u32_e32 vcc, 0, v0
	s_and_saveexec_b64 s[0:1], vcc
	s_cbranch_execz .LBB15_117
; %bb.120:
	v_mbcnt_lo_u32_b32 v0, exec_lo, 0
	v_mbcnt_hi_u32_b32 v0, exec_hi, v0
	v_cmp_eq_u32_e32 vcc, 0, v0
	s_and_saveexec_b64 s[0:1], vcc
	s_cbranch_execz .LBB15_122
; %bb.121:
	s_add_i32 s2, s12, s13
	v_mov_b32_e32 v0, 0
	v_mov_b32_e32 v1, s2
	global_atomic_smin v0, v1, s[14:15]
.LBB15_122:
	s_or_b64 exec, exec, s[0:1]
	s_add_u32 s0, s10, s6
	s_addc_u32 s1, s11, s7
	v_mov_b32_e32 v0, 0
	v_mov_b32_e32 v1, 1
	s_waitcnt vmcnt(0)
	global_store_dword v0, v1, s[0:1]
	s_endpgm
	.section	.rodata,"a",@progbits
	.p2align	6, 0x0
	.amdhsa_kernel _ZN9rocsparseL19bsric0_17_32_kernelILi64ELi64ELi32EfEEv20rocsparse_direction_iiPKiS3_PT2_S3_PiS3_S6_21rocsparse_index_base_
		.amdhsa_group_segment_fixed_size 13440
		.amdhsa_private_segment_fixed_size 0
		.amdhsa_kernarg_size 76
		.amdhsa_user_sgpr_count 6
		.amdhsa_user_sgpr_private_segment_buffer 1
		.amdhsa_user_sgpr_dispatch_ptr 0
		.amdhsa_user_sgpr_queue_ptr 0
		.amdhsa_user_sgpr_kernarg_segment_ptr 1
		.amdhsa_user_sgpr_dispatch_id 0
		.amdhsa_user_sgpr_flat_scratch_init 0
		.amdhsa_user_sgpr_private_segment_size 0
		.amdhsa_uses_dynamic_stack 0
		.amdhsa_system_sgpr_private_segment_wavefront_offset 0
		.amdhsa_system_sgpr_workgroup_id_x 1
		.amdhsa_system_sgpr_workgroup_id_y 0
		.amdhsa_system_sgpr_workgroup_id_z 0
		.amdhsa_system_sgpr_workgroup_info 0
		.amdhsa_system_vgpr_workitem_id 1
		.amdhsa_next_free_vgpr 129
		.amdhsa_next_free_sgpr 98
		.amdhsa_reserve_vcc 1
		.amdhsa_reserve_flat_scratch 0
		.amdhsa_float_round_mode_32 0
		.amdhsa_float_round_mode_16_64 0
		.amdhsa_float_denorm_mode_32 3
		.amdhsa_float_denorm_mode_16_64 3
		.amdhsa_dx10_clamp 1
		.amdhsa_ieee_mode 1
		.amdhsa_fp16_overflow 0
		.amdhsa_exception_fp_ieee_invalid_op 0
		.amdhsa_exception_fp_denorm_src 0
		.amdhsa_exception_fp_ieee_div_zero 0
		.amdhsa_exception_fp_ieee_overflow 0
		.amdhsa_exception_fp_ieee_underflow 0
		.amdhsa_exception_fp_ieee_inexact 0
		.amdhsa_exception_int_div_zero 0
	.end_amdhsa_kernel
	.section	.text._ZN9rocsparseL19bsric0_17_32_kernelILi64ELi64ELi32EfEEv20rocsparse_direction_iiPKiS3_PT2_S3_PiS3_S6_21rocsparse_index_base_,"axG",@progbits,_ZN9rocsparseL19bsric0_17_32_kernelILi64ELi64ELi32EfEEv20rocsparse_direction_iiPKiS3_PT2_S3_PiS3_S6_21rocsparse_index_base_,comdat
.Lfunc_end15:
	.size	_ZN9rocsparseL19bsric0_17_32_kernelILi64ELi64ELi32EfEEv20rocsparse_direction_iiPKiS3_PT2_S3_PiS3_S6_21rocsparse_index_base_, .Lfunc_end15-_ZN9rocsparseL19bsric0_17_32_kernelILi64ELi64ELi32EfEEv20rocsparse_direction_iiPKiS3_PT2_S3_PiS3_S6_21rocsparse_index_base_
                                        ; -- End function
	.set _ZN9rocsparseL19bsric0_17_32_kernelILi64ELi64ELi32EfEEv20rocsparse_direction_iiPKiS3_PT2_S3_PiS3_S6_21rocsparse_index_base_.num_vgpr, 25
	.set _ZN9rocsparseL19bsric0_17_32_kernelILi64ELi64ELi32EfEEv20rocsparse_direction_iiPKiS3_PT2_S3_PiS3_S6_21rocsparse_index_base_.num_agpr, 0
	.set _ZN9rocsparseL19bsric0_17_32_kernelILi64ELi64ELi32EfEEv20rocsparse_direction_iiPKiS3_PT2_S3_PiS3_S6_21rocsparse_index_base_.numbered_sgpr, 56
	.set _ZN9rocsparseL19bsric0_17_32_kernelILi64ELi64ELi32EfEEv20rocsparse_direction_iiPKiS3_PT2_S3_PiS3_S6_21rocsparse_index_base_.num_named_barrier, 0
	.set _ZN9rocsparseL19bsric0_17_32_kernelILi64ELi64ELi32EfEEv20rocsparse_direction_iiPKiS3_PT2_S3_PiS3_S6_21rocsparse_index_base_.private_seg_size, 0
	.set _ZN9rocsparseL19bsric0_17_32_kernelILi64ELi64ELi32EfEEv20rocsparse_direction_iiPKiS3_PT2_S3_PiS3_S6_21rocsparse_index_base_.uses_vcc, 1
	.set _ZN9rocsparseL19bsric0_17_32_kernelILi64ELi64ELi32EfEEv20rocsparse_direction_iiPKiS3_PT2_S3_PiS3_S6_21rocsparse_index_base_.uses_flat_scratch, 0
	.set _ZN9rocsparseL19bsric0_17_32_kernelILi64ELi64ELi32EfEEv20rocsparse_direction_iiPKiS3_PT2_S3_PiS3_S6_21rocsparse_index_base_.has_dyn_sized_stack, 0
	.set _ZN9rocsparseL19bsric0_17_32_kernelILi64ELi64ELi32EfEEv20rocsparse_direction_iiPKiS3_PT2_S3_PiS3_S6_21rocsparse_index_base_.has_recursion, 0
	.set _ZN9rocsparseL19bsric0_17_32_kernelILi64ELi64ELi32EfEEv20rocsparse_direction_iiPKiS3_PT2_S3_PiS3_S6_21rocsparse_index_base_.has_indirect_call, 0
	.section	.AMDGPU.csdata,"",@progbits
; Kernel info:
; codeLenInByte = 3532
; TotalNumSgprs: 60
; NumVgprs: 25
; ScratchSize: 0
; MemoryBound: 0
; FloatMode: 240
; IeeeMode: 1
; LDSByteSize: 13440 bytes/workgroup (compile time only)
; SGPRBlocks: 12
; VGPRBlocks: 32
; NumSGPRsForWavesPerEU: 102
; NumVGPRsForWavesPerEU: 129
; Occupancy: 1
; WaveLimiterHint : 1
; COMPUTE_PGM_RSRC2:SCRATCH_EN: 0
; COMPUTE_PGM_RSRC2:USER_SGPR: 6
; COMPUTE_PGM_RSRC2:TRAP_HANDLER: 0
; COMPUTE_PGM_RSRC2:TGID_X_EN: 1
; COMPUTE_PGM_RSRC2:TGID_Y_EN: 0
; COMPUTE_PGM_RSRC2:TGID_Z_EN: 0
; COMPUTE_PGM_RSRC2:TIDIG_COMP_CNT: 1
	.section	.text._ZN9rocsparseL17bsric0_2_8_kernelILi64ELi128ELi8EfEEv20rocsparse_direction_iiPKiS3_PT2_S3_PiS3_S6_21rocsparse_index_base_,"axG",@progbits,_ZN9rocsparseL17bsric0_2_8_kernelILi64ELi128ELi8EfEEv20rocsparse_direction_iiPKiS3_PT2_S3_PiS3_S6_21rocsparse_index_base_,comdat
	.globl	_ZN9rocsparseL17bsric0_2_8_kernelILi64ELi128ELi8EfEEv20rocsparse_direction_iiPKiS3_PT2_S3_PiS3_S6_21rocsparse_index_base_ ; -- Begin function _ZN9rocsparseL17bsric0_2_8_kernelILi64ELi128ELi8EfEEv20rocsparse_direction_iiPKiS3_PT2_S3_PiS3_S6_21rocsparse_index_base_
	.p2align	8
	.type	_ZN9rocsparseL17bsric0_2_8_kernelILi64ELi128ELi8EfEEv20rocsparse_direction_iiPKiS3_PT2_S3_PiS3_S6_21rocsparse_index_base_,@function
_ZN9rocsparseL17bsric0_2_8_kernelILi64ELi128ELi8EfEEv20rocsparse_direction_iiPKiS3_PT2_S3_PiS3_S6_21rocsparse_index_base_: ; @_ZN9rocsparseL17bsric0_2_8_kernelILi64ELi128ELi8EfEEv20rocsparse_direction_iiPKiS3_PT2_S3_PiS3_S6_21rocsparse_index_base_
; %bb.0:
	s_load_dwordx8 s[8:15], s[4:5], 0x28
	s_mov_b32 s7, 0
	s_lshl_b64 s[0:1], s[6:7], 2
	s_waitcnt lgkmcnt(0)
	s_add_u32 s0, s12, s0
	s_addc_u32 s1, s13, s1
	s_load_dword s20, s[0:1], 0x0
	s_waitcnt lgkmcnt(0)
	s_ashr_i32 s21, s20, 31
	s_lshl_b64 s[12:13], s[20:21], 2
	s_add_u32 s0, s8, s12
	s_addc_u32 s1, s9, s13
	s_load_dword s40, s[0:1], 0x0
	s_load_dword s21, s[4:5], 0x48
	s_waitcnt lgkmcnt(0)
	s_cmp_lg_u32 s40, -1
	s_cbranch_scc0 .LBB16_79
; %bb.1:
	s_load_dwordx4 s[16:19], s[4:5], 0x10
	s_load_dwordx2 s[22:23], s[4:5], 0x20
	v_lshlrev_b32_e32 v2, 3, v1
	v_lshlrev_b32_e32 v5, 2, v0
	s_waitcnt lgkmcnt(0)
	s_add_u32 s0, s16, s12
	s_addc_u32 s1, s17, s13
	s_load_dword s0, s[0:1], 0x0
	s_waitcnt lgkmcnt(0)
	s_sub_i32 s41, s0, s21
	v_add3_u32 v2, v2, v0, s41
	v_cmp_ge_i32_e32 vcc, s40, v2
	s_and_saveexec_b64 s[0:1], vcc
	s_cbranch_execz .LBB16_4
; %bb.2:
	v_lshlrev_b32_e32 v3, 5, v1
	s_movk_i32 s2, 0x400
	v_add3_u32 v6, v3, v5, s2
	v_ashrrev_i32_e32 v3, 31, v2
	v_lshlrev_b64 v[3:4], 2, v[2:3]
	v_mov_b32_e32 v7, s19
	v_add_co_u32_e32 v3, vcc, s18, v3
	v_addc_co_u32_e32 v4, vcc, v7, v4, vcc
	s_mov_b64 s[2:3], 0
.LBB16_3:                               ; =>This Inner Loop Header: Depth=1
	global_load_dword v7, v[3:4], off
	v_add_co_u32_e32 v3, vcc, 0x100, v3
	v_add_u32_e32 v2, 64, v2
	v_addc_co_u32_e32 v4, vcc, 0, v4, vcc
	v_cmp_lt_i32_e32 vcc, s40, v2
	s_or_b64 s[2:3], vcc, s[2:3]
	s_waitcnt vmcnt(0)
	v_subrev_u32_e32 v7, s21, v7
	ds_write_b32 v6, v7
	v_add_u32_e32 v6, 0x100, v6
	s_andn2_b64 exec, exec, s[2:3]
	s_cbranch_execnz .LBB16_3
.LBB16_4:
	s_or_b64 exec, exec, s[0:1]
	s_load_dword s42, s[4:5], 0x0
	s_load_dword s33, s[4:5], 0x8
	v_mov_b32_e32 v2, 0x960
	v_mad_u32_u24 v8, v1, 36, v2
	v_lshl_add_u32 v7, v0, 2, v8
	v_mov_b32_e32 v9, 0
	s_cmp_ge_i32 s41, s40
	ds_write_b32 v7, v9
	s_waitcnt lgkmcnt(0)
	s_cbranch_scc1 .LBB16_57
; %bb.5:
	s_cmp_lg_u32 s42, 0
	s_cselect_b64 s[24:25], -1, 0
	s_cmp_eq_u32 s42, 0
	v_cmp_gt_i32_e64 s[0:1], s33, v0
	v_cmp_gt_i32_e64 s[2:3], s33, v1
	s_cselect_b64 vcc, -1, 0
	s_and_b64 s[26:27], s[0:1], s[2:3]
	v_mul_u32_u24_e32 v2, 36, v1
	s_movk_i32 s4, 0x600
	s_cmp_gt_i32 s33, 0
	v_mul_lo_u32 v13, s33, v0
	v_mul_lo_u32 v14, s33, v1
	v_mov_b32_e32 v3, 0x840
	v_add3_u32 v12, v2, v5, s4
	v_mov_b32_e32 v2, 0x720
	s_cselect_b64 s[6:7], -1, 0
	v_mad_u32_u24 v10, v1, 36, v3
	v_mad_u32_u24 v15, v1, 36, v2
	v_or_b32_e32 v2, v0, v1
	v_mad_u32_u24 v17, v0, 36, v3
	v_cndmask_b32_e64 v3, 0, 1, s[6:7]
	v_add_u32_e32 v11, v10, v5
	s_mul_i32 s43, s33, s33
	v_add_u32_e32 v16, v15, v5
	v_cmp_ne_u32_e64 s[4:5], 0, v2
	v_cndmask_b32_e32 v2, v1, v0, vcc
	v_cndmask_b32_e32 v18, v0, v1, vcc
	v_mov_b32_e32 v19, 0
	v_cmp_ne_u32_e64 s[6:7], 1, v3
	s_mov_b32 s28, s41
	s_branch .LBB16_7
.LBB16_6:                               ;   in Loop: Header=BB16_7 Depth=1
	s_or_b64 exec, exec, s[30:31]
	s_add_i32 s28, s28, 1
	s_cmp_ge_i32 s28, s40
	s_cselect_b64 s[30:31], -1, 0
	s_waitcnt vmcnt(0)
	buffer_wbinvl1_vol
	s_and_b64 vcc, exec, s[30:31]
	s_cbranch_vccnz .LBB16_57
.LBB16_7:                               ; =>This Loop Header: Depth=1
                                        ;     Child Loop BB16_12 Depth 2
                                        ;     Child Loop BB16_23 Depth 2
	;; [unrolled: 1-line block ×4, first 2 shown]
                                        ;       Child Loop BB16_53 Depth 3
	s_ashr_i32 s29, s28, 31
	s_lshl_b64 s[30:31], s[28:29], 2
	s_add_u32 s30, s18, s30
	s_addc_u32 s31, s19, s31
	s_load_dword s29, s[30:31], 0x0
	s_waitcnt lgkmcnt(0)
	s_sub_i32 s34, s29, s21
	s_ashr_i32 s35, s34, 31
	s_lshl_b64 s[30:31], s[34:35], 2
	s_add_u32 s36, s8, s30
	s_addc_u32 s37, s9, s31
	s_load_dword s35, s[36:37], 0x0
	s_waitcnt lgkmcnt(0)
	s_cmp_eq_u32 s35, -1
	s_cbranch_scc1 .LBB16_56
; %bb.8:                                ;   in Loop: Header=BB16_7 Depth=1
	s_add_u32 s36, s16, s30
	s_mul_i32 s38, s28, s33
	s_addc_u32 s37, s17, s31
	v_mov_b32_e32 v3, 0
	v_add_u32_e32 v20, s38, v18
	s_and_saveexec_b64 s[38:39], s[26:27]
	s_cbranch_execz .LBB16_10
; %bb.9:                                ;   in Loop: Header=BB16_7 Depth=1
	v_mad_u64_u32 v[3:4], s[44:45], v20, s33, v[2:3]
	v_mov_b32_e32 v5, s23
	v_ashrrev_i32_e32 v4, 31, v3
	v_lshlrev_b64 v[3:4], 2, v[3:4]
	v_add_co_u32_e32 v3, vcc, s22, v3
	v_addc_co_u32_e32 v4, vcc, v5, v4, vcc
	global_load_dword v3, v[3:4], off
.LBB16_10:                              ;   in Loop: Header=BB16_7 Depth=1
	s_or_b64 exec, exec, s[38:39]
	s_load_dword s36, s[36:37], 0x0
	ds_read_b32 v4, v19 offset:1024
	s_mov_b32 s37, 0
	s_waitcnt vmcnt(0)
	ds_write_b32 v11, v3
	s_waitcnt lgkmcnt(0)
	s_sub_i32 s36, s36, s21
	s_cmp_le_i32 s36, s35
	v_cmp_ge_i32_e32 vcc, s34, v4
	s_cselect_b64 s[38:39], -1, 0
	s_and_b64 s[38:39], s[38:39], vcc
	s_andn2_b64 vcc, exec, s[38:39]
	s_cbranch_vccnz .LBB16_22
; %bb.11:                               ;   in Loop: Header=BB16_7 Depth=1
	s_mov_b32 s44, 0
	s_mov_b32 s45, 0
.LBB16_12:                              ;   Parent Loop BB16_7 Depth=1
                                        ; =>  This Inner Loop Header: Depth=2
	s_ashr_i32 s37, s36, 31
	s_lshl_b64 s[38:39], s[36:37], 2
	s_add_u32 s38, s18, s38
	s_addc_u32 s39, s19, s39
	s_load_dword s37, s[38:39], 0x0
	s_lshl_b32 s38, s45, 2
	v_mov_b32_e32 v3, s38
	ds_read_b32 v3, v3 offset:1024
	s_mov_b64 s[38:39], -1
	s_waitcnt lgkmcnt(0)
	s_sub_i32 s49, s37, s21
                                        ; implicit-def: $sgpr37
                                        ; implicit-def: $sgpr48
                                        ; implicit-def: $sgpr47
	v_cmp_ge_i32_e32 vcc, s49, v3
	v_readfirstlane_b32 s46, v3
	s_cbranch_vccz .LBB16_18
; %bb.13:                               ;   in Loop: Header=BB16_12 Depth=2
	s_cmp_le_i32 s49, s46
                                        ; implicit-def: $sgpr37
                                        ; implicit-def: $sgpr48
                                        ; implicit-def: $sgpr47
	s_cbranch_scc0 .LBB16_15
; %bb.14:                               ;   in Loop: Header=BB16_12 Depth=2
	s_add_i32 s37, s45, s41
	s_mul_i32 s37, s37, s43
	s_lshl_b32 s38, s44, 2
	v_mov_b32_e32 v4, s37
	s_mul_i32 s37, s36, s43
	v_mov_b32_e32 v3, s38
	v_mov_b32_e32 v5, s37
	ds_write2st64_b32 v3, v5, v4 offset1:2
	s_add_i32 s47, s45, 1
	s_add_i32 s48, s36, 1
	s_add_i32 s37, s44, 1
	s_mov_b64 s[38:39], 0
.LBB16_15:                              ;   in Loop: Header=BB16_12 Depth=2
	s_andn2_b64 vcc, exec, s[38:39]
	s_cbranch_vccnz .LBB16_17
; %bb.16:                               ;   in Loop: Header=BB16_12 Depth=2
	s_add_i32 s47, s45, 1
	s_mov_b32 s37, s44
	s_mov_b32 s48, s36
.LBB16_17:                              ;   in Loop: Header=BB16_12 Depth=2
	s_mov_b64 s[38:39], 0
.LBB16_18:                              ;   in Loop: Header=BB16_12 Depth=2
	s_andn2_b64 vcc, exec, s[38:39]
	s_cbranch_vccnz .LBB16_20
; %bb.19:                               ;   in Loop: Header=BB16_12 Depth=2
	s_add_i32 s48, s36, 1
	s_mov_b32 s47, s45
	s_mov_b32 s37, s44
.LBB16_20:                              ;   in Loop: Header=BB16_12 Depth=2
	s_cmp_le_i32 s48, s35
	s_cselect_b64 s[38:39], -1, 0
	s_cmp_le_i32 s46, s34
	s_cselect_b64 s[44:45], -1, 0
	s_and_b64 s[38:39], s[38:39], s[44:45]
	s_and_b64 vcc, exec, s[38:39]
	s_cbranch_vccz .LBB16_22
; %bb.21:                               ;   in Loop: Header=BB16_12 Depth=2
	s_mov_b32 s44, s37
	s_mov_b32 s36, s48
	s_mov_b32 s45, s47
	s_branch .LBB16_12
.LBB16_22:                              ;   in Loop: Header=BB16_7 Depth=1
	s_add_u32 s30, s10, s30
	s_addc_u32 s31, s11, s31
	s_waitcnt lgkmcnt(0)
.LBB16_23:                              ;   Parent Loop BB16_7 Depth=1
                                        ; =>  This Inner Loop Header: Depth=2
	global_load_dword v3, v19, s[30:31] glc
	s_waitcnt vmcnt(0)
	v_cmp_eq_u32_e32 vcc, 0, v3
	s_cbranch_vccnz .LBB16_23
; %bb.24:                               ;   in Loop: Header=BB16_7 Depth=1
	v_mov_b32_e32 v4, 0
	v_mov_b32_e32 v3, 0
	buffer_wbinvl1_vol
	s_and_saveexec_b64 s[30:31], s[26:27]
	s_cbranch_execz .LBB16_26
; %bb.25:                               ;   in Loop: Header=BB16_7 Depth=1
	s_mul_i32 s35, s35, s33
	v_add_u32_e32 v3, s35, v18
	v_mad_u64_u32 v[5:6], s[34:35], v3, s33, v[2:3]
	v_mov_b32_e32 v3, s23
	v_ashrrev_i32_e32 v6, 31, v5
	v_lshlrev_b64 v[5:6], 2, v[5:6]
	v_add_co_u32_e32 v5, vcc, s22, v5
	v_addc_co_u32_e32 v6, vcc, v3, v6, vcc
	global_load_dword v3, v[5:6], off
.LBB16_26:                              ;   in Loop: Header=BB16_7 Depth=1
	s_or_b64 exec, exec, s[30:31]
	s_cmp_lt_i32 s37, 2
	s_waitcnt vmcnt(0)
	ds_write_b32 v12, v3
	s_waitcnt lgkmcnt(0)
	s_cbranch_scc1 .LBB16_45
; %bb.27:                               ;   in Loop: Header=BB16_7 Depth=1
	s_add_i32 s34, s37, -2
	s_mov_b32 s35, 0
	v_mov_b32_e32 v21, 0
	s_and_b64 vcc, exec, s[6:7]
	s_cbranch_vccz .LBB16_30
	s_branch .LBB16_29
.LBB16_28:                              ;   in Loop: Header=BB16_7 Depth=1
	v_mov_b32_e32 v21, v4
	s_mov_b32 s35, s30
	s_and_b64 vcc, exec, s[6:7]
	s_cbranch_vccz .LBB16_30
.LBB16_29:                              ;   in Loop: Header=BB16_7 Depth=1
	v_mov_b32_e32 v4, v21
	s_branch .LBB16_44
.LBB16_30:                              ;   in Loop: Header=BB16_7 Depth=1
	s_lshl_b32 s30, s35, 2
	v_mov_b32_e32 v3, s30
	ds_read2st64_b32 v[4:5], v3 offset1:2
	s_mov_b32 s36, 0
	s_waitcnt lgkmcnt(0)
	v_add_u32_e32 v22, v4, v13
	v_add_u32_e32 v23, v5, v14
	;; [unrolled: 1-line block ×4, first 2 shown]
	s_mov_b64 s[30:31], -1
	s_and_b64 vcc, exec, s[24:25]
                                        ; implicit-def: $vgpr4
	s_cbranch_vccz .LBB16_37
	s_branch .LBB16_32
.LBB16_31:                              ;   in Loop: Header=BB16_37 Depth=2
	v_mov_b32_e32 v21, v4
	s_mov_b64 s[30:31], -1
	s_and_b64 vcc, exec, s[24:25]
                                        ; implicit-def: $vgpr4
	s_cbranch_vccz .LBB16_37
.LBB16_32:                              ;   in Loop: Header=BB16_7 Depth=1
	v_mov_b32_e32 v4, 0
	v_mov_b32_e32 v6, 0
	s_and_saveexec_b64 s[30:31], s[0:1]
	s_cbranch_execz .LBB16_34
; %bb.33:                               ;   in Loop: Header=BB16_7 Depth=1
	v_ashrrev_i32_e32 v6, 31, v5
	v_lshlrev_b64 v[24:25], 2, v[5:6]
	v_mov_b32_e32 v6, s23
	v_add_co_u32_e32 v24, vcc, s22, v24
	v_addc_co_u32_e32 v25, vcc, v6, v25, vcc
	global_load_dword v6, v[24:25], off
.LBB16_34:                              ;   in Loop: Header=BB16_7 Depth=1
	s_or_b64 exec, exec, s[30:31]
	s_and_saveexec_b64 s[30:31], s[2:3]
	s_cbranch_execz .LBB16_36
; %bb.35:                               ;   in Loop: Header=BB16_7 Depth=1
	v_ashrrev_i32_e32 v4, 31, v3
	v_lshlrev_b64 v[24:25], 2, v[3:4]
	v_mov_b32_e32 v4, s23
	v_add_co_u32_e32 v24, vcc, s22, v24
	v_addc_co_u32_e32 v25, vcc, v4, v25, vcc
	global_load_dword v4, v[24:25], off
.LBB16_36:                              ;   in Loop: Header=BB16_7 Depth=1
	s_or_b64 exec, exec, s[30:31]
	s_waitcnt vmcnt(0)
	v_fma_f32 v4, v6, v4, v21
	s_mov_b64 s[30:31], 0
.LBB16_37:                              ;   Parent Loop BB16_7 Depth=1
                                        ; =>  This Inner Loop Header: Depth=2
	s_and_b64 vcc, exec, s[30:31]
	s_cbranch_vccz .LBB16_43
; %bb.38:                               ;   in Loop: Header=BB16_37 Depth=2
	v_mov_b32_e32 v4, 0
	v_mov_b32_e32 v6, 0
	s_and_saveexec_b64 s[30:31], s[0:1]
	s_cbranch_execz .LBB16_40
; %bb.39:                               ;   in Loop: Header=BB16_37 Depth=2
	v_add_u32_e32 v24, s36, v22
	v_ashrrev_i32_e32 v25, 31, v24
	v_lshlrev_b64 v[24:25], 2, v[24:25]
	v_mov_b32_e32 v6, s23
	v_add_co_u32_e32 v24, vcc, s22, v24
	v_addc_co_u32_e32 v25, vcc, v6, v25, vcc
	global_load_dword v6, v[24:25], off
.LBB16_40:                              ;   in Loop: Header=BB16_37 Depth=2
	s_or_b64 exec, exec, s[30:31]
	s_and_saveexec_b64 s[30:31], s[2:3]
	s_cbranch_execz .LBB16_42
; %bb.41:                               ;   in Loop: Header=BB16_37 Depth=2
	v_add_u32_e32 v24, s36, v23
	v_ashrrev_i32_e32 v25, 31, v24
	v_lshlrev_b64 v[24:25], 2, v[24:25]
	v_mov_b32_e32 v4, s23
	v_add_co_u32_e32 v24, vcc, s22, v24
	v_addc_co_u32_e32 v25, vcc, v4, v25, vcc
	global_load_dword v4, v[24:25], off
.LBB16_42:                              ;   in Loop: Header=BB16_37 Depth=2
	s_or_b64 exec, exec, s[30:31]
	s_waitcnt vmcnt(0)
	v_fmac_f32_e32 v21, v6, v4
	v_mov_b32_e32 v4, v21
.LBB16_43:                              ;   in Loop: Header=BB16_37 Depth=2
	s_add_i32 s36, s36, 1
	v_add_u32_e32 v3, s33, v3
	s_cmp_eq_u32 s33, s36
	v_add_u32_e32 v5, s33, v5
	s_cbranch_scc0 .LBB16_31
.LBB16_44:                              ;   in Loop: Header=BB16_7 Depth=1
	s_add_i32 s30, s35, 1
	s_cmp_eq_u32 s35, s34
	s_cbranch_scc0 .LBB16_28
.LBB16_45:                              ;   in Loop: Header=BB16_7 Depth=1
	s_and_b64 vcc, exec, s[6:7]
	ds_write_b32 v16, v4
	s_waitcnt lgkmcnt(0)
	s_cbranch_vccnz .LBB16_54
; %bb.46:                               ;   in Loop: Header=BB16_7 Depth=1
	s_mov_b32 s36, 0
	s_movk_i32 s37, 0x600
	s_branch .LBB16_48
.LBB16_47:                              ;   in Loop: Header=BB16_48 Depth=2
	s_waitcnt lgkmcnt(0)
	v_sub_f32_e32 v5, v5, v6
	v_div_scale_f32 v6, s[30:31], v4, v4, v5
	v_div_scale_f32 v21, vcc, v5, v4, v5
	s_add_i32 s37, s37, 36
	v_rcp_f32_e32 v22, v6
	v_fma_f32 v23, -v6, v22, 1.0
	v_fmac_f32_e32 v22, v23, v22
	v_mul_f32_e32 v23, v21, v22
	v_fma_f32 v24, -v6, v23, v21
	v_fmac_f32_e32 v23, v24, v22
	v_fma_f32 v6, -v6, v23, v21
	v_div_fmas_f32 v6, v6, v22, v23
	v_lshl_add_u32 v21, s36, 2, v17
	s_add_i32 s36, s36, 1
	s_cmp_eq_u32 s36, s33
	v_div_fixup_f32 v4, v6, v4, v5
	ds_write_b32 v3, v4
	s_waitcnt lgkmcnt(0)
	ds_read_b32 v3, v21
	ds_read_b32 v5, v7
	s_waitcnt lgkmcnt(0)
	v_fmac_f32_e32 v5, v4, v3
	ds_write_b32 v7, v5
	s_waitcnt lgkmcnt(0)
	s_cbranch_scc1 .LBB16_54
.LBB16_48:                              ;   Parent Loop BB16_7 Depth=1
                                        ; =>  This Loop Header: Depth=2
                                        ;       Child Loop BB16_53 Depth 3
	s_lshl_b32 s30, s36, 2
	s_mul_i32 s31, s36, 36
	s_add_i32 s31, s31, s30
	v_mov_b32_e32 v3, s31
	ds_read_b32 v4, v3 offset:1536
	v_add_u32_e32 v3, s30, v10
	ds_read_b32 v5, v3
	s_waitcnt lgkmcnt(1)
	v_cmp_neq_f32_e32 vcc, 0, v4
	v_cndmask_b32_e32 v4, 1.0, v4, vcc
	s_nor_b64 s[34:35], vcc, s[4:5]
	s_and_saveexec_b64 s[30:31], s[34:35]
	s_cbranch_execz .LBB16_52
; %bb.49:                               ;   in Loop: Header=BB16_48 Depth=2
	v_mbcnt_lo_u32_b32 v4, exec_lo, 0
	v_mbcnt_hi_u32_b32 v4, exec_hi, v4
	v_cmp_eq_u32_e32 vcc, 0, v4
	s_and_saveexec_b64 s[34:35], vcc
	s_cbranch_execz .LBB16_51
; %bb.50:                               ;   in Loop: Header=BB16_48 Depth=2
	v_mov_b32_e32 v4, s29
	global_atomic_smin v19, v4, s[14:15]
.LBB16_51:                              ;   in Loop: Header=BB16_48 Depth=2
	s_or_b64 exec, exec, s[34:35]
	v_mov_b32_e32 v4, 1.0
.LBB16_52:                              ;   in Loop: Header=BB16_48 Depth=2
	s_or_b64 exec, exec, s[30:31]
	v_lshl_add_u32 v6, s36, 2, v15
	ds_read_b32 v6, v6
	s_cmp_eq_u32 s36, 0
	v_mov_b32_e32 v21, v10
	s_mov_b32 s30, s37
	s_mov_b32 s31, s36
	s_cbranch_scc1 .LBB16_47
.LBB16_53:                              ;   Parent Loop BB16_7 Depth=1
                                        ;     Parent Loop BB16_48 Depth=2
                                        ; =>    This Inner Loop Header: Depth=3
	v_mov_b32_e32 v22, s30
	ds_read_b32 v23, v21
	ds_read_b32 v22, v22
	s_add_i32 s31, s31, -1
	s_add_i32 s30, s30, 4
	v_add_u32_e32 v21, 4, v21
	s_cmp_eq_u32 s31, 0
	s_waitcnt lgkmcnt(0)
	v_fmac_f32_e32 v6, v22, v23
	s_cbranch_scc0 .LBB16_53
	s_branch .LBB16_47
.LBB16_54:                              ;   in Loop: Header=BB16_7 Depth=1
	s_and_saveexec_b64 s[30:31], s[26:27]
	s_cbranch_execz .LBB16_6
; %bb.55:                               ;   in Loop: Header=BB16_7 Depth=1
	v_mad_u64_u32 v[3:4], s[34:35], v20, s33, v[2:3]
	ds_read_b32 v5, v11
	v_mov_b32_e32 v6, s23
	v_ashrrev_i32_e32 v4, 31, v3
	v_lshlrev_b64 v[3:4], 2, v[3:4]
	v_add_co_u32_e32 v3, vcc, s22, v3
	v_addc_co_u32_e32 v4, vcc, v6, v4, vcc
	s_waitcnt lgkmcnt(0)
	global_store_dword v[3:4], v5, off
	s_branch .LBB16_6
.LBB16_56:                              ;   in Loop: Header=BB16_7 Depth=1
                                        ; implicit-def: $sgpr28
	s_cbranch_execz .LBB16_7
.LBB16_57:
	s_cmp_eq_u32 s42, 0
	s_cselect_b64 vcc, -1, 0
	v_max_i32_e32 v2, v0, v1
	v_cndmask_b32_e32 v3, v0, v1, vcc
	s_mul_i32 s40, s40, s33
	v_cmp_gt_i32_e64 s[0:1], s33, v2
	v_cndmask_b32_e32 v2, v1, v0, vcc
	v_add_u32_e32 v3, s40, v3
	s_and_saveexec_b64 s[2:3], s[0:1]
	s_cbranch_execz .LBB16_59
; %bb.58:
	v_mad_u64_u32 v[4:5], s[4:5], v3, s33, v[2:3]
	v_mov_b32_e32 v6, s23
	v_ashrrev_i32_e32 v5, 31, v4
	v_lshlrev_b64 v[4:5], 2, v[4:5]
	v_add_co_u32_e32 v4, vcc, s22, v4
	v_addc_co_u32_e32 v5, vcc, v6, v5, vcc
	global_load_dword v9, v[4:5], off
.LBB16_59:
	s_or_b64 exec, exec, s[2:3]
	v_mov_b32_e32 v4, 0x840
	v_mad_u32_u24 v5, v1, 36, v4
	v_lshl_add_u32 v4, v0, 2, v5
	s_cmp_lt_i32 s33, 1
	s_waitcnt vmcnt(0)
	ds_write_b32 v4, v9
	s_waitcnt lgkmcnt(0)
	s_cbranch_scc1 .LBB16_92
; %bb.60:
	v_or_b32_e32 v6, v0, v1
	s_add_i32 s8, s20, s21
	v_lshlrev_b32_e32 v9, 2, v1
	s_mov_b32 s9, 0
	v_cmp_ne_u32_e64 s[2:3], 0, v6
	v_add_u32_e32 v6, v5, v9
	s_cmp_eq_u32 s33, 1
	v_add_u32_e32 v9, v8, v9
	s_cbranch_scc1 .LBB16_82
; %bb.61:
	v_mov_b32_e32 v10, 0x840
	s_and_b32 s9, s33, 0x7ffffffe
	s_movk_i32 s16, 0x840
	v_mad_u32_u24 v10, v0, 36, v10
	s_mov_b32 s4, 0
	s_mov_b32 s17, 0xf800000
	v_mov_b32_e32 v11, 0x260
	v_mov_b32_e32 v12, 0
	;; [unrolled: 1-line block ×3, first 2 shown]
	s_branch .LBB16_63
.LBB16_62:                              ;   in Loop: Header=BB16_63 Depth=1
	s_or_b64 exec, exec, s[4:5]
	s_addk_i32 s16, 0x50
	s_add_i32 s4, s19, 1
	v_add_u32_e32 v10, 8, v10
	s_cmp_eq_u32 s4, s9
	v_add_u32_e32 v13, 8, v13
	s_waitcnt lgkmcnt(0)
	s_cbranch_scc1 .LBB16_81
.LBB16_63:                              ; =>This Inner Loop Header: Depth=1
	s_mov_b32 s18, s4
	v_cmp_eq_u32_e32 vcc, s18, v1
	s_and_saveexec_b64 s[6:7], vcc
	s_cbranch_execz .LBB16_65
; %bb.64:                               ;   in Loop: Header=BB16_63 Depth=1
	ds_read_b32 v14, v6
	ds_read_b32 v15, v9
	s_waitcnt lgkmcnt(0)
	v_sub_f32_e32 v14, v14, v15
	v_cmp_gt_f32_e32 vcc, 0, v14
	v_cndmask_b32_e64 v14, v14, -v14, vcc
	v_mul_f32_e32 v15, 0x4f800000, v14
	v_cmp_gt_f32_e32 vcc, s17, v14
	v_cndmask_b32_e32 v14, v14, v15, vcc
	v_sqrt_f32_e32 v15, v14
	v_add_u32_e32 v16, -1, v15
	v_add_u32_e32 v17, 1, v15
	v_fma_f32 v18, -v16, v15, v14
	v_fma_f32 v19, -v17, v15, v14
	v_cmp_ge_f32_e64 s[4:5], 0, v18
	v_cndmask_b32_e64 v15, v15, v16, s[4:5]
	v_cmp_lt_f32_e64 s[4:5], 0, v19
	v_cndmask_b32_e64 v15, v15, v17, s[4:5]
	v_mul_f32_e32 v16, 0x37800000, v15
	v_cndmask_b32_e32 v15, v15, v16, vcc
	v_cmp_class_f32_e32 vcc, v14, v11
	v_cndmask_b32_e32 v14, v15, v14, vcc
	ds_write_b32 v6, v14
.LBB16_65:                              ;   in Loop: Header=BB16_63 Depth=1
	s_or_b64 exec, exec, s[6:7]
	v_mov_b32_e32 v14, s16
	s_waitcnt lgkmcnt(0)
	ds_read_b32 v14, v14
	s_waitcnt lgkmcnt(0)
	v_cmp_neq_f32_e32 vcc, 0, v14
	v_cndmask_b32_e32 v14, 1.0, v14, vcc
	s_nor_b64 s[6:7], vcc, s[2:3]
	s_and_saveexec_b64 s[4:5], s[6:7]
	s_cbranch_execz .LBB16_69
; %bb.66:                               ;   in Loop: Header=BB16_63 Depth=1
	v_mbcnt_lo_u32_b32 v14, exec_lo, 0
	v_mbcnt_hi_u32_b32 v14, exec_hi, v14
	v_cmp_eq_u32_e32 vcc, 0, v14
	s_and_saveexec_b64 s[6:7], vcc
	s_cbranch_execz .LBB16_68
; %bb.67:                               ;   in Loop: Header=BB16_63 Depth=1
	v_mov_b32_e32 v14, s8
	global_atomic_smin v12, v14, s[14:15]
.LBB16_68:                              ;   in Loop: Header=BB16_63 Depth=1
	s_or_b64 exec, exec, s[6:7]
	v_mov_b32_e32 v14, 1.0
.LBB16_69:                              ;   in Loop: Header=BB16_63 Depth=1
	s_or_b64 exec, exec, s[4:5]
	v_cmp_lt_u32_e32 vcc, s18, v1
	s_and_saveexec_b64 s[4:5], vcc
	s_cbranch_execz .LBB16_71
; %bb.70:                               ;   in Loop: Header=BB16_63 Depth=1
	ds_read2_b32 v[15:16], v13 offset1:72
	s_waitcnt lgkmcnt(0)
	v_sub_f32_e32 v15, v15, v16
	v_div_scale_f32 v16, s[6:7], v14, v14, v15
	v_div_scale_f32 v17, vcc, v15, v14, v15
	v_rcp_f32_e32 v18, v16
	v_fma_f32 v19, -v16, v18, 1.0
	v_fmac_f32_e32 v18, v19, v18
	v_mul_f32_e32 v19, v17, v18
	v_fma_f32 v20, -v16, v19, v17
	v_fmac_f32_e32 v19, v20, v18
	v_fma_f32 v16, -v16, v19, v17
	v_div_fmas_f32 v16, v16, v18, v19
	v_div_fixup_f32 v14, v16, v14, v15
	ds_write_b32 v13, v14
	s_waitcnt lgkmcnt(0)
	ds_read_b32 v15, v10
	ds_read_b32 v16, v7
	s_waitcnt lgkmcnt(0)
	v_fmac_f32_e32 v16, v14, v15
	ds_write_b32 v7, v16
.LBB16_71:                              ;   in Loop: Header=BB16_63 Depth=1
	s_or_b64 exec, exec, s[4:5]
	s_add_i32 s19, s18, 1
	v_cmp_eq_u32_e32 vcc, s19, v1
	s_waitcnt lgkmcnt(0)
	s_and_saveexec_b64 s[6:7], vcc
	s_cbranch_execz .LBB16_73
; %bb.72:                               ;   in Loop: Header=BB16_63 Depth=1
	ds_read_b32 v14, v6
	ds_read_b32 v15, v9
	s_waitcnt lgkmcnt(0)
	v_sub_f32_e32 v14, v14, v15
	v_cmp_gt_f32_e32 vcc, 0, v14
	v_cndmask_b32_e64 v14, v14, -v14, vcc
	v_mul_f32_e32 v15, 0x4f800000, v14
	v_cmp_gt_f32_e32 vcc, s17, v14
	v_cndmask_b32_e32 v14, v14, v15, vcc
	v_sqrt_f32_e32 v15, v14
	v_add_u32_e32 v16, -1, v15
	v_add_u32_e32 v17, 1, v15
	v_fma_f32 v18, -v16, v15, v14
	v_fma_f32 v19, -v17, v15, v14
	v_cmp_ge_f32_e64 s[4:5], 0, v18
	v_cndmask_b32_e64 v15, v15, v16, s[4:5]
	v_cmp_lt_f32_e64 s[4:5], 0, v19
	v_cndmask_b32_e64 v15, v15, v17, s[4:5]
	v_mul_f32_e32 v16, 0x37800000, v15
	v_cndmask_b32_e32 v15, v15, v16, vcc
	v_cmp_class_f32_e32 vcc, v14, v11
	v_cndmask_b32_e32 v14, v15, v14, vcc
	ds_write_b32 v6, v14
.LBB16_73:                              ;   in Loop: Header=BB16_63 Depth=1
	s_or_b64 exec, exec, s[6:7]
	v_mov_b32_e32 v14, s16
	s_waitcnt lgkmcnt(0)
	ds_read_b32 v14, v14 offset:40
	s_waitcnt lgkmcnt(0)
	v_cmp_neq_f32_e32 vcc, 0, v14
	v_cndmask_b32_e32 v14, 1.0, v14, vcc
	s_nor_b64 s[6:7], vcc, s[2:3]
	s_and_saveexec_b64 s[4:5], s[6:7]
	s_cbranch_execz .LBB16_77
; %bb.74:                               ;   in Loop: Header=BB16_63 Depth=1
	v_mbcnt_lo_u32_b32 v14, exec_lo, 0
	v_mbcnt_hi_u32_b32 v14, exec_hi, v14
	v_cmp_eq_u32_e32 vcc, 0, v14
	s_and_saveexec_b64 s[6:7], vcc
	s_cbranch_execz .LBB16_76
; %bb.75:                               ;   in Loop: Header=BB16_63 Depth=1
	v_mov_b32_e32 v14, s8
	global_atomic_smin v12, v14, s[14:15]
.LBB16_76:                              ;   in Loop: Header=BB16_63 Depth=1
	s_or_b64 exec, exec, s[6:7]
	v_mov_b32_e32 v14, 1.0
.LBB16_77:                              ;   in Loop: Header=BB16_63 Depth=1
	s_or_b64 exec, exec, s[4:5]
	v_cmp_lt_u32_e32 vcc, s19, v1
	s_and_saveexec_b64 s[4:5], vcc
	s_cbranch_execz .LBB16_62
; %bb.78:                               ;   in Loop: Header=BB16_63 Depth=1
	ds_read2_b32 v[15:16], v13 offset0:1 offset1:73
	s_waitcnt lgkmcnt(0)
	v_sub_f32_e32 v15, v15, v16
	v_div_scale_f32 v16, s[6:7], v14, v14, v15
	v_div_scale_f32 v17, vcc, v15, v14, v15
	v_rcp_f32_e32 v18, v16
	v_fma_f32 v19, -v16, v18, 1.0
	v_fmac_f32_e32 v18, v19, v18
	v_mul_f32_e32 v19, v17, v18
	v_fma_f32 v20, -v16, v19, v17
	v_fmac_f32_e32 v19, v20, v18
	v_fma_f32 v16, -v16, v19, v17
	v_div_fmas_f32 v16, v16, v18, v19
	v_div_fixup_f32 v14, v16, v14, v15
	ds_write_b32 v13, v14 offset:4
	s_waitcnt lgkmcnt(0)
	ds_read_b32 v15, v10 offset:4
	ds_read_b32 v16, v7
	s_waitcnt lgkmcnt(0)
	v_fmac_f32_e32 v16, v14, v15
	ds_write_b32 v7, v16
	s_branch .LBB16_62
.LBB16_79:
	s_cbranch_execnz .LBB16_97
.LBB16_80:
	s_endpgm
.LBB16_81:
	s_add_i32 s9, s18, 2
.LBB16_82:
	s_bitcmp0_b32 s33, 0
	s_cbranch_scc1 .LBB16_92
; %bb.83:
	v_cmp_eq_u32_e32 vcc, s9, v1
	s_and_saveexec_b64 s[6:7], vcc
	s_cbranch_execz .LBB16_85
; %bb.84:
	ds_read_b32 v10, v6
	ds_read_b32 v9, v9
	s_mov_b32 s4, 0xf800000
	s_waitcnt lgkmcnt(0)
	v_sub_f32_e32 v9, v10, v9
	v_cmp_gt_f32_e32 vcc, 0, v9
	v_cndmask_b32_e64 v9, v9, -v9, vcc
	v_mul_f32_e32 v10, 0x4f800000, v9
	v_cmp_gt_f32_e32 vcc, s4, v9
	v_cndmask_b32_e32 v9, v9, v10, vcc
	v_sqrt_f32_e32 v10, v9
	v_add_u32_e32 v11, -1, v10
	v_add_u32_e32 v12, 1, v10
	v_fma_f32 v13, -v11, v10, v9
	v_fma_f32 v14, -v12, v10, v9
	v_cmp_ge_f32_e64 s[4:5], 0, v13
	v_cndmask_b32_e64 v10, v10, v11, s[4:5]
	v_cmp_lt_f32_e64 s[4:5], 0, v14
	v_cndmask_b32_e64 v10, v10, v12, s[4:5]
	v_mul_f32_e32 v11, 0x37800000, v10
	v_cndmask_b32_e32 v10, v10, v11, vcc
	v_mov_b32_e32 v11, 0x260
	v_cmp_class_f32_e32 vcc, v9, v11
	v_cndmask_b32_e32 v9, v10, v9, vcc
	ds_write_b32 v6, v9
.LBB16_85:
	s_or_b64 exec, exec, s[6:7]
	s_mul_i32 s4, s9, 36
	s_lshl_b32 s6, s9, 2
	s_add_i32 s4, s4, s6
	v_mov_b32_e32 v6, s4
	s_waitcnt lgkmcnt(0)
	ds_read_b32 v6, v6 offset:2112
	s_waitcnt lgkmcnt(0)
	v_cmp_neq_f32_e32 vcc, 0, v6
	v_cndmask_b32_e32 v6, 1.0, v6, vcc
	s_nor_b64 s[4:5], vcc, s[2:3]
	s_and_saveexec_b64 s[2:3], s[4:5]
	s_cbranch_execz .LBB16_89
; %bb.86:
	v_mbcnt_lo_u32_b32 v6, exec_lo, 0
	v_mbcnt_hi_u32_b32 v6, exec_hi, v6
	v_cmp_eq_u32_e32 vcc, 0, v6
	s_and_saveexec_b64 s[4:5], vcc
	s_cbranch_execz .LBB16_88
; %bb.87:
	v_mov_b32_e32 v6, 0
	v_mov_b32_e32 v9, s8
	global_atomic_smin v6, v9, s[14:15]
.LBB16_88:
	s_or_b64 exec, exec, s[4:5]
	v_mov_b32_e32 v6, 1.0
.LBB16_89:
	s_or_b64 exec, exec, s[2:3]
	v_cmp_lt_u32_e32 vcc, s9, v1
	s_and_saveexec_b64 s[2:3], vcc
	s_cbranch_execz .LBB16_91
; %bb.90:
	v_add_u32_e32 v5, s6, v5
	v_add_u32_e32 v8, s6, v8
	ds_read_b32 v9, v5
	ds_read_b32 v8, v8
	s_waitcnt lgkmcnt(0)
	v_sub_f32_e32 v8, v9, v8
	v_div_scale_f32 v9, s[4:5], v6, v6, v8
	v_div_scale_f32 v10, vcc, v8, v6, v8
	v_rcp_f32_e32 v11, v9
	v_fma_f32 v12, -v9, v11, 1.0
	v_fmac_f32_e32 v11, v12, v11
	v_mul_f32_e32 v12, v10, v11
	v_fma_f32 v13, -v9, v12, v10
	v_fmac_f32_e32 v12, v13, v11
	v_fma_f32 v9, -v9, v12, v10
	v_div_fmas_f32 v9, v9, v11, v12
	v_mad_u32_u24 v10, v0, 36, s6
	v_div_fixup_f32 v6, v9, v6, v8
	ds_write_b32 v5, v6
	s_waitcnt lgkmcnt(0)
	ds_read_b32 v5, v10 offset:2112
	ds_read_b32 v8, v7
	s_waitcnt lgkmcnt(0)
	v_fmac_f32_e32 v8, v6, v5
	ds_write_b32 v7, v8
.LBB16_91:
	s_or_b64 exec, exec, s[2:3]
	s_waitcnt lgkmcnt(0)
.LBB16_92:
	s_and_saveexec_b64 s[2:3], s[0:1]
	s_cbranch_execz .LBB16_94
; %bb.93:
	v_mad_u64_u32 v[2:3], s[0:1], v3, s33, v[2:3]
	ds_read_b32 v4, v4
	v_mov_b32_e32 v5, s23
	v_ashrrev_i32_e32 v3, 31, v2
	v_lshlrev_b64 v[2:3], 2, v[2:3]
	v_add_co_u32_e32 v2, vcc, s22, v2
	v_addc_co_u32_e32 v3, vcc, v5, v3, vcc
	s_waitcnt lgkmcnt(0)
	global_store_dword v[2:3], v4, off
.LBB16_94:
	s_or_b64 exec, exec, s[2:3]
	v_or_b32_e32 v2, v0, v1
	v_cmp_eq_u32_e32 vcc, 0, v2
	s_and_saveexec_b64 s[0:1], vcc
	s_cbranch_execz .LBB16_96
; %bb.95:
	s_add_u32 s2, s10, s12
	s_addc_u32 s3, s11, s13
	v_mov_b32_e32 v2, 0
	v_mov_b32_e32 v3, 1
	s_waitcnt vmcnt(0)
	global_store_dword v2, v3, s[2:3]
.LBB16_96:
	s_or_b64 exec, exec, s[0:1]
	s_branch .LBB16_80
.LBB16_97:
	v_or_b32_e32 v0, v0, v1
	v_cmp_eq_u32_e32 vcc, 0, v0
	s_and_saveexec_b64 s[0:1], vcc
	s_cbranch_execz .LBB16_80
; %bb.98:
	v_mbcnt_lo_u32_b32 v0, exec_lo, 0
	v_mbcnt_hi_u32_b32 v0, exec_hi, v0
	v_cmp_eq_u32_e32 vcc, 0, v0
	s_and_saveexec_b64 s[0:1], vcc
	s_cbranch_execz .LBB16_100
; %bb.99:
	s_add_i32 s2, s20, s21
	v_mov_b32_e32 v0, 0
	v_mov_b32_e32 v1, s2
	global_atomic_smin v0, v1, s[14:15]
.LBB16_100:
	s_or_b64 exec, exec, s[0:1]
	s_add_u32 s0, s10, s12
	s_addc_u32 s1, s11, s13
	v_mov_b32_e32 v0, 0
	v_mov_b32_e32 v1, 1
	s_waitcnt vmcnt(0)
	global_store_dword v0, v1, s[0:1]
	s_endpgm
	.section	.rodata,"a",@progbits
	.p2align	6, 0x0
	.amdhsa_kernel _ZN9rocsparseL17bsric0_2_8_kernelILi64ELi128ELi8EfEEv20rocsparse_direction_iiPKiS3_PT2_S3_PiS3_S6_21rocsparse_index_base_
		.amdhsa_group_segment_fixed_size 2688
		.amdhsa_private_segment_fixed_size 0
		.amdhsa_kernarg_size 76
		.amdhsa_user_sgpr_count 6
		.amdhsa_user_sgpr_private_segment_buffer 1
		.amdhsa_user_sgpr_dispatch_ptr 0
		.amdhsa_user_sgpr_queue_ptr 0
		.amdhsa_user_sgpr_kernarg_segment_ptr 1
		.amdhsa_user_sgpr_dispatch_id 0
		.amdhsa_user_sgpr_flat_scratch_init 0
		.amdhsa_user_sgpr_private_segment_size 0
		.amdhsa_uses_dynamic_stack 0
		.amdhsa_system_sgpr_private_segment_wavefront_offset 0
		.amdhsa_system_sgpr_workgroup_id_x 1
		.amdhsa_system_sgpr_workgroup_id_y 0
		.amdhsa_system_sgpr_workgroup_id_z 0
		.amdhsa_system_sgpr_workgroup_info 0
		.amdhsa_system_vgpr_workitem_id 1
		.amdhsa_next_free_vgpr 37
		.amdhsa_next_free_sgpr 93
		.amdhsa_reserve_vcc 1
		.amdhsa_reserve_flat_scratch 0
		.amdhsa_float_round_mode_32 0
		.amdhsa_float_round_mode_16_64 0
		.amdhsa_float_denorm_mode_32 3
		.amdhsa_float_denorm_mode_16_64 3
		.amdhsa_dx10_clamp 1
		.amdhsa_ieee_mode 1
		.amdhsa_fp16_overflow 0
		.amdhsa_exception_fp_ieee_invalid_op 0
		.amdhsa_exception_fp_denorm_src 0
		.amdhsa_exception_fp_ieee_div_zero 0
		.amdhsa_exception_fp_ieee_overflow 0
		.amdhsa_exception_fp_ieee_underflow 0
		.amdhsa_exception_fp_ieee_inexact 0
		.amdhsa_exception_int_div_zero 0
	.end_amdhsa_kernel
	.section	.text._ZN9rocsparseL17bsric0_2_8_kernelILi64ELi128ELi8EfEEv20rocsparse_direction_iiPKiS3_PT2_S3_PiS3_S6_21rocsparse_index_base_,"axG",@progbits,_ZN9rocsparseL17bsric0_2_8_kernelILi64ELi128ELi8EfEEv20rocsparse_direction_iiPKiS3_PT2_S3_PiS3_S6_21rocsparse_index_base_,comdat
.Lfunc_end16:
	.size	_ZN9rocsparseL17bsric0_2_8_kernelILi64ELi128ELi8EfEEv20rocsparse_direction_iiPKiS3_PT2_S3_PiS3_S6_21rocsparse_index_base_, .Lfunc_end16-_ZN9rocsparseL17bsric0_2_8_kernelILi64ELi128ELi8EfEEv20rocsparse_direction_iiPKiS3_PT2_S3_PiS3_S6_21rocsparse_index_base_
                                        ; -- End function
	.set _ZN9rocsparseL17bsric0_2_8_kernelILi64ELi128ELi8EfEEv20rocsparse_direction_iiPKiS3_PT2_S3_PiS3_S6_21rocsparse_index_base_.num_vgpr, 26
	.set _ZN9rocsparseL17bsric0_2_8_kernelILi64ELi128ELi8EfEEv20rocsparse_direction_iiPKiS3_PT2_S3_PiS3_S6_21rocsparse_index_base_.num_agpr, 0
	.set _ZN9rocsparseL17bsric0_2_8_kernelILi64ELi128ELi8EfEEv20rocsparse_direction_iiPKiS3_PT2_S3_PiS3_S6_21rocsparse_index_base_.numbered_sgpr, 50
	.set _ZN9rocsparseL17bsric0_2_8_kernelILi64ELi128ELi8EfEEv20rocsparse_direction_iiPKiS3_PT2_S3_PiS3_S6_21rocsparse_index_base_.num_named_barrier, 0
	.set _ZN9rocsparseL17bsric0_2_8_kernelILi64ELi128ELi8EfEEv20rocsparse_direction_iiPKiS3_PT2_S3_PiS3_S6_21rocsparse_index_base_.private_seg_size, 0
	.set _ZN9rocsparseL17bsric0_2_8_kernelILi64ELi128ELi8EfEEv20rocsparse_direction_iiPKiS3_PT2_S3_PiS3_S6_21rocsparse_index_base_.uses_vcc, 1
	.set _ZN9rocsparseL17bsric0_2_8_kernelILi64ELi128ELi8EfEEv20rocsparse_direction_iiPKiS3_PT2_S3_PiS3_S6_21rocsparse_index_base_.uses_flat_scratch, 0
	.set _ZN9rocsparseL17bsric0_2_8_kernelILi64ELi128ELi8EfEEv20rocsparse_direction_iiPKiS3_PT2_S3_PiS3_S6_21rocsparse_index_base_.has_dyn_sized_stack, 0
	.set _ZN9rocsparseL17bsric0_2_8_kernelILi64ELi128ELi8EfEEv20rocsparse_direction_iiPKiS3_PT2_S3_PiS3_S6_21rocsparse_index_base_.has_recursion, 0
	.set _ZN9rocsparseL17bsric0_2_8_kernelILi64ELi128ELi8EfEEv20rocsparse_direction_iiPKiS3_PT2_S3_PiS3_S6_21rocsparse_index_base_.has_indirect_call, 0
	.section	.AMDGPU.csdata,"",@progbits
; Kernel info:
; codeLenInByte = 3704
; TotalNumSgprs: 54
; NumVgprs: 26
; ScratchSize: 0
; MemoryBound: 0
; FloatMode: 240
; IeeeMode: 1
; LDSByteSize: 2688 bytes/workgroup (compile time only)
; SGPRBlocks: 12
; VGPRBlocks: 9
; NumSGPRsForWavesPerEU: 97
; NumVGPRsForWavesPerEU: 37
; Occupancy: 6
; WaveLimiterHint : 1
; COMPUTE_PGM_RSRC2:SCRATCH_EN: 0
; COMPUTE_PGM_RSRC2:USER_SGPR: 6
; COMPUTE_PGM_RSRC2:TRAP_HANDLER: 0
; COMPUTE_PGM_RSRC2:TGID_X_EN: 1
; COMPUTE_PGM_RSRC2:TGID_Y_EN: 0
; COMPUTE_PGM_RSRC2:TGID_Z_EN: 0
; COMPUTE_PGM_RSRC2:TIDIG_COMP_CNT: 1
	.section	.text._ZN9rocsparseL18bsric0_9_16_kernelILi64ELi128ELi16EfEEv20rocsparse_direction_iiPKiS3_PT2_S3_PiS3_S6_21rocsparse_index_base_,"axG",@progbits,_ZN9rocsparseL18bsric0_9_16_kernelILi64ELi128ELi16EfEEv20rocsparse_direction_iiPKiS3_PT2_S3_PiS3_S6_21rocsparse_index_base_,comdat
	.globl	_ZN9rocsparseL18bsric0_9_16_kernelILi64ELi128ELi16EfEEv20rocsparse_direction_iiPKiS3_PT2_S3_PiS3_S6_21rocsparse_index_base_ ; -- Begin function _ZN9rocsparseL18bsric0_9_16_kernelILi64ELi128ELi16EfEEv20rocsparse_direction_iiPKiS3_PT2_S3_PiS3_S6_21rocsparse_index_base_
	.p2align	8
	.type	_ZN9rocsparseL18bsric0_9_16_kernelILi64ELi128ELi16EfEEv20rocsparse_direction_iiPKiS3_PT2_S3_PiS3_S6_21rocsparse_index_base_,@function
_ZN9rocsparseL18bsric0_9_16_kernelILi64ELi128ELi16EfEEv20rocsparse_direction_iiPKiS3_PT2_S3_PiS3_S6_21rocsparse_index_base_: ; @_ZN9rocsparseL18bsric0_9_16_kernelILi64ELi128ELi16EfEEv20rocsparse_direction_iiPKiS3_PT2_S3_PiS3_S6_21rocsparse_index_base_
; %bb.0:
	s_load_dwordx8 s[8:15], s[4:5], 0x28
	s_mov_b32 s7, 0
	s_lshl_b64 s[0:1], s[6:7], 2
	s_waitcnt lgkmcnt(0)
	s_add_u32 s0, s12, s0
	s_addc_u32 s1, s13, s1
	s_load_dword s12, s[0:1], 0x0
	s_waitcnt lgkmcnt(0)
	s_ashr_i32 s13, s12, 31
	s_lshl_b64 s[6:7], s[12:13], 2
	s_add_u32 s0, s8, s6
	s_addc_u32 s1, s9, s7
	s_load_dword s33, s[0:1], 0x0
	s_load_dword s13, s[4:5], 0x48
	s_waitcnt lgkmcnt(0)
	s_cmp_lg_u32 s33, -1
	s_cbranch_scc0 .LBB17_128
; %bb.1:
	s_load_dwordx4 s[16:19], s[4:5], 0x10
	s_load_dwordx2 s[20:21], s[4:5], 0x20
	v_lshlrev_b32_e32 v7, 2, v1
	v_lshlrev_b32_e32 v6, 2, v0
	s_waitcnt lgkmcnt(0)
	s_add_u32 s0, s16, s6
	s_addc_u32 s1, s17, s7
	s_load_dword s0, s[0:1], 0x0
	s_waitcnt lgkmcnt(0)
	s_sub_i32 s46, s0, s13
	v_add3_u32 v2, v7, v0, s46
	v_cmp_ge_i32_e32 vcc, s33, v2
	s_and_saveexec_b64 s[0:1], vcc
	s_cbranch_execz .LBB17_4
; %bb.2:
	v_lshlrev_b32_e32 v3, 4, v1
	s_movk_i32 s2, 0x1500
	v_add3_u32 v4, v3, v6, s2
	s_mov_b64 s[2:3], 0
	v_mov_b32_e32 v5, s19
.LBB17_3:                               ; =>This Inner Loop Header: Depth=1
	v_ashrrev_i32_e32 v3, 31, v2
	v_lshlrev_b64 v[8:9], 2, v[2:3]
	v_add_u32_e32 v2, 64, v2
	v_add_co_u32_e32 v8, vcc, s18, v8
	v_addc_co_u32_e32 v9, vcc, v5, v9, vcc
	global_load_dword v3, v[8:9], off
	v_cmp_lt_i32_e32 vcc, s33, v2
	s_or_b64 s[2:3], vcc, s[2:3]
	s_waitcnt vmcnt(0)
	v_subrev_u32_e32 v3, s13, v3
	ds_write_b32 v4, v3
	v_add_u32_e32 v4, 0x100, v4
	s_andn2_b64 exec, exec, s[2:3]
	s_cbranch_execnz .LBB17_3
.LBB17_4:
	s_or_b64 exec, exec, s[0:1]
	v_cmp_gt_u32_e32 vcc, 16, v0
	s_and_saveexec_b64 s[0:1], vcc
	s_cbranch_execz .LBB17_7
; %bb.5:
	v_mul_u32_u24_e32 v3, 0x44, v1
	s_movk_i32 s2, 0xcc0
	v_add_u32_e32 v2, -4, v0
	v_add3_u32 v3, v3, v6, s2
	s_mov_b64 s[2:3], 0
	v_mov_b32_e32 v4, 0
.LBB17_6:                               ; =>This Inner Loop Header: Depth=1
	v_add_u32_e32 v2, 4, v2
	v_cmp_lt_u32_e32 vcc, 11, v2
	ds_write_b32 v3, v4
	s_or_b64 s[2:3], vcc, s[2:3]
	v_add_u32_e32 v3, 16, v3
	s_andn2_b64 exec, exec, s[2:3]
	s_cbranch_execnz .LBB17_6
.LBB17_7:
	s_or_b64 exec, exec, s[0:1]
	s_load_dword s44, s[4:5], 0x8
	s_load_dword s45, s[4:5], 0x0
	s_cmp_ge_i32 s46, s33
	s_waitcnt lgkmcnt(0)
	v_cmp_gt_i32_e64 s[0:1], s44, v0
	s_cbranch_scc1 .LBB17_89
; %bb.8:
	s_movk_i32 s26, 0x44
	v_mov_b32_e32 v3, 0x440
	v_mad_u32_u24 v9, v1, s26, v3
	v_or_b32_e32 v3, v0, v1
	s_mul_i32 s27, s44, s46
	v_cmp_ne_u32_e64 s[4:5], 0, v3
	v_add_u32_e32 v3, s27, v1
	v_mul_lo_u32 v10, s44, v1
	v_mul_lo_u32 v14, s44, v3
	;; [unrolled: 1-line block ×3, first 2 shown]
	s_cmp_lg_u32 s45, 0
	s_cselect_b64 s[22:23], -1, 0
	v_mov_b32_e32 v2, 0x880
	s_cmp_gt_i32 s44, 0
	v_mad_u32_u24 v11, v1, s26, v6
	v_cmp_gt_i32_e64 s[2:3], s44, v1
	v_mad_u32_u24 v8, v1, s26, v2
	s_mul_i32 s47, s44, s44
	s_cselect_b64 s[24:25], -1, 0
	v_add_u32_e32 v12, 0x440, v11
	s_lshl_b32 s48, s44, 2
	v_add_u32_e32 v15, 0xcc0, v11
	v_mad_u32_u24 v16, v0, s26, v2
	v_add_u32_e32 v17, 0x880, v11
	v_mov_b32_e32 v18, 0
	s_mov_b32 s26, s46
	s_branch .LBB17_10
.LBB17_9:                               ;   in Loop: Header=BB17_10 Depth=1
	s_or_b64 exec, exec, s[28:29]
	s_add_i32 s26, s26, 1
	s_cmp_ge_i32 s26, s33
	s_waitcnt vmcnt(0)
	buffer_wbinvl1_vol
	v_add_u32_e32 v14, s47, v14
	s_cselect_b64 s[28:29], -1, 0
	s_and_b64 vcc, exec, s[28:29]
	s_cbranch_vccnz .LBB17_89
.LBB17_10:                              ; =>This Loop Header: Depth=1
                                        ;     Child Loop BB17_14 Depth 2
                                        ;     Child Loop BB17_26 Depth 2
	;; [unrolled: 1-line block ×5, first 2 shown]
                                        ;       Child Loop BB17_56 Depth 3
                                        ;     Child Loop BB17_70 Depth 2
                                        ;       Child Loop BB17_75 Depth 3
                                        ;       Child Loop BB17_78 Depth 3
                                        ;     Child Loop BB17_84 Depth 2
	s_ashr_i32 s27, s26, 31
	s_lshl_b64 s[28:29], s[26:27], 2
	s_add_u32 s28, s18, s28
	s_addc_u32 s29, s19, s29
	s_load_dword s49, s[28:29], 0x0
	s_waitcnt lgkmcnt(0)
	s_sub_i32 s30, s49, s13
	s_ashr_i32 s31, s30, 31
	s_lshl_b64 s[28:29], s[30:31], 2
	s_add_u32 s34, s8, s28
	s_addc_u32 s35, s9, s29
	s_load_dword s31, s[34:35], 0x0
	s_waitcnt lgkmcnt(0)
	s_cmp_eq_u32 s31, -1
	s_cbranch_scc1 .LBB17_88
; %bb.11:                               ;   in Loop: Header=BB17_10 Depth=1
	s_add_u32 s34, s16, s28
	s_addc_u32 s35, s17, s29
	s_load_dword s50, s[34:35], 0x0
	s_mul_i32 s27, s26, s44
	s_and_saveexec_b64 s[34:35], s[0:1]
	s_cbranch_execz .LBB17_24
; %bb.12:                               ;   in Loop: Header=BB17_10 Depth=1
	s_mov_b64 s[36:37], 0
	v_mov_b32_e32 v4, v12
	v_mov_b32_e32 v5, v0
	s_branch .LBB17_14
.LBB17_13:                              ;   in Loop: Header=BB17_14 Depth=2
	s_or_b64 exec, exec, s[40:41]
	v_add_u32_e32 v5, 4, v5
	v_cmp_le_i32_e32 vcc, s44, v5
	s_waitcnt vmcnt(0)
	ds_write_b32 v4, v3 offset:1088
	ds_write_b32 v4, v18
	s_or_b64 s[36:37], vcc, s[36:37]
	v_add_u32_e32 v4, 16, v4
	s_andn2_b64 exec, exec, s[36:37]
	s_cbranch_execz .LBB17_24
.LBB17_14:                              ;   Parent Loop BB17_10 Depth=1
                                        ; =>  This Inner Loop Header: Depth=2
	s_and_b64 vcc, exec, s[22:23]
	s_cbranch_vccz .LBB17_21
; %bb.15:                               ;   in Loop: Header=BB17_14 Depth=2
	s_mov_b64 s[40:41], 0
	s_mov_b64 s[38:39], 0
                                        ; implicit-def: $vgpr2
	s_and_saveexec_b64 s[42:43], s[2:3]
	s_xor_b64 s[42:43], exec, s[42:43]
; %bb.16:                               ;   in Loop: Header=BB17_14 Depth=2
	v_add_u32_e32 v2, s27, v5
	s_mov_b64 s[38:39], exec
	v_mad_u64_u32 v[2:3], s[52:53], v2, s44, v[1:2]
; %bb.17:                               ;   in Loop: Header=BB17_14 Depth=2
	s_or_b64 exec, exec, s[42:43]
	s_and_b64 vcc, exec, s[40:41]
	s_cbranch_vccz .LBB17_22
.LBB17_18:                              ;   in Loop: Header=BB17_14 Depth=2
                                        ; implicit-def: $vgpr2
	s_and_saveexec_b64 s[40:41], s[2:3]
; %bb.19:                               ;   in Loop: Header=BB17_14 Depth=2
	v_add_u32_e32 v2, v14, v5
	s_or_b64 s[38:39], s[38:39], exec
; %bb.20:                               ;   in Loop: Header=BB17_14 Depth=2
	s_or_b64 exec, exec, s[40:41]
	v_mov_b32_e32 v3, 0
	s_and_saveexec_b64 s[40:41], s[38:39]
	s_cbranch_execz .LBB17_13
	s_branch .LBB17_23
.LBB17_21:                              ;   in Loop: Header=BB17_14 Depth=2
	s_mov_b64 s[38:39], 0
                                        ; implicit-def: $vgpr2
	s_cbranch_execnz .LBB17_18
.LBB17_22:                              ;   in Loop: Header=BB17_14 Depth=2
	v_mov_b32_e32 v3, 0
	s_and_saveexec_b64 s[40:41], s[38:39]
	s_cbranch_execz .LBB17_13
.LBB17_23:                              ;   in Loop: Header=BB17_14 Depth=2
	v_ashrrev_i32_e32 v3, 31, v2
	v_lshlrev_b64 v[2:3], 2, v[2:3]
	v_mov_b32_e32 v19, s21
	v_add_co_u32_e32 v2, vcc, s20, v2
	v_addc_co_u32_e32 v3, vcc, v19, v3, vcc
	global_load_dword v3, v[2:3], off
	s_branch .LBB17_13
.LBB17_24:                              ;   in Loop: Header=BB17_10 Depth=1
	s_or_b64 exec, exec, s[34:35]
	ds_read_b32 v2, v18 offset:5376
	s_waitcnt lgkmcnt(0)
	s_sub_i32 s34, s50, s13
	s_cmp_le_i32 s34, s31
	s_cselect_b64 s[36:37], -1, 0
	s_mov_b32 s40, 0
	v_cmp_ge_i32_e32 vcc, s30, v2
	s_and_b64 s[36:37], s[36:37], vcc
	s_andn2_b64 vcc, exec, s[36:37]
	s_cbranch_vccnz .LBB17_36
; %bb.25:                               ;   in Loop: Header=BB17_10 Depth=1
	s_mov_b32 s38, 0
	s_mov_b32 s39, 0
.LBB17_26:                              ;   Parent Loop BB17_10 Depth=1
                                        ; =>  This Inner Loop Header: Depth=2
	s_ashr_i32 s35, s34, 31
	s_lshl_b64 s[36:37], s[34:35], 2
	s_add_u32 s36, s18, s36
	s_addc_u32 s37, s19, s37
	s_load_dword s35, s[36:37], 0x0
	s_lshl_b32 s36, s39, 2
	v_mov_b32_e32 v2, s36
	ds_read_b32 v2, v2 offset:5376
	s_mov_b64 s[36:37], -1
	s_waitcnt lgkmcnt(0)
	s_sub_i32 s43, s35, s13
                                        ; implicit-def: $sgpr40
                                        ; implicit-def: $sgpr42
                                        ; implicit-def: $sgpr41
	v_cmp_ge_i32_e32 vcc, s43, v2
	v_readfirstlane_b32 s35, v2
	s_cbranch_vccz .LBB17_32
; %bb.27:                               ;   in Loop: Header=BB17_26 Depth=2
	s_cmp_le_i32 s43, s35
                                        ; implicit-def: $sgpr40
                                        ; implicit-def: $sgpr42
                                        ; implicit-def: $sgpr41
	s_cbranch_scc0 .LBB17_29
; %bb.28:                               ;   in Loop: Header=BB17_26 Depth=2
	s_add_i32 s36, s39, s46
	s_mul_i32 s36, s36, s47
	s_lshl_b32 s37, s38, 2
	v_mov_b32_e32 v3, s36
	s_mul_i32 s36, s34, s47
	v_mov_b32_e32 v2, s37
	v_mov_b32_e32 v4, s36
	ds_write2st64_b32 v2, v4, v3 offset0:17 offset1:19
	s_add_i32 s41, s39, 1
	s_add_i32 s42, s34, 1
	;; [unrolled: 1-line block ×3, first 2 shown]
	s_mov_b64 s[36:37], 0
.LBB17_29:                              ;   in Loop: Header=BB17_26 Depth=2
	s_andn2_b64 vcc, exec, s[36:37]
	s_cbranch_vccnz .LBB17_31
; %bb.30:                               ;   in Loop: Header=BB17_26 Depth=2
	s_add_i32 s41, s39, 1
	s_mov_b32 s40, s38
	s_mov_b32 s42, s34
.LBB17_31:                              ;   in Loop: Header=BB17_26 Depth=2
	s_mov_b64 s[36:37], 0
.LBB17_32:                              ;   in Loop: Header=BB17_26 Depth=2
	s_andn2_b64 vcc, exec, s[36:37]
	s_cbranch_vccnz .LBB17_34
; %bb.33:                               ;   in Loop: Header=BB17_26 Depth=2
	s_add_i32 s42, s34, 1
	s_mov_b32 s41, s39
	s_mov_b32 s40, s38
.LBB17_34:                              ;   in Loop: Header=BB17_26 Depth=2
	s_cmp_le_i32 s42, s31
	s_cselect_b64 s[36:37], -1, 0
	s_cmp_le_i32 s35, s30
	s_cselect_b64 s[34:35], -1, 0
	s_and_b64 s[34:35], s[36:37], s[34:35]
	s_and_b64 vcc, exec, s[34:35]
	s_cbranch_vccz .LBB17_36
; %bb.35:                               ;   in Loop: Header=BB17_26 Depth=2
	s_mov_b32 s38, s40
	s_mov_b32 s34, s42
	;; [unrolled: 1-line block ×3, first 2 shown]
	s_branch .LBB17_26
.LBB17_36:                              ;   in Loop: Header=BB17_10 Depth=1
	s_add_u32 s28, s10, s28
	s_addc_u32 s29, s11, s29
	s_waitcnt lgkmcnt(0)
.LBB17_37:                              ;   Parent Loop BB17_10 Depth=1
                                        ; =>  This Inner Loop Header: Depth=2
	global_load_dword v2, v18, s[28:29] glc
	s_waitcnt vmcnt(0)
	v_cmp_eq_u32_e32 vcc, 0, v2
	s_cbranch_vccnz .LBB17_37
; %bb.38:                               ;   in Loop: Header=BB17_10 Depth=1
	buffer_wbinvl1_vol
	s_and_saveexec_b64 s[28:29], s[0:1]
	s_cbranch_execz .LBB17_51
; %bb.39:                               ;   in Loop: Header=BB17_10 Depth=1
	s_mul_i32 s41, s31, s44
	v_add_u32_e32 v2, s41, v1
	v_mul_lo_u32 v4, v2, s44
	s_mov_b64 s[30:31], 0
	v_mov_b32_e32 v5, v11
	v_mov_b32_e32 v19, v0
	s_branch .LBB17_41
.LBB17_40:                              ;   in Loop: Header=BB17_41 Depth=2
	s_or_b64 exec, exec, s[36:37]
	v_add_u32_e32 v19, 4, v19
	v_cmp_le_i32_e32 vcc, s44, v19
	s_waitcnt vmcnt(0)
	ds_write_b32 v5, v3
	s_or_b64 s[30:31], vcc, s[30:31]
	v_add_u32_e32 v5, 16, v5
	s_andn2_b64 exec, exec, s[30:31]
	s_cbranch_execz .LBB17_51
.LBB17_41:                              ;   Parent Loop BB17_10 Depth=1
                                        ; =>  This Inner Loop Header: Depth=2
	s_and_b64 vcc, exec, s[22:23]
	s_cbranch_vccz .LBB17_48
; %bb.42:                               ;   in Loop: Header=BB17_41 Depth=2
	s_mov_b64 s[36:37], 0
	s_mov_b64 s[34:35], 0
                                        ; implicit-def: $vgpr2
	s_and_saveexec_b64 s[38:39], s[2:3]
	s_xor_b64 s[38:39], exec, s[38:39]
; %bb.43:                               ;   in Loop: Header=BB17_41 Depth=2
	v_add_u32_e32 v2, s41, v19
	s_mov_b64 s[34:35], exec
	v_mad_u64_u32 v[2:3], s[42:43], v2, s44, v[1:2]
; %bb.44:                               ;   in Loop: Header=BB17_41 Depth=2
	s_or_b64 exec, exec, s[38:39]
	s_and_b64 vcc, exec, s[36:37]
	s_cbranch_vccz .LBB17_49
.LBB17_45:                              ;   in Loop: Header=BB17_41 Depth=2
                                        ; implicit-def: $vgpr2
	s_and_saveexec_b64 s[36:37], s[2:3]
; %bb.46:                               ;   in Loop: Header=BB17_41 Depth=2
	v_add_u32_e32 v2, v4, v19
	s_or_b64 s[34:35], s[34:35], exec
; %bb.47:                               ;   in Loop: Header=BB17_41 Depth=2
	s_or_b64 exec, exec, s[36:37]
	v_mov_b32_e32 v3, 0
	s_and_saveexec_b64 s[36:37], s[34:35]
	s_cbranch_execz .LBB17_40
	s_branch .LBB17_50
.LBB17_48:                              ;   in Loop: Header=BB17_41 Depth=2
	s_mov_b64 s[34:35], 0
                                        ; implicit-def: $vgpr2
	s_cbranch_execnz .LBB17_45
.LBB17_49:                              ;   in Loop: Header=BB17_41 Depth=2
	v_mov_b32_e32 v3, 0
	s_and_saveexec_b64 s[36:37], s[34:35]
	s_cbranch_execz .LBB17_40
.LBB17_50:                              ;   in Loop: Header=BB17_41 Depth=2
	v_ashrrev_i32_e32 v3, 31, v2
	v_lshlrev_b64 v[2:3], 2, v[2:3]
	v_mov_b32_e32 v20, s21
	v_add_co_u32_e32 v2, vcc, s20, v2
	v_addc_co_u32_e32 v3, vcc, v20, v3, vcc
	global_load_dword v3, v[2:3], off
	s_branch .LBB17_40
.LBB17_51:                              ;   in Loop: Header=BB17_10 Depth=1
	s_or_b64 exec, exec, s[28:29]
	s_cmp_lt_i32 s40, 2
	s_cbranch_scc1 .LBB17_67
; %bb.52:                               ;   in Loop: Header=BB17_10 Depth=1
	s_add_i32 s36, s40, -2
	s_mov_b32 s37, 0
	s_branch .LBB17_54
.LBB17_53:                              ;   in Loop: Header=BB17_54 Depth=2
	s_or_b64 exec, exec, s[28:29]
	s_add_i32 s28, s37, 1
	s_cmp_eq_u32 s37, s36
	s_mov_b32 s37, s28
	s_cbranch_scc1 .LBB17_67
.LBB17_54:                              ;   Parent Loop BB17_10 Depth=1
                                        ; =>  This Loop Header: Depth=2
                                        ;       Child Loop BB17_56 Depth 3
	s_and_saveexec_b64 s[28:29], s[0:1]
	s_cbranch_execz .LBB17_53
; %bb.55:                               ;   in Loop: Header=BB17_54 Depth=2
	s_lshl_b32 s30, s37, 2
	v_mov_b32_e32 v2, s30
	ds_read2st64_b32 v[2:3], v2 offset0:17 offset1:19
	s_mov_b64 s[30:31], 0
	v_mov_b32_e32 v23, v0
	s_waitcnt lgkmcnt(0)
	v_add_u32_e32 v19, v3, v10
	v_add_u32_e32 v20, v1, v3
	;; [unrolled: 1-line block ×4, first 2 shown]
.LBB17_56:                              ;   Parent Loop BB17_10 Depth=1
                                        ;     Parent Loop BB17_54 Depth=2
                                        ; =>    This Inner Loop Header: Depth=3
	v_mov_b32_e32 v24, 0
	s_mov_b32 s38, 0
	v_mov_b32_e32 v2, v21
	v_mov_b32_e32 v4, v20
	s_and_b64 vcc, exec, s[22:23]
	s_cbranch_vccnz .LBB17_59
	s_branch .LBB17_58
.LBB17_57:                              ;   in Loop: Header=BB17_56 Depth=3
	v_mov_b32_e32 v24, v3
	s_and_b64 vcc, exec, s[22:23]
	s_cbranch_vccnz .LBB17_59
.LBB17_58:                              ;   in Loop: Header=BB17_56 Depth=3
                                        ; implicit-def: $vgpr3
	s_cbranch_execz .LBB17_65
	s_branch .LBB17_62
.LBB17_59:                              ;   in Loop: Header=BB17_56 Depth=3
	v_ashrrev_i32_e32 v3, 31, v2
	v_lshlrev_b64 v[25:26], 2, v[2:3]
	v_mov_b32_e32 v3, s21
	v_add_co_u32_e32 v25, vcc, s20, v25
	v_addc_co_u32_e32 v26, vcc, v3, v26, vcc
	global_load_dword v3, v[25:26], off
	v_mov_b32_e32 v5, 0
	s_and_saveexec_b64 s[34:35], s[2:3]
	s_cbranch_execz .LBB17_61
; %bb.60:                               ;   in Loop: Header=BB17_56 Depth=3
	v_ashrrev_i32_e32 v5, 31, v4
	v_lshlrev_b64 v[25:26], 2, v[4:5]
	v_mov_b32_e32 v5, s21
	v_add_co_u32_e32 v25, vcc, s20, v25
	v_addc_co_u32_e32 v26, vcc, v5, v26, vcc
	global_load_dword v5, v[25:26], off
.LBB17_61:                              ;   in Loop: Header=BB17_56 Depth=3
	s_or_b64 exec, exec, s[34:35]
	s_waitcnt vmcnt(0)
	v_fma_f32 v3, v3, v5, v24
	s_branch .LBB17_65
.LBB17_62:                              ;   in Loop: Header=BB17_56 Depth=3
	v_add_u32_e32 v25, s38, v22
	v_ashrrev_i32_e32 v26, 31, v25
	v_lshlrev_b64 v[25:26], 2, v[25:26]
	v_mov_b32_e32 v3, s21
	v_add_co_u32_e32 v25, vcc, s20, v25
	v_addc_co_u32_e32 v26, vcc, v3, v26, vcc
	global_load_dword v3, v[25:26], off
	v_mov_b32_e32 v5, 0
	s_and_saveexec_b64 s[34:35], s[2:3]
	s_cbranch_execz .LBB17_64
; %bb.63:                               ;   in Loop: Header=BB17_56 Depth=3
	v_add_u32_e32 v25, s38, v19
	v_ashrrev_i32_e32 v26, 31, v25
	v_lshlrev_b64 v[25:26], 2, v[25:26]
	v_mov_b32_e32 v5, s21
	v_add_co_u32_e32 v25, vcc, s20, v25
	v_addc_co_u32_e32 v26, vcc, v5, v26, vcc
	global_load_dword v5, v[25:26], off
.LBB17_64:                              ;   in Loop: Header=BB17_56 Depth=3
	s_or_b64 exec, exec, s[34:35]
	s_waitcnt vmcnt(0)
	v_fmac_f32_e32 v24, v3, v5
	v_mov_b32_e32 v3, v24
.LBB17_65:                              ;   in Loop: Header=BB17_56 Depth=3
	s_add_i32 s38, s38, 1
	v_add_u32_e32 v4, s44, v4
	s_cmp_eq_u32 s44, s38
	v_add_u32_e32 v2, s44, v2
	s_cbranch_scc0 .LBB17_57
; %bb.66:                               ;   in Loop: Header=BB17_56 Depth=3
	v_lshl_add_u32 v2, v23, 2, v9
	ds_read_b32 v4, v2
	v_add_u32_e32 v23, 4, v23
	v_cmp_le_i32_e32 vcc, s44, v23
	v_add_u32_e32 v21, 4, v21
	s_or_b64 s[30:31], vcc, s[30:31]
	s_waitcnt lgkmcnt(0)
	v_add_f32_e32 v3, v3, v4
	v_add_u32_e32 v22, s48, v22
	ds_write_b32 v2, v3
	s_andn2_b64 exec, exec, s[30:31]
	s_cbranch_execnz .LBB17_56
	s_branch .LBB17_53
.LBB17_67:                              ;   in Loop: Header=BB17_10 Depth=1
	s_andn2_b64 vcc, exec, s[24:25]
	s_waitcnt lgkmcnt(0)
	s_cbranch_vccnz .LBB17_79
; %bb.68:                               ;   in Loop: Header=BB17_10 Depth=1
	s_mov_b32 s34, 0
	v_mov_b32_e32 v2, v16
	s_mov_b32 s35, 0
	s_branch .LBB17_70
.LBB17_69:                              ;   in Loop: Header=BB17_70 Depth=2
	s_or_b64 exec, exec, s[28:29]
	s_add_i32 s35, s35, 1
	s_addk_i32 s34, 0x44
	s_cmp_eq_u32 s35, s44
	v_add_u32_e32 v2, 4, v2
	s_waitcnt lgkmcnt(0)
	s_cbranch_scc1 .LBB17_79
.LBB17_70:                              ;   Parent Loop BB17_10 Depth=1
                                        ; =>  This Loop Header: Depth=2
                                        ;       Child Loop BB17_75 Depth 3
                                        ;       Child Loop BB17_78 Depth 3
	s_lshl_b32 s28, s35, 2
	s_mul_i32 s29, s35, 0x44
	s_add_i32 s29, s29, s28
	v_mov_b32_e32 v3, s29
	ds_read_b32 v5, v3
	v_add_u32_e32 v3, s28, v8
	ds_read_b32 v4, v3
	s_waitcnt lgkmcnt(1)
	v_cmp_neq_f32_e32 vcc, 0, v5
	v_cndmask_b32_e32 v5, 1.0, v5, vcc
	s_nor_b64 s[30:31], vcc, s[4:5]
	s_and_saveexec_b64 s[28:29], s[30:31]
	s_cbranch_execz .LBB17_74
; %bb.71:                               ;   in Loop: Header=BB17_70 Depth=2
	v_mbcnt_lo_u32_b32 v5, exec_lo, 0
	v_mbcnt_hi_u32_b32 v5, exec_hi, v5
	v_cmp_eq_u32_e32 vcc, 0, v5
	s_and_saveexec_b64 s[30:31], vcc
	s_cbranch_execz .LBB17_73
; %bb.72:                               ;   in Loop: Header=BB17_70 Depth=2
	v_mov_b32_e32 v5, s49
	global_atomic_smin v18, v5, s[14:15]
.LBB17_73:                              ;   in Loop: Header=BB17_70 Depth=2
	s_or_b64 exec, exec, s[30:31]
	v_mov_b32_e32 v5, 1.0
.LBB17_74:                              ;   in Loop: Header=BB17_70 Depth=2
	s_or_b64 exec, exec, s[28:29]
	v_lshl_add_u32 v19, s35, 2, v9
	ds_read_b32 v19, v19
	s_cmp_eq_u32 s35, 0
	v_mov_b32_e32 v20, v8
	s_mov_b32 s28, s34
	s_mov_b32 s29, s35
	s_cbranch_scc1 .LBB17_76
.LBB17_75:                              ;   Parent Loop BB17_10 Depth=1
                                        ;     Parent Loop BB17_70 Depth=2
                                        ; =>    This Inner Loop Header: Depth=3
	v_mov_b32_e32 v21, s28
	ds_read_b32 v22, v20
	ds_read_b32 v21, v21
	s_add_i32 s29, s29, -1
	s_add_i32 s28, s28, 4
	v_add_u32_e32 v20, 4, v20
	s_cmp_eq_u32 s29, 0
	s_waitcnt lgkmcnt(0)
	v_fmac_f32_e32 v19, v21, v22
	s_cbranch_scc0 .LBB17_75
.LBB17_76:                              ;   in Loop: Header=BB17_70 Depth=2
	s_waitcnt lgkmcnt(0)
	v_sub_f32_e32 v4, v4, v19
	v_div_scale_f32 v19, s[28:29], v5, v5, v4
	v_div_scale_f32 v20, vcc, v4, v5, v4
	v_rcp_f32_e32 v21, v19
	v_fma_f32 v22, -v19, v21, 1.0
	v_fmac_f32_e32 v21, v22, v21
	v_mul_f32_e32 v22, v20, v21
	v_fma_f32 v23, -v19, v22, v20
	v_fmac_f32_e32 v22, v23, v21
	v_fma_f32 v19, -v19, v22, v20
	v_div_fmas_f32 v19, v19, v21, v22
	v_div_fixup_f32 v4, v19, v5, v4
	ds_write_b32 v3, v4
	s_waitcnt lgkmcnt(0)
	s_and_saveexec_b64 s[28:29], s[0:1]
	s_cbranch_execz .LBB17_69
; %bb.77:                               ;   in Loop: Header=BB17_70 Depth=2
	s_mov_b64 s[30:31], 0
	v_mov_b32_e32 v3, v2
	v_mov_b32_e32 v5, v15
	;; [unrolled: 1-line block ×3, first 2 shown]
.LBB17_78:                              ;   Parent Loop BB17_10 Depth=1
                                        ;     Parent Loop BB17_70 Depth=2
                                        ; =>    This Inner Loop Header: Depth=3
	ds_read_b32 v20, v3
	ds_read_b32 v21, v5
	v_add_u32_e32 v19, 4, v19
	v_cmp_le_i32_e32 vcc, s44, v19
	s_or_b64 s[30:31], vcc, s[30:31]
	v_add_u32_e32 v3, 0x110, v3
	s_waitcnt lgkmcnt(0)
	v_fmac_f32_e32 v21, v4, v20
	ds_write_b32 v5, v21
	v_add_u32_e32 v5, 16, v5
	s_andn2_b64 exec, exec, s[30:31]
	s_cbranch_execnz .LBB17_78
	s_branch .LBB17_69
.LBB17_79:                              ;   in Loop: Header=BB17_10 Depth=1
	s_and_saveexec_b64 s[28:29], s[0:1]
	s_cbranch_execz .LBB17_9
; %bb.80:                               ;   in Loop: Header=BB17_10 Depth=1
	s_mov_b64 s[30:31], 0
	v_mov_b32_e32 v4, v17
	v_mov_b32_e32 v5, v0
	s_branch .LBB17_84
.LBB17_81:                              ;   in Loop: Header=BB17_84 Depth=2
	v_add_u32_e32 v2, v14, v5
.LBB17_82:                              ;   in Loop: Header=BB17_84 Depth=2
	v_ashrrev_i32_e32 v3, 31, v2
	v_lshlrev_b64 v[2:3], 2, v[2:3]
	v_mov_b32_e32 v20, s21
	v_add_co_u32_e32 v2, vcc, s20, v2
	v_addc_co_u32_e32 v3, vcc, v20, v3, vcc
	s_waitcnt lgkmcnt(0)
	global_store_dword v[2:3], v19, off
.LBB17_83:                              ;   in Loop: Header=BB17_84 Depth=2
	s_or_b64 exec, exec, s[34:35]
	v_add_u32_e32 v5, 4, v5
	v_cmp_le_i32_e32 vcc, s44, v5
	s_or_b64 s[30:31], vcc, s[30:31]
	v_add_u32_e32 v4, 16, v4
	s_andn2_b64 exec, exec, s[30:31]
	s_cbranch_execz .LBB17_9
.LBB17_84:                              ;   Parent Loop BB17_10 Depth=1
                                        ; =>  This Inner Loop Header: Depth=2
	s_and_saveexec_b64 s[34:35], s[2:3]
	s_cbranch_execz .LBB17_83
; %bb.85:                               ;   in Loop: Header=BB17_84 Depth=2
	ds_read_b32 v19, v4
	s_and_b64 vcc, exec, s[22:23]
	s_cbranch_vccz .LBB17_87
; %bb.86:                               ;   in Loop: Header=BB17_84 Depth=2
	v_add_u32_e32 v2, s27, v5
	v_mad_u64_u32 v[2:3], s[36:37], v2, s44, v[1:2]
	s_cbranch_execnz .LBB17_82
	s_branch .LBB17_81
.LBB17_87:                              ;   in Loop: Header=BB17_84 Depth=2
                                        ; implicit-def: $vgpr2
	s_branch .LBB17_81
.LBB17_88:                              ;   in Loop: Header=BB17_10 Depth=1
                                        ; implicit-def: $sgpr26
                                        ; implicit-def: $vgpr14
	s_cbranch_execz .LBB17_10
.LBB17_89:
	v_cmp_gt_i32_e64 s[0:1], s44, v0
	s_and_saveexec_b64 s[4:5], s[0:1]
	s_cbranch_execz .LBB17_102
; %bb.90:
	s_mul_i32 s26, s33, s44
	v_add_u32_e32 v2, s26, v1
	v_mul_lo_u32 v4, v2, s44
	s_cmp_lg_u32 s45, 0
	v_mul_u32_u24_e32 v2, 0x44, v1
	s_movk_i32 s16, 0x880
	s_cselect_b64 s[8:9], -1, 0
	v_cmp_gt_i32_e64 s[2:3], s44, v1
	v_add3_u32 v5, v2, v6, s16
	s_mov_b64 s[16:17], 0
	v_mov_b32_e32 v8, v0
	s_branch .LBB17_92
.LBB17_91:                              ;   in Loop: Header=BB17_92 Depth=1
	s_or_b64 exec, exec, s[22:23]
	v_add_u32_e32 v8, 4, v8
	v_cmp_le_i32_e32 vcc, s44, v8
	s_waitcnt vmcnt(0)
	ds_write_b32 v5, v3
	s_or_b64 s[16:17], vcc, s[16:17]
	v_add_u32_e32 v5, 16, v5
	s_andn2_b64 exec, exec, s[16:17]
	s_cbranch_execz .LBB17_102
.LBB17_92:                              ; =>This Inner Loop Header: Depth=1
	s_and_b64 vcc, exec, s[8:9]
	s_cbranch_vccz .LBB17_99
; %bb.93:                               ;   in Loop: Header=BB17_92 Depth=1
	s_mov_b64 s[22:23], 0
	s_mov_b64 s[18:19], 0
                                        ; implicit-def: $vgpr2
	s_and_saveexec_b64 s[24:25], s[2:3]
	s_xor_b64 s[24:25], exec, s[24:25]
; %bb.94:                               ;   in Loop: Header=BB17_92 Depth=1
	v_add_u32_e32 v2, s26, v8
	s_mov_b64 s[18:19], exec
	v_mad_u64_u32 v[2:3], s[28:29], v2, s44, v[1:2]
; %bb.95:                               ;   in Loop: Header=BB17_92 Depth=1
	s_or_b64 exec, exec, s[24:25]
	s_and_b64 vcc, exec, s[22:23]
	s_cbranch_vccz .LBB17_100
.LBB17_96:                              ;   in Loop: Header=BB17_92 Depth=1
                                        ; implicit-def: $vgpr2
	s_and_saveexec_b64 s[22:23], s[2:3]
; %bb.97:                               ;   in Loop: Header=BB17_92 Depth=1
	v_add_u32_e32 v2, v4, v8
	s_or_b64 s[18:19], s[18:19], exec
; %bb.98:                               ;   in Loop: Header=BB17_92 Depth=1
	s_or_b64 exec, exec, s[22:23]
	v_mov_b32_e32 v3, 0
	s_and_saveexec_b64 s[22:23], s[18:19]
	s_cbranch_execz .LBB17_91
	s_branch .LBB17_101
.LBB17_99:                              ;   in Loop: Header=BB17_92 Depth=1
	s_mov_b64 s[18:19], 0
                                        ; implicit-def: $vgpr2
	s_cbranch_execnz .LBB17_96
.LBB17_100:                             ;   in Loop: Header=BB17_92 Depth=1
	v_mov_b32_e32 v3, 0
	s_and_saveexec_b64 s[22:23], s[18:19]
	s_cbranch_execz .LBB17_91
.LBB17_101:                             ;   in Loop: Header=BB17_92 Depth=1
	v_ashrrev_i32_e32 v3, 31, v2
	v_lshlrev_b64 v[2:3], 2, v[2:3]
	v_mov_b32_e32 v9, s21
	v_add_co_u32_e32 v2, vcc, s20, v2
	v_addc_co_u32_e32 v3, vcc, v9, v3, vcc
	global_load_dword v3, v[2:3], off
	s_branch .LBB17_91
.LBB17_102:
	s_or_b64 exec, exec, s[4:5]
	s_cmp_lt_i32 s44, 1
	s_waitcnt lgkmcnt(0)
	s_cbranch_scc1 .LBB17_115
; %bb.103:
	v_or_b32_e32 v3, v0, v1
	s_movk_i32 s4, 0x44
	v_mov_b32_e32 v8, 0x880
	v_cmp_ne_u32_e64 s[2:3], 0, v3
	v_mov_b32_e32 v3, 0xcc0
	v_mad_u32_u24 v2, v1, s4, v8
	v_mul_u32_u24_e32 v9, 0x44, v1
	s_movk_i32 s5, 0xcc0
	v_mad_u32_u24 v3, v1, s4, v3
	s_mov_b32 s16, 0
	s_add_i32 s17, s12, s13
	v_add_u32_e32 v4, v2, v7
	v_add_u32_e32 v5, v3, v7
	v_add3_u32 v7, v9, v6, s5
	v_mad_u32_u24 v8, v0, s4, v8
	s_mov_b32 s18, 0xf800000
	v_mov_b32_e32 v9, 0x260
	v_mov_b32_e32 v10, 0
	s_branch .LBB17_105
.LBB17_104:                             ;   in Loop: Header=BB17_105 Depth=1
	s_or_b64 exec, exec, s[4:5]
	s_add_i32 s16, s16, 1
	s_cmp_eq_u32 s16, s44
	v_add_u32_e32 v8, 4, v8
	s_waitcnt lgkmcnt(0)
	s_cbranch_scc1 .LBB17_115
.LBB17_105:                             ; =>This Loop Header: Depth=1
                                        ;     Child Loop BB17_114 Depth 2
	v_cmp_eq_u32_e32 vcc, s16, v1
	s_and_saveexec_b64 s[8:9], vcc
	s_cbranch_execz .LBB17_107
; %bb.106:                              ;   in Loop: Header=BB17_105 Depth=1
	ds_read_b32 v11, v4
	ds_read_b32 v12, v5
	s_waitcnt lgkmcnt(0)
	v_sub_f32_e32 v11, v11, v12
	v_cmp_gt_f32_e32 vcc, 0, v11
	v_cndmask_b32_e64 v11, v11, -v11, vcc
	v_mul_f32_e32 v12, 0x4f800000, v11
	v_cmp_gt_f32_e32 vcc, s18, v11
	v_cndmask_b32_e32 v11, v11, v12, vcc
	v_sqrt_f32_e32 v12, v11
	v_add_u32_e32 v13, -1, v12
	v_add_u32_e32 v14, 1, v12
	v_fma_f32 v15, -v13, v12, v11
	v_fma_f32 v16, -v14, v12, v11
	v_cmp_ge_f32_e64 s[4:5], 0, v15
	v_cndmask_b32_e64 v12, v12, v13, s[4:5]
	v_cmp_lt_f32_e64 s[4:5], 0, v16
	v_cndmask_b32_e64 v12, v12, v14, s[4:5]
	v_mul_f32_e32 v13, 0x37800000, v12
	v_cndmask_b32_e32 v12, v12, v13, vcc
	v_cmp_class_f32_e32 vcc, v11, v9
	v_cndmask_b32_e32 v11, v12, v11, vcc
	ds_write_b32 v4, v11
.LBB17_107:                             ;   in Loop: Header=BB17_105 Depth=1
	s_or_b64 exec, exec, s[8:9]
	s_lshl_b32 s4, s16, 2
	s_mul_i32 s5, s16, 0x44
	s_add_i32 s5, s5, s4
	v_mov_b32_e32 v11, s5
	s_waitcnt lgkmcnt(0)
	ds_read_b32 v13, v11 offset:2176
	v_add_u32_e32 v11, s4, v2
	ds_read_b32 v12, v11
	s_waitcnt lgkmcnt(1)
	v_cmp_neq_f32_e32 vcc, 0, v13
	v_cndmask_b32_e32 v13, 1.0, v13, vcc
	s_nor_b64 s[8:9], vcc, s[2:3]
	s_and_saveexec_b64 s[4:5], s[8:9]
	s_cbranch_execz .LBB17_111
; %bb.108:                              ;   in Loop: Header=BB17_105 Depth=1
	v_mbcnt_lo_u32_b32 v13, exec_lo, 0
	v_mbcnt_hi_u32_b32 v13, exec_hi, v13
	v_cmp_eq_u32_e32 vcc, 0, v13
	s_and_saveexec_b64 s[8:9], vcc
	s_cbranch_execz .LBB17_110
; %bb.109:                              ;   in Loop: Header=BB17_105 Depth=1
	v_mov_b32_e32 v13, s17
	global_atomic_smin v10, v13, s[14:15]
.LBB17_110:                             ;   in Loop: Header=BB17_105 Depth=1
	s_or_b64 exec, exec, s[8:9]
	v_mov_b32_e32 v13, 1.0
.LBB17_111:                             ;   in Loop: Header=BB17_105 Depth=1
	s_or_b64 exec, exec, s[4:5]
	v_cmp_lt_u32_e32 vcc, s16, v1
	s_and_saveexec_b64 s[4:5], vcc
	s_cbranch_execz .LBB17_104
; %bb.112:                              ;   in Loop: Header=BB17_105 Depth=1
	v_lshl_add_u32 v14, s16, 2, v3
	ds_read_b32 v14, v14
	s_waitcnt lgkmcnt(0)
	v_sub_f32_e32 v12, v12, v14
	v_div_scale_f32 v14, s[8:9], v13, v13, v12
	v_div_scale_f32 v15, vcc, v12, v13, v12
	v_rcp_f32_e32 v16, v14
	v_fma_f32 v17, -v14, v16, 1.0
	v_fmac_f32_e32 v16, v17, v16
	v_mul_f32_e32 v17, v15, v16
	v_fma_f32 v18, -v14, v17, v15
	v_fmac_f32_e32 v17, v18, v16
	v_fma_f32 v14, -v14, v17, v15
	v_div_fmas_f32 v14, v14, v16, v17
	v_div_fixup_f32 v12, v14, v13, v12
	ds_write_b32 v11, v12
	s_waitcnt lgkmcnt(0)
	s_and_b64 exec, exec, s[0:1]
	s_cbranch_execz .LBB17_104
; %bb.113:                              ;   in Loop: Header=BB17_105 Depth=1
	s_mov_b64 s[8:9], 0
	v_mov_b32_e32 v11, v8
	v_mov_b32_e32 v13, v7
	;; [unrolled: 1-line block ×3, first 2 shown]
.LBB17_114:                             ;   Parent Loop BB17_105 Depth=1
                                        ; =>  This Inner Loop Header: Depth=2
	ds_read_b32 v15, v11
	ds_read_b32 v16, v13
	v_add_u32_e32 v14, 4, v14
	v_cmp_le_i32_e32 vcc, s44, v14
	s_or_b64 s[8:9], vcc, s[8:9]
	v_add_u32_e32 v11, 0x110, v11
	s_waitcnt lgkmcnt(0)
	v_fmac_f32_e32 v16, v12, v15
	ds_write_b32 v13, v16
	v_add_u32_e32 v13, 16, v13
	s_andn2_b64 exec, exec, s[8:9]
	s_cbranch_execnz .LBB17_114
	s_branch .LBB17_104
.LBB17_115:
	s_and_saveexec_b64 s[2:3], s[0:1]
	s_cbranch_execz .LBB17_124
; %bb.116:
	s_mul_i32 s33, s33, s44
	v_add_u32_e32 v2, s33, v1
	v_mul_lo_u32 v4, v2, s44
	s_cmp_lg_u32 s45, 0
	v_mul_u32_u24_e32 v2, 0x44, v1
	s_movk_i32 s8, 0x880
	v_cmp_gt_i32_e64 s[0:1], s44, v1
	s_cselect_b64 s[4:5], -1, 0
	v_add3_u32 v5, v2, v6, s8
	s_mov_b64 s[8:9], 0
	v_mov_b32_e32 v6, v0
	s_branch .LBB17_120
.LBB17_117:                             ;   in Loop: Header=BB17_120 Depth=1
	v_add_u32_e32 v2, v4, v6
.LBB17_118:                             ;   in Loop: Header=BB17_120 Depth=1
	v_ashrrev_i32_e32 v3, 31, v2
	v_lshlrev_b64 v[2:3], 2, v[2:3]
	v_mov_b32_e32 v8, s21
	v_add_co_u32_e32 v2, vcc, s20, v2
	v_addc_co_u32_e32 v3, vcc, v8, v3, vcc
	s_waitcnt lgkmcnt(0)
	global_store_dword v[2:3], v7, off
.LBB17_119:                             ;   in Loop: Header=BB17_120 Depth=1
	s_or_b64 exec, exec, s[16:17]
	v_add_u32_e32 v6, 4, v6
	v_cmp_le_i32_e32 vcc, s44, v6
	s_or_b64 s[8:9], vcc, s[8:9]
	v_add_u32_e32 v5, 16, v5
	s_andn2_b64 exec, exec, s[8:9]
	s_cbranch_execz .LBB17_124
.LBB17_120:                             ; =>This Inner Loop Header: Depth=1
	s_and_saveexec_b64 s[16:17], s[0:1]
	s_cbranch_execz .LBB17_119
; %bb.121:                              ;   in Loop: Header=BB17_120 Depth=1
	ds_read_b32 v7, v5
	s_and_b64 vcc, exec, s[4:5]
	s_cbranch_vccz .LBB17_123
; %bb.122:                              ;   in Loop: Header=BB17_120 Depth=1
	v_add_u32_e32 v2, s33, v6
	v_mad_u64_u32 v[2:3], s[18:19], v2, s44, v[1:2]
	s_cbranch_execnz .LBB17_118
	s_branch .LBB17_117
.LBB17_123:                             ;   in Loop: Header=BB17_120 Depth=1
                                        ; implicit-def: $vgpr2
	s_branch .LBB17_117
.LBB17_124:
	s_or_b64 exec, exec, s[2:3]
	v_or_b32_e32 v2, v0, v1
	v_cmp_eq_u32_e32 vcc, 0, v2
	s_and_saveexec_b64 s[0:1], vcc
	s_cbranch_execz .LBB17_126
; %bb.125:
	s_add_u32 s2, s10, s6
	s_addc_u32 s3, s11, s7
	v_mov_b32_e32 v2, 0
	v_mov_b32_e32 v3, 1
	s_waitcnt vmcnt(0)
	global_store_dword v2, v3, s[2:3]
.LBB17_126:
	s_or_b64 exec, exec, s[0:1]
.LBB17_127:
	s_endpgm
.LBB17_128:
	s_cbranch_execz .LBB17_127
; %bb.129:
	v_or_b32_e32 v0, v0, v1
	v_cmp_eq_u32_e32 vcc, 0, v0
	s_and_saveexec_b64 s[0:1], vcc
	s_cbranch_execz .LBB17_127
; %bb.130:
	v_mbcnt_lo_u32_b32 v0, exec_lo, 0
	v_mbcnt_hi_u32_b32 v0, exec_hi, v0
	v_cmp_eq_u32_e32 vcc, 0, v0
	s_and_saveexec_b64 s[0:1], vcc
	s_cbranch_execz .LBB17_132
; %bb.131:
	s_add_i32 s2, s12, s13
	v_mov_b32_e32 v0, 0
	v_mov_b32_e32 v1, s2
	global_atomic_smin v0, v1, s[14:15]
.LBB17_132:
	s_or_b64 exec, exec, s[0:1]
	s_add_u32 s0, s10, s6
	s_addc_u32 s1, s11, s7
	v_mov_b32_e32 v0, 0
	v_mov_b32_e32 v1, 1
	s_waitcnt vmcnt(0)
	global_store_dword v0, v1, s[0:1]
	s_endpgm
	.section	.rodata,"a",@progbits
	.p2align	6, 0x0
	.amdhsa_kernel _ZN9rocsparseL18bsric0_9_16_kernelILi64ELi128ELi16EfEEv20rocsparse_direction_iiPKiS3_PT2_S3_PiS3_S6_21rocsparse_index_base_
		.amdhsa_group_segment_fixed_size 5888
		.amdhsa_private_segment_fixed_size 0
		.amdhsa_kernarg_size 76
		.amdhsa_user_sgpr_count 6
		.amdhsa_user_sgpr_private_segment_buffer 1
		.amdhsa_user_sgpr_dispatch_ptr 0
		.amdhsa_user_sgpr_queue_ptr 0
		.amdhsa_user_sgpr_kernarg_segment_ptr 1
		.amdhsa_user_sgpr_dispatch_id 0
		.amdhsa_user_sgpr_flat_scratch_init 0
		.amdhsa_user_sgpr_private_segment_size 0
		.amdhsa_uses_dynamic_stack 0
		.amdhsa_system_sgpr_private_segment_wavefront_offset 0
		.amdhsa_system_sgpr_workgroup_id_x 1
		.amdhsa_system_sgpr_workgroup_id_y 0
		.amdhsa_system_sgpr_workgroup_id_z 0
		.amdhsa_system_sgpr_workgroup_info 0
		.amdhsa_system_vgpr_workitem_id 1
		.amdhsa_next_free_vgpr 65
		.amdhsa_next_free_sgpr 98
		.amdhsa_reserve_vcc 1
		.amdhsa_reserve_flat_scratch 0
		.amdhsa_float_round_mode_32 0
		.amdhsa_float_round_mode_16_64 0
		.amdhsa_float_denorm_mode_32 3
		.amdhsa_float_denorm_mode_16_64 3
		.amdhsa_dx10_clamp 1
		.amdhsa_ieee_mode 1
		.amdhsa_fp16_overflow 0
		.amdhsa_exception_fp_ieee_invalid_op 0
		.amdhsa_exception_fp_denorm_src 0
		.amdhsa_exception_fp_ieee_div_zero 0
		.amdhsa_exception_fp_ieee_overflow 0
		.amdhsa_exception_fp_ieee_underflow 0
		.amdhsa_exception_fp_ieee_inexact 0
		.amdhsa_exception_int_div_zero 0
	.end_amdhsa_kernel
	.section	.text._ZN9rocsparseL18bsric0_9_16_kernelILi64ELi128ELi16EfEEv20rocsparse_direction_iiPKiS3_PT2_S3_PiS3_S6_21rocsparse_index_base_,"axG",@progbits,_ZN9rocsparseL18bsric0_9_16_kernelILi64ELi128ELi16EfEEv20rocsparse_direction_iiPKiS3_PT2_S3_PiS3_S6_21rocsparse_index_base_,comdat
.Lfunc_end17:
	.size	_ZN9rocsparseL18bsric0_9_16_kernelILi64ELi128ELi16EfEEv20rocsparse_direction_iiPKiS3_PT2_S3_PiS3_S6_21rocsparse_index_base_, .Lfunc_end17-_ZN9rocsparseL18bsric0_9_16_kernelILi64ELi128ELi16EfEEv20rocsparse_direction_iiPKiS3_PT2_S3_PiS3_S6_21rocsparse_index_base_
                                        ; -- End function
	.set _ZN9rocsparseL18bsric0_9_16_kernelILi64ELi128ELi16EfEEv20rocsparse_direction_iiPKiS3_PT2_S3_PiS3_S6_21rocsparse_index_base_.num_vgpr, 27
	.set _ZN9rocsparseL18bsric0_9_16_kernelILi64ELi128ELi16EfEEv20rocsparse_direction_iiPKiS3_PT2_S3_PiS3_S6_21rocsparse_index_base_.num_agpr, 0
	.set _ZN9rocsparseL18bsric0_9_16_kernelILi64ELi128ELi16EfEEv20rocsparse_direction_iiPKiS3_PT2_S3_PiS3_S6_21rocsparse_index_base_.numbered_sgpr, 54
	.set _ZN9rocsparseL18bsric0_9_16_kernelILi64ELi128ELi16EfEEv20rocsparse_direction_iiPKiS3_PT2_S3_PiS3_S6_21rocsparse_index_base_.num_named_barrier, 0
	.set _ZN9rocsparseL18bsric0_9_16_kernelILi64ELi128ELi16EfEEv20rocsparse_direction_iiPKiS3_PT2_S3_PiS3_S6_21rocsparse_index_base_.private_seg_size, 0
	.set _ZN9rocsparseL18bsric0_9_16_kernelILi64ELi128ELi16EfEEv20rocsparse_direction_iiPKiS3_PT2_S3_PiS3_S6_21rocsparse_index_base_.uses_vcc, 1
	.set _ZN9rocsparseL18bsric0_9_16_kernelILi64ELi128ELi16EfEEv20rocsparse_direction_iiPKiS3_PT2_S3_PiS3_S6_21rocsparse_index_base_.uses_flat_scratch, 0
	.set _ZN9rocsparseL18bsric0_9_16_kernelILi64ELi128ELi16EfEEv20rocsparse_direction_iiPKiS3_PT2_S3_PiS3_S6_21rocsparse_index_base_.has_dyn_sized_stack, 0
	.set _ZN9rocsparseL18bsric0_9_16_kernelILi64ELi128ELi16EfEEv20rocsparse_direction_iiPKiS3_PT2_S3_PiS3_S6_21rocsparse_index_base_.has_recursion, 0
	.set _ZN9rocsparseL18bsric0_9_16_kernelILi64ELi128ELi16EfEEv20rocsparse_direction_iiPKiS3_PT2_S3_PiS3_S6_21rocsparse_index_base_.has_indirect_call, 0
	.section	.AMDGPU.csdata,"",@progbits
; Kernel info:
; codeLenInByte = 3664
; TotalNumSgprs: 58
; NumVgprs: 27
; ScratchSize: 0
; MemoryBound: 0
; FloatMode: 240
; IeeeMode: 1
; LDSByteSize: 5888 bytes/workgroup (compile time only)
; SGPRBlocks: 12
; VGPRBlocks: 16
; NumSGPRsForWavesPerEU: 102
; NumVGPRsForWavesPerEU: 65
; Occupancy: 3
; WaveLimiterHint : 1
; COMPUTE_PGM_RSRC2:SCRATCH_EN: 0
; COMPUTE_PGM_RSRC2:USER_SGPR: 6
; COMPUTE_PGM_RSRC2:TRAP_HANDLER: 0
; COMPUTE_PGM_RSRC2:TGID_X_EN: 1
; COMPUTE_PGM_RSRC2:TGID_Y_EN: 0
; COMPUTE_PGM_RSRC2:TGID_Z_EN: 0
; COMPUTE_PGM_RSRC2:TIDIG_COMP_CNT: 1
	.section	.text._ZN9rocsparseL19bsric0_17_32_kernelILi64ELi128ELi32EfEEv20rocsparse_direction_iiPKiS3_PT2_S3_PiS3_S6_21rocsparse_index_base_,"axG",@progbits,_ZN9rocsparseL19bsric0_17_32_kernelILi64ELi128ELi32EfEEv20rocsparse_direction_iiPKiS3_PT2_S3_PiS3_S6_21rocsparse_index_base_,comdat
	.globl	_ZN9rocsparseL19bsric0_17_32_kernelILi64ELi128ELi32EfEEv20rocsparse_direction_iiPKiS3_PT2_S3_PiS3_S6_21rocsparse_index_base_ ; -- Begin function _ZN9rocsparseL19bsric0_17_32_kernelILi64ELi128ELi32EfEEv20rocsparse_direction_iiPKiS3_PT2_S3_PiS3_S6_21rocsparse_index_base_
	.p2align	8
	.type	_ZN9rocsparseL19bsric0_17_32_kernelILi64ELi128ELi32EfEEv20rocsparse_direction_iiPKiS3_PT2_S3_PiS3_S6_21rocsparse_index_base_,@function
_ZN9rocsparseL19bsric0_17_32_kernelILi64ELi128ELi32EfEEv20rocsparse_direction_iiPKiS3_PT2_S3_PiS3_S6_21rocsparse_index_base_: ; @_ZN9rocsparseL19bsric0_17_32_kernelILi64ELi128ELi32EfEEv20rocsparse_direction_iiPKiS3_PT2_S3_PiS3_S6_21rocsparse_index_base_
; %bb.0:
	s_load_dwordx8 s[8:15], s[4:5], 0x28
	s_mov_b32 s7, 0
	s_lshl_b64 s[0:1], s[6:7], 2
	s_waitcnt lgkmcnt(0)
	s_add_u32 s0, s12, s0
	s_addc_u32 s1, s13, s1
	s_load_dword s12, s[0:1], 0x0
	s_waitcnt lgkmcnt(0)
	s_ashr_i32 s13, s12, 31
	s_lshl_b64 s[6:7], s[12:13], 2
	s_add_u32 s0, s8, s6
	s_addc_u32 s1, s9, s7
	s_load_dword s33, s[0:1], 0x0
	s_load_dword s13, s[4:5], 0x48
	s_waitcnt lgkmcnt(0)
	s_cmp_lg_u32 s33, -1
	s_cbranch_scc0 .LBB18_118
; %bb.1:
	s_load_dwordx4 s[16:19], s[4:5], 0x10
	s_load_dwordx2 s[20:21], s[4:5], 0x20
	v_lshlrev_b32_e32 v2, 1, v1
	v_lshlrev_b32_e32 v6, 2, v0
	s_waitcnt lgkmcnt(0)
	s_add_u32 s0, s16, s6
	s_addc_u32 s1, s17, s7
	s_load_dword s0, s[0:1], 0x0
	s_waitcnt lgkmcnt(0)
	s_sub_i32 s48, s0, s13
	v_add3_u32 v2, v2, v0, s48
	v_cmp_ge_i32_e32 vcc, s33, v2
	s_and_saveexec_b64 s[0:1], vcc
	s_cbranch_execz .LBB18_4
; %bb.2:
	v_lshlrev_b32_e32 v3, 3, v1
	s_movk_i32 s2, 0x3580
	v_add3_u32 v4, v3, v6, s2
	s_mov_b64 s[2:3], 0
	v_mov_b32_e32 v5, s19
.LBB18_3:                               ; =>This Inner Loop Header: Depth=1
	v_ashrrev_i32_e32 v3, 31, v2
	v_lshlrev_b64 v[7:8], 2, v[2:3]
	v_add_u32_e32 v2, 64, v2
	v_add_co_u32_e32 v7, vcc, s18, v7
	v_addc_co_u32_e32 v8, vcc, v5, v8, vcc
	global_load_dword v3, v[7:8], off
	v_cmp_lt_i32_e32 vcc, s33, v2
	s_or_b64 s[2:3], vcc, s[2:3]
	s_waitcnt vmcnt(0)
	v_subrev_u32_e32 v3, s13, v3
	ds_write_b32 v4, v3
	v_add_u32_e32 v4, 0x100, v4
	s_andn2_b64 exec, exec, s[2:3]
	s_cbranch_execnz .LBB18_3
.LBB18_4:
	s_or_b64 exec, exec, s[0:1]
	v_cmp_gt_u32_e32 vcc, 32, v0
	s_and_saveexec_b64 s[0:1], vcc
	s_cbranch_execz .LBB18_7
; %bb.5:
	v_mul_u32_u24_e32 v3, 0x84, v1
	s_movk_i32 s2, 0x2100
	v_add_u32_e32 v2, -2, v0
	v_add3_u32 v3, v3, v6, s2
	s_mov_b64 s[2:3], 0
	v_mov_b32_e32 v4, 0
.LBB18_6:                               ; =>This Inner Loop Header: Depth=1
	v_add_u32_e32 v2, 2, v2
	v_cmp_lt_u32_e32 vcc, 29, v2
	ds_write_b32 v3, v4
	s_or_b64 s[2:3], vcc, s[2:3]
	v_add_u32_e32 v3, 8, v3
	s_andn2_b64 exec, exec, s[2:3]
	s_cbranch_execnz .LBB18_6
.LBB18_7:
	s_or_b64 exec, exec, s[0:1]
	s_load_dword s46, s[4:5], 0x8
	s_load_dword s47, s[4:5], 0x0
	s_cmp_ge_i32 s48, s33
	s_waitcnt lgkmcnt(0)
	v_cmp_gt_i32_e64 s[0:1], s46, v0
	s_cbranch_scc1 .LBB18_79
; %bb.8:
	v_or_b32_e32 v3, v0, v1
	s_mul_i32 s29, s46, s48
	v_cmp_ne_u32_e64 s[4:5], 0, v3
	v_add_u32_e32 v3, s29, v1
	s_cmp_eq_u32 s47, 0
	v_mul_lo_u32 v9, s46, v1
	v_mul_lo_u32 v12, s46, v3
	;; [unrolled: 1-line block ×3, first 2 shown]
	s_cselect_b64 s[22:23], -1, 0
	s_cmp_lg_u32 s47, 0
	s_movk_i32 s28, 0x84
	s_cselect_b64 s[24:25], -1, 0
	v_mov_b32_e32 v2, 0x1080
	s_cmp_gt_i32 s46, 0
	v_mad_u32_u24 v10, v1, s28, v6
	s_mul_i32 s49, s46, s46
	v_cmp_gt_i32_e64 s[2:3], s46, v1
	v_mul_u32_u24_e32 v7, 0x84, v1
	v_mad_u32_u24 v8, v1, s28, v2
	s_cselect_b64 s[26:27], -1, 0
	s_lshl_b32 s50, s46, 1
	v_add_u32_e32 v13, 0x2100, v10
	v_mad_u32_u24 v14, v0, s28, v2
	v_add_u32_e32 v15, 0x1080, v10
	v_mov_b32_e32 v16, 0
	s_mov_b32 s28, s48
	s_branch .LBB18_10
.LBB18_9:                               ;   in Loop: Header=BB18_10 Depth=1
	s_or_b64 exec, exec, s[30:31]
	s_add_i32 s28, s28, 1
	s_cmp_ge_i32 s28, s33
	s_waitcnt vmcnt(0)
	buffer_wbinvl1_vol
	v_add_u32_e32 v12, s49, v12
	s_cselect_b64 s[30:31], -1, 0
	s_and_b64 vcc, exec, s[30:31]
	s_cbranch_vccnz .LBB18_79
.LBB18_10:                              ; =>This Loop Header: Depth=1
                                        ;     Child Loop BB18_14 Depth 2
                                        ;     Child Loop BB18_26 Depth 2
	;; [unrolled: 1-line block ×4, first 2 shown]
                                        ;       Child Loop BB18_43 Depth 3
                                        ;         Child Loop BB18_48 Depth 4
                                        ;     Child Loop BB18_57 Depth 2
                                        ;       Child Loop BB18_64 Depth 3
                                        ;       Child Loop BB18_68 Depth 3
                                        ;     Child Loop BB18_73 Depth 2
	s_ashr_i32 s29, s28, 31
	s_lshl_b64 s[30:31], s[28:29], 2
	s_add_u32 s30, s18, s30
	s_addc_u32 s31, s19, s31
	s_load_dword s51, s[30:31], 0x0
	s_waitcnt lgkmcnt(0)
	s_sub_i32 s34, s51, s13
	s_ashr_i32 s35, s34, 31
	s_lshl_b64 s[30:31], s[34:35], 2
	s_add_u32 s36, s8, s30
	s_addc_u32 s37, s9, s31
	s_load_dword s52, s[36:37], 0x0
	s_waitcnt lgkmcnt(0)
	s_cmp_eq_u32 s52, -1
	s_cbranch_scc1 .LBB18_78
; %bb.11:                               ;   in Loop: Header=BB18_10 Depth=1
	s_add_u32 s36, s16, s30
	s_addc_u32 s37, s17, s31
	s_load_dword s35, s[36:37], 0x0
	s_mul_i32 s29, s28, s46
	s_and_saveexec_b64 s[36:37], s[0:1]
	s_cbranch_execz .LBB18_24
; %bb.12:                               ;   in Loop: Header=BB18_10 Depth=1
	s_mov_b64 s[38:39], 0
	v_mov_b32_e32 v4, v10
	v_mov_b32_e32 v5, v0
	s_branch .LBB18_14
.LBB18_13:                              ;   in Loop: Header=BB18_14 Depth=2
	s_or_b64 exec, exec, s[42:43]
	v_add_u32_e32 v5, 2, v5
	v_cmp_le_i32_e32 vcc, s46, v5
	s_waitcnt vmcnt(0)
	ds_write_b32 v4, v3 offset:4224
	ds_write_b32 v4, v16
	s_or_b64 s[38:39], vcc, s[38:39]
	v_add_u32_e32 v4, 8, v4
	s_andn2_b64 exec, exec, s[38:39]
	s_cbranch_execz .LBB18_24
.LBB18_14:                              ;   Parent Loop BB18_10 Depth=1
                                        ; =>  This Inner Loop Header: Depth=2
	s_mov_b64 s[42:43], -1
	s_and_b64 vcc, exec, s[24:25]
	s_mov_b64 s[40:41], 0
                                        ; implicit-def: $vgpr2
	s_cbranch_vccz .LBB18_19
; %bb.15:                               ;   in Loop: Header=BB18_14 Depth=2
	s_mov_b64 s[42:43], 0
                                        ; implicit-def: $vgpr2
	s_and_saveexec_b64 s[44:45], s[2:3]
	s_xor_b64 s[44:45], exec, s[44:45]
; %bb.16:                               ;   in Loop: Header=BB18_14 Depth=2
	v_add_u32_e32 v2, s29, v5
	v_mad_u64_u32 v[2:3], s[54:55], v2, s46, v[1:2]
	s_mov_b64 s[40:41], exec
; %bb.17:                               ;   in Loop: Header=BB18_14 Depth=2
	s_or_b64 exec, exec, s[44:45]
	s_and_b64 vcc, exec, s[42:43]
	s_cbranch_vccnz .LBB18_20
.LBB18_18:                              ;   in Loop: Header=BB18_14 Depth=2
	v_mov_b32_e32 v3, 0
	s_and_saveexec_b64 s[42:43], s[40:41]
	s_cbranch_execz .LBB18_13
	s_branch .LBB18_23
.LBB18_19:                              ;   in Loop: Header=BB18_14 Depth=2
	s_and_b64 vcc, exec, s[42:43]
	s_cbranch_vccz .LBB18_18
.LBB18_20:                              ;   in Loop: Header=BB18_14 Depth=2
                                        ; implicit-def: $vgpr2
	s_and_saveexec_b64 s[42:43], s[2:3]
; %bb.21:                               ;   in Loop: Header=BB18_14 Depth=2
	v_add_u32_e32 v2, v12, v5
	s_or_b64 s[40:41], s[40:41], exec
; %bb.22:                               ;   in Loop: Header=BB18_14 Depth=2
	s_or_b64 exec, exec, s[42:43]
	v_mov_b32_e32 v3, 0
	s_and_saveexec_b64 s[42:43], s[40:41]
	s_cbranch_execz .LBB18_13
.LBB18_23:                              ;   in Loop: Header=BB18_14 Depth=2
	v_ashrrev_i32_e32 v3, 31, v2
	v_lshlrev_b64 v[2:3], 2, v[2:3]
	v_mov_b32_e32 v17, s21
	v_add_co_u32_e32 v2, vcc, s20, v2
	v_addc_co_u32_e32 v3, vcc, v17, v3, vcc
	global_load_dword v3, v[2:3], off
	s_branch .LBB18_13
.LBB18_24:                              ;   in Loop: Header=BB18_10 Depth=1
	s_or_b64 exec, exec, s[36:37]
	ds_read_b32 v2, v16 offset:13696
	s_waitcnt lgkmcnt(0)
	s_sub_i32 s36, s35, s13
	s_cmp_le_i32 s36, s52
	s_cselect_b64 s[38:39], -1, 0
	s_mov_b32 s37, 0
	v_cmp_ge_i32_e32 vcc, s34, v2
	s_and_b64 s[38:39], s[38:39], vcc
	s_andn2_b64 vcc, exec, s[38:39]
	s_cbranch_vccnz .LBB18_36
; %bb.25:                               ;   in Loop: Header=BB18_10 Depth=1
	s_mov_b32 s35, 0
	s_mov_b32 s40, 0
.LBB18_26:                              ;   Parent Loop BB18_10 Depth=1
                                        ; =>  This Inner Loop Header: Depth=2
	s_ashr_i32 s37, s36, 31
	s_lshl_b64 s[38:39], s[36:37], 2
	s_add_u32 s38, s18, s38
	s_addc_u32 s39, s19, s39
	s_load_dword s37, s[38:39], 0x0
	s_lshl_b32 s38, s40, 2
	v_mov_b32_e32 v2, s38
	ds_read_b32 v2, v2 offset:13696
	s_mov_b64 s[38:39], -1
	s_waitcnt lgkmcnt(0)
	s_sub_i32 s44, s37, s13
                                        ; implicit-def: $sgpr37
                                        ; implicit-def: $sgpr43
                                        ; implicit-def: $sgpr42
	v_cmp_ge_i32_e32 vcc, s44, v2
	v_readfirstlane_b32 s41, v2
	s_cbranch_vccz .LBB18_32
; %bb.27:                               ;   in Loop: Header=BB18_26 Depth=2
	s_cmp_le_i32 s44, s41
                                        ; implicit-def: $sgpr37
                                        ; implicit-def: $sgpr43
                                        ; implicit-def: $sgpr42
	s_cbranch_scc0 .LBB18_29
; %bb.28:                               ;   in Loop: Header=BB18_26 Depth=2
	s_add_i32 s37, s40, s48
	s_mul_i32 s37, s37, s49
	s_lshl_b32 s38, s35, 2
	v_mov_b32_e32 v2, s38
	v_mov_b32_e32 v3, s37
	s_mul_i32 s37, s36, s49
	v_mov_b32_e32 v4, s37
	v_add_u32_e32 v2, 0x80, v2
	ds_write2st64_b32 v2, v4, v3 offset0:49 offset1:51
	s_add_i32 s42, s40, 1
	s_add_i32 s43, s36, 1
	;; [unrolled: 1-line block ×3, first 2 shown]
	s_mov_b64 s[38:39], 0
.LBB18_29:                              ;   in Loop: Header=BB18_26 Depth=2
	s_andn2_b64 vcc, exec, s[38:39]
	s_cbranch_vccnz .LBB18_31
; %bb.30:                               ;   in Loop: Header=BB18_26 Depth=2
	s_add_i32 s42, s40, 1
	s_mov_b32 s37, s35
	s_mov_b32 s43, s36
.LBB18_31:                              ;   in Loop: Header=BB18_26 Depth=2
	s_mov_b64 s[38:39], 0
.LBB18_32:                              ;   in Loop: Header=BB18_26 Depth=2
	s_andn2_b64 vcc, exec, s[38:39]
	s_cbranch_vccnz .LBB18_34
; %bb.33:                               ;   in Loop: Header=BB18_26 Depth=2
	s_add_i32 s43, s36, 1
	s_mov_b32 s42, s40
	s_mov_b32 s37, s35
.LBB18_34:                              ;   in Loop: Header=BB18_26 Depth=2
	s_cmp_le_i32 s43, s52
	s_cselect_b64 s[38:39], -1, 0
	s_cmp_le_i32 s41, s34
	s_cselect_b64 s[40:41], -1, 0
	s_and_b64 s[38:39], s[38:39], s[40:41]
	s_and_b64 vcc, exec, s[38:39]
	s_cbranch_vccz .LBB18_36
; %bb.35:                               ;   in Loop: Header=BB18_26 Depth=2
	s_mov_b32 s35, s37
	s_mov_b32 s36, s43
	s_mov_b32 s40, s42
	s_branch .LBB18_26
.LBB18_36:                              ;   in Loop: Header=BB18_10 Depth=1
	s_add_u32 s30, s10, s30
	s_addc_u32 s31, s11, s31
	s_waitcnt lgkmcnt(0)
.LBB18_37:                              ;   Parent Loop BB18_10 Depth=1
                                        ; =>  This Inner Loop Header: Depth=2
	global_load_dword v2, v16, s[30:31] glc
	s_waitcnt vmcnt(0)
	v_cmp_eq_u32_e32 vcc, 0, v2
	s_cbranch_vccnz .LBB18_37
; %bb.38:                               ;   in Loop: Header=BB18_10 Depth=1
	s_cmp_lt_i32 s37, 2
	buffer_wbinvl1_vol
	s_cbranch_scc1 .LBB18_54
; %bb.39:                               ;   in Loop: Header=BB18_10 Depth=1
	s_add_i32 s38, s37, -2
	s_mov_b32 s39, 0
	s_branch .LBB18_41
.LBB18_40:                              ;   in Loop: Header=BB18_41 Depth=2
	s_or_b64 exec, exec, s[30:31]
	s_add_i32 s30, s39, 1
	s_cmp_eq_u32 s39, s38
	s_mov_b32 s39, s30
	s_cbranch_scc1 .LBB18_54
.LBB18_41:                              ;   Parent Loop BB18_10 Depth=1
                                        ; =>  This Loop Header: Depth=2
                                        ;       Child Loop BB18_43 Depth 3
                                        ;         Child Loop BB18_48 Depth 4
	s_and_saveexec_b64 s[30:31], s[0:1]
	s_cbranch_execz .LBB18_40
; %bb.42:                               ;   in Loop: Header=BB18_41 Depth=2
	s_lshl_b32 s34, s39, 2
	v_mov_b32_e32 v2, s34
	v_add_u32_e32 v2, 0x80, v2
	ds_read2st64_b32 v[2:3], v2 offset0:49 offset1:51
	s_mov_b64 s[34:35], 0
	v_mov_b32_e32 v21, v0
	s_waitcnt lgkmcnt(0)
	v_add_u32_e32 v17, v3, v9
	v_add_u32_e32 v18, v1, v3
	;; [unrolled: 1-line block ×4, first 2 shown]
.LBB18_43:                              ;   Parent Loop BB18_10 Depth=1
                                        ;     Parent Loop BB18_41 Depth=2
                                        ; =>    This Loop Header: Depth=3
                                        ;         Child Loop BB18_48 Depth 4
	v_mov_b32_e32 v22, 0
	s_mov_b32 s40, 0
	v_mov_b32_e32 v2, v19
	v_mov_b32_e32 v4, v18
	s_mov_b64 s[36:37], -1
	s_and_b64 vcc, exec, s[24:25]
                                        ; implicit-def: $vgpr3
	s_cbranch_vccz .LBB18_48
	s_branch .LBB18_45
.LBB18_44:                              ;   in Loop: Header=BB18_48 Depth=4
	v_mov_b32_e32 v22, v3
	s_mov_b64 s[36:37], -1
	s_and_b64 vcc, exec, s[24:25]
                                        ; implicit-def: $vgpr3
	s_cbranch_vccz .LBB18_48
.LBB18_45:                              ;   in Loop: Header=BB18_43 Depth=3
	v_ashrrev_i32_e32 v3, 31, v2
	v_lshlrev_b64 v[23:24], 2, v[2:3]
	v_mov_b32_e32 v3, s21
	v_add_co_u32_e32 v23, vcc, s20, v23
	v_addc_co_u32_e32 v24, vcc, v3, v24, vcc
	global_load_dword v3, v[23:24], off
	v_mov_b32_e32 v5, 0
	s_and_saveexec_b64 s[36:37], s[2:3]
	s_cbranch_execz .LBB18_47
; %bb.46:                               ;   in Loop: Header=BB18_43 Depth=3
	v_ashrrev_i32_e32 v5, 31, v4
	v_lshlrev_b64 v[23:24], 2, v[4:5]
	v_mov_b32_e32 v5, s21
	v_add_co_u32_e32 v23, vcc, s20, v23
	v_addc_co_u32_e32 v24, vcc, v5, v24, vcc
	global_load_dword v5, v[23:24], off
.LBB18_47:                              ;   in Loop: Header=BB18_43 Depth=3
	s_or_b64 exec, exec, s[36:37]
	s_waitcnt vmcnt(0)
	v_fma_f32 v3, v3, v5, v22
	s_mov_b64 s[36:37], 0
.LBB18_48:                              ;   Parent Loop BB18_10 Depth=1
                                        ;     Parent Loop BB18_41 Depth=2
                                        ;       Parent Loop BB18_43 Depth=3
                                        ; =>      This Inner Loop Header: Depth=4
	s_and_b64 vcc, exec, s[36:37]
	s_cbranch_vccz .LBB18_52
; %bb.49:                               ;   in Loop: Header=BB18_48 Depth=4
	v_add_u32_e32 v23, s40, v20
	v_ashrrev_i32_e32 v24, 31, v23
	v_lshlrev_b64 v[23:24], 2, v[23:24]
	v_mov_b32_e32 v3, s21
	v_add_co_u32_e32 v23, vcc, s20, v23
	v_addc_co_u32_e32 v24, vcc, v3, v24, vcc
	global_load_dword v3, v[23:24], off
	v_mov_b32_e32 v5, 0
	s_and_saveexec_b64 s[36:37], s[2:3]
	s_cbranch_execz .LBB18_51
; %bb.50:                               ;   in Loop: Header=BB18_48 Depth=4
	v_add_u32_e32 v23, s40, v17
	v_ashrrev_i32_e32 v24, 31, v23
	v_lshlrev_b64 v[23:24], 2, v[23:24]
	v_mov_b32_e32 v5, s21
	v_add_co_u32_e32 v23, vcc, s20, v23
	v_addc_co_u32_e32 v24, vcc, v5, v24, vcc
	global_load_dword v5, v[23:24], off
.LBB18_51:                              ;   in Loop: Header=BB18_48 Depth=4
	s_or_b64 exec, exec, s[36:37]
	s_waitcnt vmcnt(0)
	v_fmac_f32_e32 v22, v3, v5
	v_mov_b32_e32 v3, v22
.LBB18_52:                              ;   in Loop: Header=BB18_48 Depth=4
	s_add_i32 s40, s40, 1
	v_add_u32_e32 v4, s46, v4
	s_cmp_eq_u32 s46, s40
	v_add_u32_e32 v2, s46, v2
	s_cbranch_scc0 .LBB18_44
; %bb.53:                               ;   in Loop: Header=BB18_43 Depth=3
	v_lshl_add_u32 v2, v21, 2, v7
	ds_read_b32 v4, v2
	v_add_u32_e32 v21, 2, v21
	v_cmp_le_i32_e32 vcc, s46, v21
	v_add_u32_e32 v19, 2, v19
	s_or_b64 s[34:35], vcc, s[34:35]
	s_waitcnt lgkmcnt(0)
	v_add_f32_e32 v3, v3, v4
	v_add_u32_e32 v20, s50, v20
	ds_write_b32 v2, v3
	s_andn2_b64 exec, exec, s[34:35]
	s_cbranch_execnz .LBB18_43
	s_branch .LBB18_40
.LBB18_54:                              ;   in Loop: Header=BB18_10 Depth=1
	s_andn2_b64 vcc, exec, s[26:27]
	s_waitcnt lgkmcnt(0)
	s_cbranch_vccnz .LBB18_69
; %bb.55:                               ;   in Loop: Header=BB18_10 Depth=1
	s_mul_i32 s36, s49, s52
	s_mov_b32 s37, 0
	v_mov_b32_e32 v2, v14
	s_mov_b32 s38, s36
	s_branch .LBB18_57
.LBB18_56:                              ;   in Loop: Header=BB18_57 Depth=2
	s_or_b64 exec, exec, s[30:31]
	s_add_i32 s37, s37, 1
	s_add_i32 s38, s38, 1
	s_cmp_eq_u32 s37, s46
	v_add_u32_e32 v2, 4, v2
	s_waitcnt lgkmcnt(0)
	s_cbranch_scc1 .LBB18_69
.LBB18_57:                              ;   Parent Loop BB18_10 Depth=1
                                        ; =>  This Loop Header: Depth=2
                                        ;       Child Loop BB18_64 Depth 3
                                        ;       Child Loop BB18_68 Depth 3
	s_mul_i32 s39, s37, s46
	s_add_i32 s39, s39, s36
	s_add_i32 s30, s39, s37
	s_ashr_i32 s31, s30, 31
	s_lshl_b64 s[30:31], s[30:31], 2
	s_add_u32 s30, s20, s30
	s_addc_u32 s31, s21, s31
	global_load_dword v5, v16, s[30:31]
	v_lshl_add_u32 v3, s37, 2, v8
	ds_read_b32 v4, v3
	s_waitcnt vmcnt(0)
	v_cmp_neq_f32_e32 vcc, 0, v5
	v_cndmask_b32_e32 v5, 1.0, v5, vcc
	s_nor_b64 s[34:35], vcc, s[4:5]
	s_and_saveexec_b64 s[30:31], s[34:35]
	s_cbranch_execz .LBB18_61
; %bb.58:                               ;   in Loop: Header=BB18_57 Depth=2
	v_mbcnt_lo_u32_b32 v5, exec_lo, 0
	v_mbcnt_hi_u32_b32 v5, exec_hi, v5
	v_cmp_eq_u32_e32 vcc, 0, v5
	s_and_saveexec_b64 s[34:35], vcc
	s_cbranch_execz .LBB18_60
; %bb.59:                               ;   in Loop: Header=BB18_57 Depth=2
	v_mov_b32_e32 v5, s51
	global_atomic_smin v16, v5, s[14:15]
.LBB18_60:                              ;   in Loop: Header=BB18_57 Depth=2
	s_or_b64 exec, exec, s[34:35]
	v_mov_b32_e32 v5, 1.0
.LBB18_61:                              ;   in Loop: Header=BB18_57 Depth=2
	s_or_b64 exec, exec, s[30:31]
	v_lshl_add_u32 v17, s37, 2, v7
	ds_read_b32 v17, v17
	s_cmp_eq_u32 s37, 0
	s_cbranch_scc1 .LBB18_66
; %bb.62:                               ;   in Loop: Header=BB18_57 Depth=2
	s_mov_b32 s34, 0
	s_mov_b32 s35, s37
	;; [unrolled: 1-line block ×3, first 2 shown]
	v_mov_b32_e32 v18, v8
	s_branch .LBB18_64
.LBB18_63:                              ;   in Loop: Header=BB18_64 Depth=3
	s_ashr_i32 s31, s30, 31
	s_lshl_b64 s[30:31], s[30:31], 2
	s_add_u32 s30, s20, s30
	s_addc_u32 s31, s21, s31
	global_load_dword v19, v16, s[30:31]
	ds_read_b32 v20, v18
	s_add_i32 s34, s34, 1
	s_add_i32 s40, s40, s46
	s_add_i32 s35, s35, -1
	s_cmp_eq_u32 s35, 0
	v_add_u32_e32 v18, 4, v18
	s_waitcnt vmcnt(0) lgkmcnt(0)
	v_fmac_f32_e32 v17, v19, v20
	s_cbranch_scc1 .LBB18_66
.LBB18_64:                              ;   Parent Loop BB18_10 Depth=1
                                        ;     Parent Loop BB18_57 Depth=2
                                        ; =>    This Inner Loop Header: Depth=3
	s_andn2_b64 vcc, exec, s[22:23]
	s_mov_b32 s30, s40
	s_cbranch_vccnz .LBB18_63
; %bb.65:                               ;   in Loop: Header=BB18_64 Depth=3
	s_add_i32 s30, s34, s39
	s_branch .LBB18_63
.LBB18_66:                              ;   in Loop: Header=BB18_57 Depth=2
	s_waitcnt lgkmcnt(0)
	v_sub_f32_e32 v4, v4, v17
	v_div_scale_f32 v17, s[30:31], v5, v5, v4
	v_div_scale_f32 v18, vcc, v4, v5, v4
	v_rcp_f32_e32 v19, v17
	v_fma_f32 v20, -v17, v19, 1.0
	v_fmac_f32_e32 v19, v20, v19
	v_mul_f32_e32 v20, v18, v19
	v_fma_f32 v21, -v17, v20, v18
	v_fmac_f32_e32 v20, v21, v19
	v_fma_f32 v17, -v17, v20, v18
	v_div_fmas_f32 v17, v17, v19, v20
	v_div_fixup_f32 v4, v17, v5, v4
	ds_write_b32 v3, v4
	s_waitcnt lgkmcnt(0)
	s_and_saveexec_b64 s[30:31], s[0:1]
	s_cbranch_execz .LBB18_56
; %bb.67:                               ;   in Loop: Header=BB18_57 Depth=2
	s_mov_b64 s[34:35], 0
	v_mov_b32_e32 v3, v2
	v_mov_b32_e32 v5, v13
	;; [unrolled: 1-line block ×3, first 2 shown]
.LBB18_68:                              ;   Parent Loop BB18_10 Depth=1
                                        ;     Parent Loop BB18_57 Depth=2
                                        ; =>    This Inner Loop Header: Depth=3
	ds_read_b32 v18, v3
	ds_read_b32 v19, v5
	v_add_u32_e32 v17, 2, v17
	v_cmp_le_i32_e32 vcc, s46, v17
	s_or_b64 s[34:35], vcc, s[34:35]
	v_add_u32_e32 v3, 0x108, v3
	s_waitcnt lgkmcnt(0)
	v_fmac_f32_e32 v19, v4, v18
	ds_write_b32 v5, v19
	v_add_u32_e32 v5, 8, v5
	s_andn2_b64 exec, exec, s[34:35]
	s_cbranch_execnz .LBB18_68
	s_branch .LBB18_56
.LBB18_69:                              ;   in Loop: Header=BB18_10 Depth=1
	s_and_saveexec_b64 s[30:31], s[0:1]
	s_cbranch_execz .LBB18_9
; %bb.70:                               ;   in Loop: Header=BB18_10 Depth=1
	s_mov_b64 s[34:35], 0
	v_mov_b32_e32 v4, v15
	v_mov_b32_e32 v5, v0
	s_branch .LBB18_73
.LBB18_71:                              ;   in Loop: Header=BB18_73 Depth=2
	v_ashrrev_i32_e32 v3, 31, v2
	v_lshlrev_b64 v[2:3], 2, v[2:3]
	v_mov_b32_e32 v18, s21
	v_add_co_u32_e32 v2, vcc, s20, v2
	v_addc_co_u32_e32 v3, vcc, v18, v3, vcc
	s_waitcnt lgkmcnt(0)
	global_store_dword v[2:3], v17, off
.LBB18_72:                              ;   in Loop: Header=BB18_73 Depth=2
	s_or_b64 exec, exec, s[36:37]
	v_add_u32_e32 v5, 2, v5
	v_cmp_le_i32_e32 vcc, s46, v5
	s_or_b64 s[34:35], vcc, s[34:35]
	v_add_u32_e32 v4, 8, v4
	s_andn2_b64 exec, exec, s[34:35]
	s_cbranch_execz .LBB18_9
.LBB18_73:                              ;   Parent Loop BB18_10 Depth=1
                                        ; =>  This Inner Loop Header: Depth=2
	s_and_saveexec_b64 s[36:37], s[2:3]
	s_cbranch_execz .LBB18_72
; %bb.74:                               ;   in Loop: Header=BB18_73 Depth=2
	ds_read_b32 v17, v4
	s_mov_b64 s[38:39], -1
	s_and_b64 vcc, exec, s[24:25]
                                        ; implicit-def: $vgpr2
	s_cbranch_vccz .LBB18_76
; %bb.75:                               ;   in Loop: Header=BB18_73 Depth=2
	v_add_u32_e32 v2, s29, v5
	v_mad_u64_u32 v[2:3], s[38:39], v2, s46, v[1:2]
	s_mov_b64 s[38:39], 0
.LBB18_76:                              ;   in Loop: Header=BB18_73 Depth=2
	s_andn2_b64 vcc, exec, s[38:39]
	s_cbranch_vccnz .LBB18_71
; %bb.77:                               ;   in Loop: Header=BB18_73 Depth=2
	v_add_u32_e32 v2, v12, v5
	s_branch .LBB18_71
.LBB18_78:                              ;   in Loop: Header=BB18_10 Depth=1
                                        ; implicit-def: $sgpr28
                                        ; implicit-def: $vgpr12
	s_cbranch_execz .LBB18_10
.LBB18_79:
	v_cmp_gt_i32_e64 s[0:1], s46, v0
	s_and_saveexec_b64 s[4:5], s[0:1]
	s_cbranch_execz .LBB18_92
; %bb.80:
	s_mul_i32 s26, s33, s46
	v_add_u32_e32 v2, s26, v1
	v_mul_lo_u32 v4, v2, s46
	s_cmp_lg_u32 s47, 0
	v_mul_u32_u24_e32 v2, 0x84, v1
	s_movk_i32 s16, 0x1080
	s_cselect_b64 s[8:9], -1, 0
	v_cmp_gt_i32_e64 s[2:3], s46, v1
	v_add3_u32 v5, v2, v6, s16
	s_mov_b64 s[16:17], 0
	v_mov_b32_e32 v7, v0
	s_branch .LBB18_82
.LBB18_81:                              ;   in Loop: Header=BB18_82 Depth=1
	s_or_b64 exec, exec, s[22:23]
	v_add_u32_e32 v7, 2, v7
	v_cmp_le_i32_e32 vcc, s46, v7
	s_waitcnt vmcnt(0)
	ds_write_b32 v5, v3
	s_or_b64 s[16:17], vcc, s[16:17]
	v_add_u32_e32 v5, 8, v5
	s_andn2_b64 exec, exec, s[16:17]
	s_cbranch_execz .LBB18_92
.LBB18_82:                              ; =>This Inner Loop Header: Depth=1
	s_and_b64 vcc, exec, s[8:9]
	s_cbranch_vccz .LBB18_89
; %bb.83:                               ;   in Loop: Header=BB18_82 Depth=1
	s_mov_b64 s[22:23], 0
	s_mov_b64 s[18:19], 0
                                        ; implicit-def: $vgpr2
	s_and_saveexec_b64 s[24:25], s[2:3]
	s_xor_b64 s[24:25], exec, s[24:25]
; %bb.84:                               ;   in Loop: Header=BB18_82 Depth=1
	v_add_u32_e32 v2, s26, v7
	s_mov_b64 s[18:19], exec
	v_mad_u64_u32 v[2:3], s[28:29], v2, s46, v[1:2]
; %bb.85:                               ;   in Loop: Header=BB18_82 Depth=1
	s_or_b64 exec, exec, s[24:25]
	s_and_b64 vcc, exec, s[22:23]
	s_cbranch_vccz .LBB18_90
.LBB18_86:                              ;   in Loop: Header=BB18_82 Depth=1
                                        ; implicit-def: $vgpr2
	s_and_saveexec_b64 s[22:23], s[2:3]
; %bb.87:                               ;   in Loop: Header=BB18_82 Depth=1
	v_add_u32_e32 v2, v4, v7
	s_or_b64 s[18:19], s[18:19], exec
; %bb.88:                               ;   in Loop: Header=BB18_82 Depth=1
	s_or_b64 exec, exec, s[22:23]
	v_mov_b32_e32 v3, 0
	s_and_saveexec_b64 s[22:23], s[18:19]
	s_cbranch_execz .LBB18_81
	s_branch .LBB18_91
.LBB18_89:                              ;   in Loop: Header=BB18_82 Depth=1
	s_mov_b64 s[18:19], 0
                                        ; implicit-def: $vgpr2
	s_cbranch_execnz .LBB18_86
.LBB18_90:                              ;   in Loop: Header=BB18_82 Depth=1
	v_mov_b32_e32 v3, 0
	s_and_saveexec_b64 s[22:23], s[18:19]
	s_cbranch_execz .LBB18_81
.LBB18_91:                              ;   in Loop: Header=BB18_82 Depth=1
	v_ashrrev_i32_e32 v3, 31, v2
	v_lshlrev_b64 v[2:3], 2, v[2:3]
	v_mov_b32_e32 v8, s21
	v_add_co_u32_e32 v2, vcc, s20, v2
	v_addc_co_u32_e32 v3, vcc, v8, v3, vcc
	global_load_dword v3, v[2:3], off
	s_branch .LBB18_81
.LBB18_92:
	s_or_b64 exec, exec, s[4:5]
	s_cmp_lt_i32 s46, 1
	s_waitcnt lgkmcnt(0)
	s_cbranch_scc1 .LBB18_105
; %bb.93:
	v_or_b32_e32 v3, v0, v1
	s_movk_i32 s4, 0x84
	v_mov_b32_e32 v8, 0x1080
	v_cmp_ne_u32_e64 s[2:3], 0, v3
	v_mov_b32_e32 v3, 0x2100
	v_mad_u32_u24 v2, v1, s4, v8
	v_mul_u32_u24_e32 v7, 0x84, v1
	s_movk_i32 s5, 0x2100
	v_mad_u32_u24 v3, v1, s4, v3
	v_lshlrev_b32_e32 v5, 2, v1
	s_mov_b32 s16, 0
	s_add_i32 s17, s12, s13
	v_add_u32_e32 v4, v2, v5
	v_add_u32_e32 v5, v3, v5
	v_add3_u32 v7, v7, v6, s5
	v_mad_u32_u24 v8, v0, s4, v8
	s_mov_b32 s18, 0xf800000
	v_mov_b32_e32 v9, 0x260
	v_mov_b32_e32 v10, 0
	s_branch .LBB18_95
.LBB18_94:                              ;   in Loop: Header=BB18_95 Depth=1
	s_or_b64 exec, exec, s[4:5]
	s_add_i32 s16, s16, 1
	s_cmp_eq_u32 s16, s46
	v_add_u32_e32 v8, 4, v8
	s_waitcnt lgkmcnt(0)
	s_cbranch_scc1 .LBB18_105
.LBB18_95:                              ; =>This Loop Header: Depth=1
                                        ;     Child Loop BB18_104 Depth 2
	v_cmp_eq_u32_e32 vcc, s16, v1
	s_and_saveexec_b64 s[8:9], vcc
	s_cbranch_execz .LBB18_97
; %bb.96:                               ;   in Loop: Header=BB18_95 Depth=1
	ds_read_b32 v11, v4
	ds_read_b32 v12, v5
	s_waitcnt lgkmcnt(0)
	v_sub_f32_e32 v11, v11, v12
	v_cmp_gt_f32_e32 vcc, 0, v11
	v_cndmask_b32_e64 v11, v11, -v11, vcc
	v_mul_f32_e32 v12, 0x4f800000, v11
	v_cmp_gt_f32_e32 vcc, s18, v11
	v_cndmask_b32_e32 v11, v11, v12, vcc
	v_sqrt_f32_e32 v12, v11
	v_add_u32_e32 v13, -1, v12
	v_add_u32_e32 v14, 1, v12
	v_fma_f32 v15, -v13, v12, v11
	v_fma_f32 v16, -v14, v12, v11
	v_cmp_ge_f32_e64 s[4:5], 0, v15
	v_cndmask_b32_e64 v12, v12, v13, s[4:5]
	v_cmp_lt_f32_e64 s[4:5], 0, v16
	v_cndmask_b32_e64 v12, v12, v14, s[4:5]
	v_mul_f32_e32 v13, 0x37800000, v12
	v_cndmask_b32_e32 v12, v12, v13, vcc
	v_cmp_class_f32_e32 vcc, v11, v9
	v_cndmask_b32_e32 v11, v12, v11, vcc
	ds_write_b32 v4, v11
.LBB18_97:                              ;   in Loop: Header=BB18_95 Depth=1
	s_or_b64 exec, exec, s[8:9]
	s_lshl_b32 s4, s16, 2
	s_mul_i32 s5, s16, 0x84
	s_add_i32 s5, s5, s4
	v_mov_b32_e32 v11, s5
	s_waitcnt lgkmcnt(0)
	ds_read_b32 v13, v11 offset:4224
	v_add_u32_e32 v11, s4, v2
	ds_read_b32 v12, v11
	s_waitcnt lgkmcnt(1)
	v_cmp_neq_f32_e32 vcc, 0, v13
	v_cndmask_b32_e32 v13, 1.0, v13, vcc
	s_nor_b64 s[8:9], vcc, s[2:3]
	s_and_saveexec_b64 s[4:5], s[8:9]
	s_cbranch_execz .LBB18_101
; %bb.98:                               ;   in Loop: Header=BB18_95 Depth=1
	v_mbcnt_lo_u32_b32 v13, exec_lo, 0
	v_mbcnt_hi_u32_b32 v13, exec_hi, v13
	v_cmp_eq_u32_e32 vcc, 0, v13
	s_and_saveexec_b64 s[8:9], vcc
	s_cbranch_execz .LBB18_100
; %bb.99:                               ;   in Loop: Header=BB18_95 Depth=1
	v_mov_b32_e32 v13, s17
	global_atomic_smin v10, v13, s[14:15]
.LBB18_100:                             ;   in Loop: Header=BB18_95 Depth=1
	s_or_b64 exec, exec, s[8:9]
	v_mov_b32_e32 v13, 1.0
.LBB18_101:                             ;   in Loop: Header=BB18_95 Depth=1
	s_or_b64 exec, exec, s[4:5]
	v_cmp_lt_u32_e32 vcc, s16, v1
	s_and_saveexec_b64 s[4:5], vcc
	s_cbranch_execz .LBB18_94
; %bb.102:                              ;   in Loop: Header=BB18_95 Depth=1
	v_lshl_add_u32 v14, s16, 2, v3
	ds_read_b32 v14, v14
	s_waitcnt lgkmcnt(0)
	v_sub_f32_e32 v12, v12, v14
	v_div_scale_f32 v14, s[8:9], v13, v13, v12
	v_div_scale_f32 v15, vcc, v12, v13, v12
	v_rcp_f32_e32 v16, v14
	v_fma_f32 v17, -v14, v16, 1.0
	v_fmac_f32_e32 v16, v17, v16
	v_mul_f32_e32 v17, v15, v16
	v_fma_f32 v18, -v14, v17, v15
	v_fmac_f32_e32 v17, v18, v16
	v_fma_f32 v14, -v14, v17, v15
	v_div_fmas_f32 v14, v14, v16, v17
	v_div_fixup_f32 v12, v14, v13, v12
	ds_write_b32 v11, v12
	s_waitcnt lgkmcnt(0)
	s_and_b64 exec, exec, s[0:1]
	s_cbranch_execz .LBB18_94
; %bb.103:                              ;   in Loop: Header=BB18_95 Depth=1
	s_mov_b64 s[8:9], 0
	v_mov_b32_e32 v11, v8
	v_mov_b32_e32 v13, v7
	;; [unrolled: 1-line block ×3, first 2 shown]
.LBB18_104:                             ;   Parent Loop BB18_95 Depth=1
                                        ; =>  This Inner Loop Header: Depth=2
	ds_read_b32 v15, v11
	ds_read_b32 v16, v13
	v_add_u32_e32 v14, 2, v14
	v_cmp_le_i32_e32 vcc, s46, v14
	s_or_b64 s[8:9], vcc, s[8:9]
	v_add_u32_e32 v11, 0x108, v11
	s_waitcnt lgkmcnt(0)
	v_fmac_f32_e32 v16, v12, v15
	ds_write_b32 v13, v16
	v_add_u32_e32 v13, 8, v13
	s_andn2_b64 exec, exec, s[8:9]
	s_cbranch_execnz .LBB18_104
	s_branch .LBB18_94
.LBB18_105:
	s_and_saveexec_b64 s[2:3], s[0:1]
	s_cbranch_execz .LBB18_114
; %bb.106:
	s_mul_i32 s33, s33, s46
	v_add_u32_e32 v2, s33, v1
	v_mul_lo_u32 v4, v2, s46
	s_cmp_lg_u32 s47, 0
	v_mul_u32_u24_e32 v2, 0x84, v1
	s_movk_i32 s8, 0x1080
	v_cmp_gt_i32_e64 s[0:1], s46, v1
	s_cselect_b64 s[4:5], -1, 0
	v_add3_u32 v5, v2, v6, s8
	s_mov_b64 s[8:9], 0
	v_mov_b32_e32 v6, v0
	s_branch .LBB18_110
.LBB18_107:                             ;   in Loop: Header=BB18_110 Depth=1
	v_add_u32_e32 v2, v4, v6
.LBB18_108:                             ;   in Loop: Header=BB18_110 Depth=1
	v_ashrrev_i32_e32 v3, 31, v2
	v_lshlrev_b64 v[2:3], 2, v[2:3]
	v_mov_b32_e32 v8, s21
	v_add_co_u32_e32 v2, vcc, s20, v2
	v_addc_co_u32_e32 v3, vcc, v8, v3, vcc
	s_waitcnt lgkmcnt(0)
	global_store_dword v[2:3], v7, off
.LBB18_109:                             ;   in Loop: Header=BB18_110 Depth=1
	s_or_b64 exec, exec, s[16:17]
	v_add_u32_e32 v6, 2, v6
	v_cmp_le_i32_e32 vcc, s46, v6
	s_or_b64 s[8:9], vcc, s[8:9]
	v_add_u32_e32 v5, 8, v5
	s_andn2_b64 exec, exec, s[8:9]
	s_cbranch_execz .LBB18_114
.LBB18_110:                             ; =>This Inner Loop Header: Depth=1
	s_and_saveexec_b64 s[16:17], s[0:1]
	s_cbranch_execz .LBB18_109
; %bb.111:                              ;   in Loop: Header=BB18_110 Depth=1
	ds_read_b32 v7, v5
	s_and_b64 vcc, exec, s[4:5]
	s_cbranch_vccz .LBB18_113
; %bb.112:                              ;   in Loop: Header=BB18_110 Depth=1
	v_add_u32_e32 v2, s33, v6
	v_mad_u64_u32 v[2:3], s[18:19], v2, s46, v[1:2]
	s_cbranch_execnz .LBB18_108
	s_branch .LBB18_107
.LBB18_113:                             ;   in Loop: Header=BB18_110 Depth=1
                                        ; implicit-def: $vgpr2
	s_branch .LBB18_107
.LBB18_114:
	s_or_b64 exec, exec, s[2:3]
	v_or_b32_e32 v2, v0, v1
	v_cmp_eq_u32_e32 vcc, 0, v2
	s_and_saveexec_b64 s[0:1], vcc
	s_cbranch_execz .LBB18_116
; %bb.115:
	s_add_u32 s2, s10, s6
	s_addc_u32 s3, s11, s7
	v_mov_b32_e32 v2, 0
	v_mov_b32_e32 v3, 1
	s_waitcnt vmcnt(0)
	global_store_dword v2, v3, s[2:3]
.LBB18_116:
	s_or_b64 exec, exec, s[0:1]
.LBB18_117:
	s_endpgm
.LBB18_118:
	s_cbranch_execz .LBB18_117
; %bb.119:
	v_or_b32_e32 v0, v0, v1
	v_cmp_eq_u32_e32 vcc, 0, v0
	s_and_saveexec_b64 s[0:1], vcc
	s_cbranch_execz .LBB18_117
; %bb.120:
	v_mbcnt_lo_u32_b32 v0, exec_lo, 0
	v_mbcnt_hi_u32_b32 v0, exec_hi, v0
	v_cmp_eq_u32_e32 vcc, 0, v0
	s_and_saveexec_b64 s[0:1], vcc
	s_cbranch_execz .LBB18_122
; %bb.121:
	s_add_i32 s2, s12, s13
	v_mov_b32_e32 v0, 0
	v_mov_b32_e32 v1, s2
	global_atomic_smin v0, v1, s[14:15]
.LBB18_122:
	s_or_b64 exec, exec, s[0:1]
	s_add_u32 s0, s10, s6
	s_addc_u32 s1, s11, s7
	v_mov_b32_e32 v0, 0
	v_mov_b32_e32 v1, 1
	s_waitcnt vmcnt(0)
	global_store_dword v0, v1, s[0:1]
	s_endpgm
	.section	.rodata,"a",@progbits
	.p2align	6, 0x0
	.amdhsa_kernel _ZN9rocsparseL19bsric0_17_32_kernelILi64ELi128ELi32EfEEv20rocsparse_direction_iiPKiS3_PT2_S3_PiS3_S6_21rocsparse_index_base_
		.amdhsa_group_segment_fixed_size 14208
		.amdhsa_private_segment_fixed_size 0
		.amdhsa_kernarg_size 76
		.amdhsa_user_sgpr_count 6
		.amdhsa_user_sgpr_private_segment_buffer 1
		.amdhsa_user_sgpr_dispatch_ptr 0
		.amdhsa_user_sgpr_queue_ptr 0
		.amdhsa_user_sgpr_kernarg_segment_ptr 1
		.amdhsa_user_sgpr_dispatch_id 0
		.amdhsa_user_sgpr_flat_scratch_init 0
		.amdhsa_user_sgpr_private_segment_size 0
		.amdhsa_uses_dynamic_stack 0
		.amdhsa_system_sgpr_private_segment_wavefront_offset 0
		.amdhsa_system_sgpr_workgroup_id_x 1
		.amdhsa_system_sgpr_workgroup_id_y 0
		.amdhsa_system_sgpr_workgroup_id_z 0
		.amdhsa_system_sgpr_workgroup_info 0
		.amdhsa_system_vgpr_workitem_id 1
		.amdhsa_next_free_vgpr 129
		.amdhsa_next_free_sgpr 98
		.amdhsa_reserve_vcc 1
		.amdhsa_reserve_flat_scratch 0
		.amdhsa_float_round_mode_32 0
		.amdhsa_float_round_mode_16_64 0
		.amdhsa_float_denorm_mode_32 3
		.amdhsa_float_denorm_mode_16_64 3
		.amdhsa_dx10_clamp 1
		.amdhsa_ieee_mode 1
		.amdhsa_fp16_overflow 0
		.amdhsa_exception_fp_ieee_invalid_op 0
		.amdhsa_exception_fp_denorm_src 0
		.amdhsa_exception_fp_ieee_div_zero 0
		.amdhsa_exception_fp_ieee_overflow 0
		.amdhsa_exception_fp_ieee_underflow 0
		.amdhsa_exception_fp_ieee_inexact 0
		.amdhsa_exception_int_div_zero 0
	.end_amdhsa_kernel
	.section	.text._ZN9rocsparseL19bsric0_17_32_kernelILi64ELi128ELi32EfEEv20rocsparse_direction_iiPKiS3_PT2_S3_PiS3_S6_21rocsparse_index_base_,"axG",@progbits,_ZN9rocsparseL19bsric0_17_32_kernelILi64ELi128ELi32EfEEv20rocsparse_direction_iiPKiS3_PT2_S3_PiS3_S6_21rocsparse_index_base_,comdat
.Lfunc_end18:
	.size	_ZN9rocsparseL19bsric0_17_32_kernelILi64ELi128ELi32EfEEv20rocsparse_direction_iiPKiS3_PT2_S3_PiS3_S6_21rocsparse_index_base_, .Lfunc_end18-_ZN9rocsparseL19bsric0_17_32_kernelILi64ELi128ELi32EfEEv20rocsparse_direction_iiPKiS3_PT2_S3_PiS3_S6_21rocsparse_index_base_
                                        ; -- End function
	.set _ZN9rocsparseL19bsric0_17_32_kernelILi64ELi128ELi32EfEEv20rocsparse_direction_iiPKiS3_PT2_S3_PiS3_S6_21rocsparse_index_base_.num_vgpr, 25
	.set _ZN9rocsparseL19bsric0_17_32_kernelILi64ELi128ELi32EfEEv20rocsparse_direction_iiPKiS3_PT2_S3_PiS3_S6_21rocsparse_index_base_.num_agpr, 0
	.set _ZN9rocsparseL19bsric0_17_32_kernelILi64ELi128ELi32EfEEv20rocsparse_direction_iiPKiS3_PT2_S3_PiS3_S6_21rocsparse_index_base_.numbered_sgpr, 56
	.set _ZN9rocsparseL19bsric0_17_32_kernelILi64ELi128ELi32EfEEv20rocsparse_direction_iiPKiS3_PT2_S3_PiS3_S6_21rocsparse_index_base_.num_named_barrier, 0
	.set _ZN9rocsparseL19bsric0_17_32_kernelILi64ELi128ELi32EfEEv20rocsparse_direction_iiPKiS3_PT2_S3_PiS3_S6_21rocsparse_index_base_.private_seg_size, 0
	.set _ZN9rocsparseL19bsric0_17_32_kernelILi64ELi128ELi32EfEEv20rocsparse_direction_iiPKiS3_PT2_S3_PiS3_S6_21rocsparse_index_base_.uses_vcc, 1
	.set _ZN9rocsparseL19bsric0_17_32_kernelILi64ELi128ELi32EfEEv20rocsparse_direction_iiPKiS3_PT2_S3_PiS3_S6_21rocsparse_index_base_.uses_flat_scratch, 0
	.set _ZN9rocsparseL19bsric0_17_32_kernelILi64ELi128ELi32EfEEv20rocsparse_direction_iiPKiS3_PT2_S3_PiS3_S6_21rocsparse_index_base_.has_dyn_sized_stack, 0
	.set _ZN9rocsparseL19bsric0_17_32_kernelILi64ELi128ELi32EfEEv20rocsparse_direction_iiPKiS3_PT2_S3_PiS3_S6_21rocsparse_index_base_.has_recursion, 0
	.set _ZN9rocsparseL19bsric0_17_32_kernelILi64ELi128ELi32EfEEv20rocsparse_direction_iiPKiS3_PT2_S3_PiS3_S6_21rocsparse_index_base_.has_indirect_call, 0
	.section	.AMDGPU.csdata,"",@progbits
; Kernel info:
; codeLenInByte = 3532
; TotalNumSgprs: 60
; NumVgprs: 25
; ScratchSize: 0
; MemoryBound: 0
; FloatMode: 240
; IeeeMode: 1
; LDSByteSize: 14208 bytes/workgroup (compile time only)
; SGPRBlocks: 12
; VGPRBlocks: 32
; NumSGPRsForWavesPerEU: 102
; NumVGPRsForWavesPerEU: 129
; Occupancy: 1
; WaveLimiterHint : 1
; COMPUTE_PGM_RSRC2:SCRATCH_EN: 0
; COMPUTE_PGM_RSRC2:USER_SGPR: 6
; COMPUTE_PGM_RSRC2:TRAP_HANDLER: 0
; COMPUTE_PGM_RSRC2:TGID_X_EN: 1
; COMPUTE_PGM_RSRC2:TGID_Y_EN: 0
; COMPUTE_PGM_RSRC2:TGID_Z_EN: 0
; COMPUTE_PGM_RSRC2:TIDIG_COMP_CNT: 1
	.section	.text._ZN9rocsparseL23bsric0_binsearch_kernelILj32ELj32ELb0EdEEv20rocsparse_direction_iiPKiS3_PT2_S3_PiS3_S6_21rocsparse_index_base_,"axG",@progbits,_ZN9rocsparseL23bsric0_binsearch_kernelILj32ELj32ELb0EdEEv20rocsparse_direction_iiPKiS3_PT2_S3_PiS3_S6_21rocsparse_index_base_,comdat
	.globl	_ZN9rocsparseL23bsric0_binsearch_kernelILj32ELj32ELb0EdEEv20rocsparse_direction_iiPKiS3_PT2_S3_PiS3_S6_21rocsparse_index_base_ ; -- Begin function _ZN9rocsparseL23bsric0_binsearch_kernelILj32ELj32ELb0EdEEv20rocsparse_direction_iiPKiS3_PT2_S3_PiS3_S6_21rocsparse_index_base_
	.p2align	8
	.type	_ZN9rocsparseL23bsric0_binsearch_kernelILj32ELj32ELb0EdEEv20rocsparse_direction_iiPKiS3_PT2_S3_PiS3_S6_21rocsparse_index_base_,@function
_ZN9rocsparseL23bsric0_binsearch_kernelILj32ELj32ELb0EdEEv20rocsparse_direction_iiPKiS3_PT2_S3_PiS3_S6_21rocsparse_index_base_: ; @_ZN9rocsparseL23bsric0_binsearch_kernelILj32ELj32ELb0EdEEv20rocsparse_direction_iiPKiS3_PT2_S3_PiS3_S6_21rocsparse_index_base_
; %bb.0:
	s_load_dwordx8 s[16:23], s[4:5], 0x28
	s_ashr_i32 s7, s6, 31
	s_lshl_b64 s[0:1], s[6:7], 2
	v_mov_b32_e32 v1, 0
	s_load_dword s33, s[4:5], 0x48
	s_waitcnt lgkmcnt(0)
	s_add_u32 s0, s20, s0
	s_addc_u32 s1, s21, s1
	global_load_dword v3, v1, s[0:1]
	v_mov_b32_e32 v5, s17
	s_waitcnt vmcnt(0)
	v_ashrrev_i32_e32 v4, 31, v3
	v_lshlrev_b64 v[1:2], 2, v[3:4]
	v_add_co_u32_e32 v4, vcc, s16, v1
	v_addc_co_u32_e32 v5, vcc, v5, v2, vcc
	global_load_dword v21, v[4:5], off
	s_waitcnt vmcnt(0)
	v_readfirstlane_b32 s0, v21
	s_cmp_lg_u32 s0, -1
	s_cselect_b64 s[0:1], -1, 0
	s_and_saveexec_b64 s[2:3], s[0:1]
	s_xor_b64 s[14:15], exec, s[2:3]
	s_cbranch_execz .LBB19_69
; %bb.1:
	s_load_dword s52, s[4:5], 0x8
	s_waitcnt lgkmcnt(0)
	v_cmp_gt_i32_e32 vcc, s52, v0
	s_and_saveexec_b64 s[20:21], vcc
	s_cbranch_execz .LBB19_66
; %bb.2:
	s_load_dwordx4 s[24:27], s[4:5], 0x10
	s_load_dword s6, s[4:5], 0x0
	v_add_u32_e32 v22, s33, v3
	s_mul_i32 s53, s52, s52
	s_load_dwordx2 s[28:29], s[4:5], 0x20
	s_waitcnt lgkmcnt(0)
	v_mov_b32_e32 v5, s25
	v_add_co_u32_e32 v4, vcc, s24, v1
	v_addc_co_u32_e32 v5, vcc, v5, v2, vcc
	global_load_dwordx2 v[4:5], v[4:5], off
	v_mul_lo_u32 v28, v21, s53
	s_cmp_eq_u32 s6, 0
	s_mov_b32 s34, 0
	v_mov_b32_e32 v6, s27
	s_cselect_b64 s[2:3], -1, 0
	s_cmp_lg_u32 s6, 0
	v_cmp_ne_u32_e64 s[0:1], 0, v0
	s_mov_b64 s[30:31], 0
	v_mov_b32_e32 v23, 0
	s_brev_b32 s35, 8
	v_mov_b32_e32 v24, 0x260
	v_mov_b32_e32 v25, 0x3ff00000
	v_mov_b32_e32 v26, 0x100
	v_mov_b32_e32 v27, 0xffffff80
	s_cselect_b64 s[36:37], -1, 0
	v_mov_b32_e32 v33, v0
	s_waitcnt vmcnt(0)
	v_subrev_u32_e32 v29, s33, v4
	v_xad_u32 v30, s33, -1, v5
	v_add_u32_e32 v3, v30, v29
	v_ashrrev_i32_e32 v3, 1, v3
	v_mul_lo_u32 v31, s53, v29
	v_ashrrev_i32_e32 v4, 31, v3
	v_lshlrev_b64 v[4:5], 2, v[3:4]
	v_cmp_lt_i32_e64 s[4:5], v29, v21
	v_add_co_u32_e32 v4, vcc, s26, v4
	v_cmp_ge_i32_e64 s[6:7], v29, v21
	v_cmp_lt_i32_e64 s[8:9], v29, v30
	v_add_u32_e32 v32, v31, v0
	v_addc_co_u32_e32 v5, vcc, v6, v5, vcc
	s_branch .LBB19_4
.LBB19_3:                               ;   in Loop: Header=BB19_4 Depth=1
	v_add_u32_e32 v33, 32, v33
	v_cmp_le_i32_e32 vcc, s52, v33
	s_or_b64 s[30:31], vcc, s[30:31]
	v_add_u32_e32 v32, 32, v32
	s_andn2_b64 exec, exec, s[30:31]
	s_cbranch_execz .LBB19_66
.LBB19_4:                               ; =>This Loop Header: Depth=1
                                        ;     Child Loop BB19_9 Depth 2
                                        ;       Child Loop BB19_12 Depth 3
                                        ;       Child Loop BB19_16 Depth 3
                                        ;         Child Loop BB19_18 Depth 4
                                        ;         Child Loop BB19_25 Depth 4
                                        ;           Child Loop BB19_27 Depth 5
                                        ;           Child Loop BB19_33 Depth 5
                                        ;     Child Loop BB19_40 Depth 2
                                        ;       Child Loop BB19_44 Depth 3
                                        ;       Child Loop BB19_52 Depth 3
                                        ;         Child Loop BB19_54 Depth 4
                                        ;       Child Loop BB19_62 Depth 3
	v_mul_lo_u32 v34, v33, s52
	s_and_saveexec_b64 s[10:11], s[6:7]
	s_xor_b64 s[10:11], exec, s[10:11]
; %bb.5:                                ;   in Loop: Header=BB19_4 Depth=1
	v_mul_lo_u32 v34, v33, s52
; %bb.6:                                ;   in Loop: Header=BB19_4 Depth=1
	s_or_saveexec_b64 s[38:39], s[10:11]
	v_mov_b32_e32 v6, 0
	v_mov_b32_e32 v7, 0
	s_xor_b64 exec, exec, s[38:39]
	s_cbranch_execz .LBB19_37
; %bb.7:                                ;   in Loop: Header=BB19_4 Depth=1
	v_mov_b32_e32 v6, 0
	v_mov_b32_e32 v7, 0
	s_mov_b64 s[40:41], 0
	v_mov_b32_e32 v8, v29
	s_branch .LBB19_9
.LBB19_8:                               ;   in Loop: Header=BB19_9 Depth=2
	s_or_b64 exec, exec, s[42:43]
	v_add_u32_e32 v8, 1, v8
	v_cmp_ge_i32_e32 vcc, v8, v21
	s_xor_b64 s[10:11], s[10:11], -1
	s_or_b64 s[10:11], s[10:11], vcc
	s_and_b64 s[10:11], exec, s[10:11]
	s_or_b64 s[40:41], s[10:11], s[40:41]
	s_andn2_b64 exec, exec, s[40:41]
	s_cbranch_execz .LBB19_36
.LBB19_9:                               ;   Parent Loop BB19_4 Depth=1
                                        ; =>  This Loop Header: Depth=2
                                        ;       Child Loop BB19_12 Depth 3
                                        ;       Child Loop BB19_16 Depth 3
                                        ;         Child Loop BB19_18 Depth 4
                                        ;         Child Loop BB19_25 Depth 4
                                        ;           Child Loop BB19_27 Depth 5
                                        ;           Child Loop BB19_33 Depth 5
	v_ashrrev_i32_e32 v9, 31, v8
	v_lshlrev_b64 v[9:10], 2, v[8:9]
	v_mov_b32_e32 v11, s27
	v_add_co_u32_e32 v9, vcc, s26, v9
	v_addc_co_u32_e32 v10, vcc, v11, v10, vcc
	global_load_dword v35, v[9:10], off
	v_mov_b32_e32 v13, s17
	s_waitcnt vmcnt(0)
	v_subrev_u32_e32 v9, s33, v35
	v_ashrrev_i32_e32 v10, 31, v9
	v_lshlrev_b64 v[10:11], 2, v[9:10]
	v_add_co_u32_e32 v12, vcc, s16, v10
	v_addc_co_u32_e32 v13, vcc, v13, v11, vcc
	global_load_dword v36, v[12:13], off
	s_waitcnt vmcnt(0)
	v_cmp_ne_u32_e64 s[10:11], -1, v36
	s_and_saveexec_b64 s[42:43], s[10:11]
	s_cbranch_execz .LBB19_8
; %bb.10:                               ;   in Loop: Header=BB19_9 Depth=2
	v_mov_b32_e32 v13, s25
	v_add_co_u32_e32 v12, vcc, s24, v10
	v_addc_co_u32_e32 v13, vcc, v13, v11, vcc
	global_load_dword v12, v[12:13], off
	v_mov_b32_e32 v13, s19
	v_add_co_u32_e32 v10, vcc, s18, v10
	v_addc_co_u32_e32 v11, vcc, v13, v11, vcc
	global_load_dword v13, v[10:11], off glc
	s_waitcnt vmcnt(0)
	v_cmp_eq_u32_e32 vcc, 0, v13
	s_and_saveexec_b64 s[12:13], vcc
	s_cbranch_execz .LBB19_13
; %bb.11:                               ;   in Loop: Header=BB19_9 Depth=2
	s_mov_b64 s[44:45], 0
.LBB19_12:                              ;   Parent Loop BB19_4 Depth=1
                                        ;     Parent Loop BB19_9 Depth=2
                                        ; =>    This Inner Loop Header: Depth=3
	global_load_dword v13, v[10:11], off glc
	s_waitcnt vmcnt(0)
	v_cmp_ne_u32_e32 vcc, 0, v13
	s_or_b64 s[44:45], vcc, s[44:45]
	s_andn2_b64 exec, exec, s[44:45]
	s_cbranch_execnz .LBB19_12
.LBB19_13:                              ;   in Loop: Header=BB19_9 Depth=2
	s_or_b64 exec, exec, s[12:13]
	v_subrev_u32_e32 v37, s33, v12
	v_mul_lo_u32 v10, v8, s53
	v_mul_lo_u32 v38, v9, s52
	;; [unrolled: 1-line block ×4, first 2 shown]
	v_add_u32_e32 v40, v10, v33
	v_add_u32_e32 v42, v10, v34
	v_cmp_le_i32_e64 s[12:13], v37, v36
	s_mov_b32 s54, 0
	buffer_wbinvl1_vol
	s_branch .LBB19_16
.LBB19_14:                              ;   in Loop: Header=BB19_16 Depth=3
	s_or_b64 exec, exec, s[46:47]
.LBB19_15:                              ;   in Loop: Header=BB19_16 Depth=3
	s_or_b64 exec, exec, s[44:45]
	s_waitcnt vmcnt(0)
	v_add_f64 v[13:14], v[13:14], -v[15:16]
	s_add_i32 s54, s54, 1
	s_cmp_eq_u32 s54, s52
	v_add_u32_e32 v41, 1, v41
	v_div_scale_f64 v[15:16], s[44:45], v[9:10], v[9:10], v[13:14]
	v_div_scale_f64 v[43:44], vcc, v[13:14], v[9:10], v[13:14]
	v_rcp_f64_e32 v[17:18], v[15:16]
	v_fma_f64 v[19:20], -v[15:16], v[17:18], 1.0
	v_fma_f64 v[17:18], v[17:18], v[19:20], v[17:18]
	v_fma_f64 v[19:20], -v[15:16], v[17:18], 1.0
	v_fma_f64 v[17:18], v[17:18], v[19:20], v[17:18]
	v_mul_f64 v[19:20], v[43:44], v[17:18]
	v_fma_f64 v[15:16], -v[15:16], v[19:20], v[43:44]
	v_div_fmas_f64 v[15:16], v[15:16], v[17:18], v[19:20]
	v_div_fixup_f64 v[9:10], v[15:16], v[9:10], v[13:14]
	v_fma_f64 v[6:7], v[9:10], v[9:10], v[6:7]
	global_store_dwordx2 v[11:12], v[9:10], off
	s_cbranch_scc1 .LBB19_8
.LBB19_16:                              ;   Parent Loop BB19_4 Depth=1
                                        ;     Parent Loop BB19_9 Depth=2
                                        ; =>    This Loop Header: Depth=3
                                        ;         Child Loop BB19_18 Depth 4
                                        ;         Child Loop BB19_25 Depth 4
                                        ;           Child Loop BB19_27 Depth 5
                                        ;           Child Loop BB19_33 Depth 5
	s_mul_i32 s55, s54, s52
	s_add_i32 s44, s55, s54
	v_add_u32_e32 v9, s44, v39
	v_ashrrev_i32_e32 v10, 31, v9
	v_lshlrev_b64 v[9:10], 3, v[9:10]
	v_mov_b32_e32 v11, s29
	v_add_co_u32_e32 v9, vcc, s28, v9
	v_addc_co_u32_e32 v10, vcc, v11, v10, vcc
	global_load_dwordx2 v[9:10], v[9:10], off
	s_waitcnt vmcnt(0)
	v_cmp_neq_f64_e32 vcc, 0, v[9:10]
	v_cndmask_b32_e32 v10, v25, v10, vcc
	s_nor_b64 s[46:47], vcc, s[0:1]
	v_cndmask_b32_e32 v9, 0, v9, vcc
	s_and_saveexec_b64 s[44:45], s[46:47]
	s_cbranch_execz .LBB19_22
; %bb.17:                               ;   in Loop: Header=BB19_16 Depth=3
	s_mov_b64 s[46:47], exec
	s_brev_b32 s48, -2
.LBB19_18:                              ;   Parent Loop BB19_4 Depth=1
                                        ;     Parent Loop BB19_9 Depth=2
                                        ;       Parent Loop BB19_16 Depth=3
                                        ; =>      This Inner Loop Header: Depth=4
	s_ff1_i32_b64 s49, s[46:47]
	v_readlane_b32 s56, v35, s49
	s_lshl_b64 s[50:51], 1, s49
	s_min_i32 s48, s48, s56
	s_andn2_b64 s[46:47], s[46:47], s[50:51]
	s_cmp_lg_u64 s[46:47], 0
	s_cbranch_scc1 .LBB19_18
; %bb.19:                               ;   in Loop: Header=BB19_16 Depth=3
	v_mbcnt_lo_u32_b32 v9, exec_lo, 0
	v_mbcnt_hi_u32_b32 v9, exec_hi, v9
	v_cmp_eq_u32_e32 vcc, 0, v9
	s_and_saveexec_b64 s[46:47], vcc
	s_xor_b64 s[46:47], exec, s[46:47]
	s_cbranch_execz .LBB19_21
; %bb.20:                               ;   in Loop: Header=BB19_16 Depth=3
	v_mov_b32_e32 v9, s48
	global_atomic_smin v23, v9, s[22:23]
.LBB19_21:                              ;   in Loop: Header=BB19_16 Depth=3
	s_or_b64 exec, exec, s[46:47]
	v_mov_b32_e32 v9, 0
	v_mov_b32_e32 v10, 0x3ff00000
.LBB19_22:                              ;   in Loop: Header=BB19_16 Depth=3
	s_or_b64 exec, exec, s[44:45]
	v_add_u32_e32 v11, s55, v40
	v_add_u32_e32 v12, s54, v42
	v_cndmask_b32_e64 v11, v11, v12, s[2:3]
	v_ashrrev_i32_e32 v12, 31, v11
	v_lshlrev_b64 v[11:12], 3, v[11:12]
	v_mov_b32_e32 v13, s29
	v_add_co_u32_e32 v11, vcc, s28, v11
	v_addc_co_u32_e32 v12, vcc, v13, v12, vcc
	global_load_dwordx2 v[13:14], v[11:12], off
	v_mov_b32_e32 v15, 0
	v_mov_b32_e32 v16, 0
	s_and_saveexec_b64 s[44:45], s[12:13]
	s_cbranch_execz .LBB19_15
; %bb.23:                               ;   in Loop: Header=BB19_16 Depth=3
	global_load_dword v43, v[4:5], off
	v_mov_b32_e32 v15, 0
	v_add_u32_e32 v44, s54, v38
	v_mov_b32_e32 v16, 0
	s_mov_b64 s[46:47], 0
	v_mov_b32_e32 v45, v41
	v_mov_b32_e32 v17, v37
	s_branch .LBB19_25
.LBB19_24:                              ;   in Loop: Header=BB19_25 Depth=4
	s_or_b64 exec, exec, s[48:49]
	v_add_u32_e32 v18, 1, v17
	v_cmp_ge_i32_e32 vcc, v17, v36
	v_add_u32_e32 v45, s53, v45
	s_or_b64 s[46:47], vcc, s[46:47]
	v_mov_b32_e32 v17, v18
	s_andn2_b64 exec, exec, s[46:47]
	s_cbranch_execz .LBB19_14
.LBB19_25:                              ;   Parent Loop BB19_4 Depth=1
                                        ;     Parent Loop BB19_9 Depth=2
                                        ;       Parent Loop BB19_16 Depth=3
                                        ; =>      This Loop Header: Depth=4
                                        ;           Child Loop BB19_27 Depth 5
                                        ;           Child Loop BB19_33 Depth 5
	v_ashrrev_i32_e32 v18, 31, v17
	v_lshlrev_b64 v[18:19], 2, v[17:18]
	v_mov_b32_e32 v20, s27
	v_add_co_u32_e32 v18, vcc, s26, v18
	v_addc_co_u32_e32 v19, vcc, v20, v19, vcc
	global_load_dword v20, v[18:19], off
	s_waitcnt vmcnt(1)
	v_mov_b32_e32 v19, v43
	v_mov_b32_e32 v18, v3
	s_and_saveexec_b64 s[48:49], s[8:9]
	s_cbranch_execz .LBB19_29
; %bb.26:                               ;   in Loop: Header=BB19_25 Depth=4
	s_mov_b64 s[50:51], 0
	v_mov_b32_e32 v19, v43
	v_mov_b32_e32 v18, v3
	v_mov_b32_e32 v46, v30
	v_mov_b32_e32 v47, v29
.LBB19_27:                              ;   Parent Loop BB19_4 Depth=1
                                        ;     Parent Loop BB19_9 Depth=2
                                        ;       Parent Loop BB19_16 Depth=3
                                        ;         Parent Loop BB19_25 Depth=4
                                        ; =>        This Inner Loop Header: Depth=5
	v_add_u32_e32 v48, 1, v18
	s_waitcnt vmcnt(0)
	v_cmp_lt_i32_e32 vcc, v19, v20
	v_cndmask_b32_e32 v47, v47, v48, vcc
	v_cndmask_b32_e32 v46, v18, v46, vcc
	v_add_u32_e32 v18, v46, v47
	v_ashrrev_i32_e32 v18, 1, v18
	v_ashrrev_i32_e32 v19, 31, v18
	v_lshlrev_b64 v[48:49], 2, v[18:19]
	v_mov_b32_e32 v19, s27
	v_add_co_u32_e32 v48, vcc, s26, v48
	v_addc_co_u32_e32 v49, vcc, v19, v49, vcc
	global_load_dword v19, v[48:49], off
	v_cmp_ge_i32_e32 vcc, v47, v46
	s_or_b64 s[50:51], vcc, s[50:51]
	s_andn2_b64 exec, exec, s[50:51]
	s_cbranch_execnz .LBB19_27
; %bb.28:                               ;   in Loop: Header=BB19_25 Depth=4
	s_or_b64 exec, exec, s[50:51]
.LBB19_29:                              ;   in Loop: Header=BB19_25 Depth=4
	s_or_b64 exec, exec, s[48:49]
	s_waitcnt vmcnt(0)
	v_cmp_eq_u32_e32 vcc, v19, v20
	s_and_saveexec_b64 s[48:49], vcc
	s_cbranch_execz .LBB19_24
; %bb.30:                               ;   in Loop: Header=BB19_25 Depth=4
	v_mul_lo_u32 v19, v17, s53
	v_mul_lo_u32 v18, v18, s53
	v_subrev_u32_e32 v20, s33, v20
	v_mul_lo_u32 v46, v20, s52
	v_add_u32_e32 v47, s55, v19
	v_add_u32_e32 v48, v18, v34
	;; [unrolled: 1-line block ×3, first 2 shown]
	s_mov_b32 s56, 0
	v_mov_b32_e32 v50, v45
	s_branch .LBB19_33
.LBB19_31:                              ;   in Loop: Header=BB19_33 Depth=5
	v_ashrrev_i32_e32 v20, 31, v19
	v_lshlrev_b64 v[19:20], 3, v[19:20]
	v_mov_b32_e32 v52, s29
	v_add_co_u32_e32 v51, vcc, s28, v19
	v_ashrrev_i32_e32 v19, 31, v18
	v_lshlrev_b64 v[18:19], 3, v[18:19]
	v_addc_co_u32_e32 v52, vcc, v52, v20, vcc
	v_mov_b32_e32 v20, s29
	v_add_co_u32_e32 v18, vcc, s28, v18
	v_addc_co_u32_e32 v19, vcc, v20, v19, vcc
	global_load_dwordx2 v[51:52], v[51:52], off
	s_nop 0
	global_load_dwordx2 v[18:19], v[18:19], off
	s_waitcnt vmcnt(0)
	v_fma_f64 v[15:16], v[51:52], v[18:19], v[15:16]
.LBB19_32:                              ;   in Loop: Header=BB19_33 Depth=5
	s_or_b64 exec, exec, s[50:51]
	s_add_i32 s56, s56, 1
	v_add_u32_e32 v49, s52, v49
	s_cmp_lg_u32 s52, s56
	v_add_u32_e32 v50, s52, v50
	s_cbranch_scc0 .LBB19_24
.LBB19_33:                              ;   Parent Loop BB19_4 Depth=1
                                        ;     Parent Loop BB19_9 Depth=2
                                        ;       Parent Loop BB19_16 Depth=3
                                        ;         Parent Loop BB19_25 Depth=4
                                        ; =>        This Inner Loop Header: Depth=5
	v_add_u32_e32 v18, s56, v46
	v_cmp_lt_i32_e32 vcc, v18, v44
	s_and_saveexec_b64 s[50:51], vcc
	s_cbranch_execz .LBB19_32
; %bb.34:                               ;   in Loop: Header=BB19_33 Depth=5
	s_andn2_b64 vcc, exec, s[2:3]
	v_mov_b32_e32 v18, v49
	v_mov_b32_e32 v19, v50
	s_cbranch_vccnz .LBB19_31
; %bb.35:                               ;   in Loop: Header=BB19_33 Depth=5
	v_add_u32_e32 v19, s56, v47
	v_add_u32_e32 v18, s56, v48
	s_branch .LBB19_31
.LBB19_36:                              ;   in Loop: Header=BB19_4 Depth=1
	s_or_b64 exec, exec, s[40:41]
.LBB19_37:                              ;   in Loop: Header=BB19_4 Depth=1
	s_or_b64 exec, exec, s[38:39]
	v_add_u32_e32 v19, v34, v28
	s_mov_b32 s42, 0
	v_mov_b32_e32 v20, v31
	s_branch .LBB19_40
.LBB19_38:                              ;   in Loop: Header=BB19_40 Depth=2
	s_waitcnt vmcnt(0)
	v_add_f64 v[12:13], v[12:13], -v[14:15]
	v_div_scale_f64 v[14:15], s[12:13], v[8:9], v[8:9], v[12:13]
	v_div_scale_f64 v[37:38], vcc, v[12:13], v[8:9], v[12:13]
	v_rcp_f64_e32 v[16:17], v[14:15]
	v_fma_f64 v[35:36], -v[14:15], v[16:17], 1.0
	v_fma_f64 v[16:17], v[16:17], v[35:36], v[16:17]
	v_fma_f64 v[35:36], -v[14:15], v[16:17], 1.0
	v_fma_f64 v[16:17], v[16:17], v[35:36], v[16:17]
	v_mul_f64 v[35:36], v[37:38], v[16:17]
	v_fma_f64 v[14:15], -v[14:15], v[35:36], v[37:38]
	v_div_fmas_f64 v[14:15], v[14:15], v[16:17], v[35:36]
	v_div_fixup_f64 v[8:9], v[14:15], v[8:9], v[12:13]
	v_fma_f64 v[6:7], v[8:9], v[8:9], v[6:7]
	global_store_dwordx2 v[10:11], v[8:9], off
.LBB19_39:                              ;   in Loop: Header=BB19_40 Depth=2
	s_or_b64 exec, exec, s[10:11]
	s_add_i32 s42, s42, 1
	s_cmp_eq_u32 s42, s52
	v_add_u32_e32 v20, 1, v20
	s_waitcnt vmcnt(0)
	buffer_wbinvl1_vol
	s_cbranch_scc1 .LBB19_3
.LBB19_40:                              ;   Parent Loop BB19_4 Depth=1
                                        ; =>  This Loop Header: Depth=2
                                        ;       Child Loop BB19_44 Depth 3
                                        ;       Child Loop BB19_52 Depth 3
                                        ;         Child Loop BB19_54 Depth 4
                                        ;       Child Loop BB19_62 Depth 3
	s_mul_i32 s43, s42, s52
	v_add_u32_e32 v35, s43, v28
	v_add_u32_e32 v8, s42, v35
	v_ashrrev_i32_e32 v9, 31, v8
	v_lshlrev_b64 v[8:9], 3, v[8:9]
	v_cmp_eq_u32_e32 vcc, s42, v33
	s_and_saveexec_b64 s[10:11], vcc
	s_cbranch_execz .LBB19_42
; %bb.41:                               ;   in Loop: Header=BB19_40 Depth=2
	v_mov_b32_e32 v11, s29
	v_add_co_u32_e32 v10, vcc, s28, v8
	v_addc_co_u32_e32 v11, vcc, v11, v9, vcc
	global_load_dwordx2 v[12:13], v[10:11], off
	s_waitcnt vmcnt(0)
	v_add_f64 v[12:13], v[12:13], -v[6:7]
	v_cmp_gt_f64_e32 vcc, 0, v[12:13]
	v_xor_b32_e32 v14, 0x80000000, v13
	v_cndmask_b32_e32 v13, v13, v14, vcc
	v_cmp_gt_f64_e32 vcc, s[34:35], v[12:13]
	v_cndmask_b32_e32 v14, 0, v26, vcc
	v_ldexp_f64 v[12:13], v[12:13], v14
	v_rsq_f64_e32 v[14:15], v[12:13]
	v_mul_f64 v[16:17], v[12:13], v[14:15]
	v_mul_f64 v[14:15], v[14:15], 0.5
	v_fma_f64 v[36:37], -v[14:15], v[16:17], 0.5
	v_fma_f64 v[16:17], v[16:17], v[36:37], v[16:17]
	v_fma_f64 v[14:15], v[14:15], v[36:37], v[14:15]
	v_fma_f64 v[36:37], -v[16:17], v[16:17], v[12:13]
	v_fma_f64 v[16:17], v[36:37], v[14:15], v[16:17]
	v_fma_f64 v[36:37], -v[16:17], v[16:17], v[12:13]
	v_fma_f64 v[14:15], v[36:37], v[14:15], v[16:17]
	v_cndmask_b32_e32 v16, 0, v27, vcc
	v_cmp_class_f64_e32 vcc, v[12:13], v24
	v_ldexp_f64 v[14:15], v[14:15], v16
	v_cndmask_b32_e32 v13, v15, v13, vcc
	v_cndmask_b32_e32 v12, v14, v12, vcc
	global_store_dwordx2 v[10:11], v[12:13], off
.LBB19_42:                              ;   in Loop: Header=BB19_40 Depth=2
	s_or_b64 exec, exec, s[10:11]
	v_mov_b32_e32 v10, s29
	v_add_co_u32_e32 v8, vcc, s28, v8
	v_addc_co_u32_e32 v9, vcc, v10, v9, vcc
	s_waitcnt vmcnt(0)
	buffer_wbinvl1_vol
	global_load_dwordx2 v[8:9], v[8:9], off
	s_waitcnt vmcnt(0)
	v_cmp_neq_f64_e32 vcc, 0, v[8:9]
	v_cndmask_b32_e32 v9, v25, v9, vcc
	s_nor_b64 s[12:13], vcc, s[0:1]
	v_cndmask_b32_e32 v8, 0, v8, vcc
	s_and_saveexec_b64 s[10:11], s[12:13]
	s_cbranch_execz .LBB19_48
; %bb.43:                               ;   in Loop: Header=BB19_40 Depth=2
	s_mov_b64 s[12:13], exec
	s_brev_b32 s38, -2
.LBB19_44:                              ;   Parent Loop BB19_4 Depth=1
                                        ;     Parent Loop BB19_40 Depth=2
                                        ; =>    This Inner Loop Header: Depth=3
	s_ff1_i32_b64 s39, s[12:13]
	v_readlane_b32 s44, v22, s39
	s_lshl_b64 s[40:41], 1, s39
	s_min_i32 s38, s38, s44
	s_andn2_b64 s[12:13], s[12:13], s[40:41]
	s_cmp_lg_u64 s[12:13], 0
	s_cbranch_scc1 .LBB19_44
; %bb.45:                               ;   in Loop: Header=BB19_40 Depth=2
	v_mbcnt_lo_u32_b32 v8, exec_lo, 0
	v_mbcnt_hi_u32_b32 v8, exec_hi, v8
	v_cmp_eq_u32_e32 vcc, 0, v8
	s_and_saveexec_b64 s[12:13], vcc
	s_xor_b64 s[12:13], exec, s[12:13]
	s_cbranch_execz .LBB19_47
; %bb.46:                               ;   in Loop: Header=BB19_40 Depth=2
	v_mov_b32_e32 v8, s38
	global_atomic_smin v23, v8, s[22:23]
.LBB19_47:                              ;   in Loop: Header=BB19_40 Depth=2
	s_or_b64 exec, exec, s[12:13]
	v_mov_b32_e32 v8, 0
	v_mov_b32_e32 v9, 0x3ff00000
.LBB19_48:                              ;   in Loop: Header=BB19_40 Depth=2
	s_or_b64 exec, exec, s[10:11]
	v_cmp_lt_i32_e32 vcc, s42, v33
	s_and_saveexec_b64 s[10:11], vcc
	s_cbranch_execz .LBB19_39
; %bb.49:                               ;   in Loop: Header=BB19_40 Depth=2
	v_add_u32_e32 v10, v35, v33
	v_add_u32_e32 v11, s42, v19
	v_cndmask_b32_e64 v10, v10, v11, s[2:3]
	v_ashrrev_i32_e32 v11, 31, v10
	v_lshlrev_b64 v[10:11], 3, v[10:11]
	v_mov_b32_e32 v12, s29
	v_add_co_u32_e32 v10, vcc, s28, v10
	v_addc_co_u32_e32 v11, vcc, v12, v11, vcc
	global_load_dwordx2 v[12:13], v[10:11], off
	v_mov_b32_e32 v14, 0
	v_mov_b32_e32 v15, 0
	s_and_saveexec_b64 s[12:13], s[4:5]
	s_cbranch_execz .LBB19_59
; %bb.50:                               ;   in Loop: Header=BB19_40 Depth=2
	v_mov_b32_e32 v14, 0
	v_mov_b32_e32 v15, 0
	s_mov_b64 s[38:39], 0
	v_mov_b32_e32 v36, v20
	v_mov_b32_e32 v37, v32
	;; [unrolled: 1-line block ×3, first 2 shown]
	s_branch .LBB19_52
.LBB19_51:                              ;   in Loop: Header=BB19_52 Depth=3
	v_add_u32_e32 v38, 1, v38
	v_cmp_ge_i32_e32 vcc, v38, v21
	v_add_u32_e32 v37, s53, v37
	s_or_b64 s[38:39], vcc, s[38:39]
	v_add_u32_e32 v36, s53, v36
	s_andn2_b64 exec, exec, s[38:39]
	s_cbranch_execz .LBB19_58
.LBB19_52:                              ;   Parent Loop BB19_4 Depth=1
                                        ;     Parent Loop BB19_40 Depth=2
                                        ; =>    This Loop Header: Depth=3
                                        ;         Child Loop BB19_54 Depth 4
	v_mul_lo_u32 v16, v38, s53
	s_mov_b32 s44, 0
	s_mov_b32 s45, s52
	;; [unrolled: 1-line block ×3, first 2 shown]
	v_add_u32_e32 v39, s43, v16
	v_add_u32_e32 v40, v16, v34
	s_branch .LBB19_54
.LBB19_53:                              ;   in Loop: Header=BB19_54 Depth=4
	v_ashrrev_i32_e32 v18, 31, v17
	v_lshlrev_b64 v[17:18], 3, v[17:18]
	v_mov_b32_e32 v43, s29
	v_add_co_u32_e32 v41, vcc, s28, v17
	v_ashrrev_i32_e32 v17, 31, v16
	v_lshlrev_b64 v[16:17], 3, v[16:17]
	v_addc_co_u32_e32 v42, vcc, v43, v18, vcc
	v_add_co_u32_e32 v16, vcc, s28, v16
	v_addc_co_u32_e32 v17, vcc, v43, v17, vcc
	global_load_dwordx2 v[43:44], v[41:42], off
	global_load_dwordx2 v[45:46], v[16:17], off
	s_add_i32 s46, s46, 1
	s_add_i32 s44, s44, s52
	s_add_i32 s45, s45, -1
	s_cmp_eq_u32 s45, 0
	s_waitcnt vmcnt(0)
	v_fma_f64 v[14:15], v[43:44], v[45:46], v[14:15]
	s_cbranch_scc1 .LBB19_51
.LBB19_54:                              ;   Parent Loop BB19_4 Depth=1
                                        ;     Parent Loop BB19_40 Depth=2
                                        ;       Parent Loop BB19_52 Depth=3
                                        ; =>      This Inner Loop Header: Depth=4
	s_mov_b64 s[40:41], -1
	s_and_b64 vcc, exec, s[36:37]
                                        ; implicit-def: $vgpr17
                                        ; implicit-def: $vgpr16
	s_cbranch_vccz .LBB19_56
; %bb.55:                               ;   in Loop: Header=BB19_54 Depth=4
	v_add_u32_e32 v17, s44, v36
	v_add_u32_e32 v16, s44, v37
	s_mov_b64 s[40:41], 0
.LBB19_56:                              ;   in Loop: Header=BB19_54 Depth=4
	s_andn2_b64 vcc, exec, s[40:41]
	s_cbranch_vccnz .LBB19_53
; %bb.57:                               ;   in Loop: Header=BB19_54 Depth=4
	v_add_u32_e32 v17, s46, v39
	v_add_u32_e32 v16, s46, v40
	s_branch .LBB19_53
.LBB19_58:                              ;   in Loop: Header=BB19_40 Depth=2
	s_or_b64 exec, exec, s[38:39]
.LBB19_59:                              ;   in Loop: Header=BB19_40 Depth=2
	s_or_b64 exec, exec, s[12:13]
	s_cmp_eq_u32 s42, 0
	s_cbranch_scc1 .LBB19_38
; %bb.60:                               ;   in Loop: Header=BB19_40 Depth=2
	s_mov_b32 s38, 0
	v_mov_b32_e32 v36, v28
	s_branch .LBB19_62
.LBB19_61:                              ;   in Loop: Header=BB19_62 Depth=3
	v_ashrrev_i32_e32 v18, 31, v17
	v_lshlrev_b64 v[17:18], 3, v[17:18]
	v_mov_b32_e32 v39, s29
	v_add_co_u32_e32 v37, vcc, s28, v17
	v_ashrrev_i32_e32 v17, 31, v16
	v_lshlrev_b64 v[16:17], 3, v[16:17]
	v_addc_co_u32_e32 v38, vcc, v39, v18, vcc
	v_add_co_u32_e32 v16, vcc, s28, v16
	v_addc_co_u32_e32 v17, vcc, v39, v17, vcc
	global_load_dwordx2 v[39:40], v[37:38], off
	global_load_dwordx2 v[41:42], v[16:17], off
	s_add_i32 s38, s38, 1
	s_cmp_eq_u32 s42, s38
	v_add_u32_e32 v36, s52, v36
	s_waitcnt vmcnt(0)
	v_fma_f64 v[14:15], v[39:40], v[41:42], v[14:15]
	s_cbranch_scc1 .LBB19_38
.LBB19_62:                              ;   Parent Loop BB19_4 Depth=1
                                        ;     Parent Loop BB19_40 Depth=2
                                        ; =>    This Inner Loop Header: Depth=3
	s_mov_b64 s[12:13], -1
	s_and_b64 vcc, exec, s[36:37]
                                        ; implicit-def: $vgpr17
                                        ; implicit-def: $vgpr16
	s_cbranch_vccz .LBB19_64
; %bb.63:                               ;   in Loop: Header=BB19_62 Depth=3
	v_add_u32_e32 v17, s42, v36
	v_add_u32_e32 v16, v33, v36
	s_mov_b64 s[12:13], 0
.LBB19_64:                              ;   in Loop: Header=BB19_62 Depth=3
	s_andn2_b64 vcc, exec, s[12:13]
	s_cbranch_vccnz .LBB19_61
; %bb.65:                               ;   in Loop: Header=BB19_62 Depth=3
	v_add_u32_e32 v17, s38, v35
	v_add_u32_e32 v16, s38, v19
	s_branch .LBB19_61
.LBB19_66:
	s_or_b64 exec, exec, s[20:21]
	v_cmp_eq_u32_e32 vcc, 31, v0
	s_and_saveexec_b64 s[0:1], vcc
	s_cbranch_execz .LBB19_68
; %bb.67:
	v_mov_b32_e32 v3, s19
	v_add_co_u32_e32 v0, vcc, s18, v1
	v_addc_co_u32_e32 v1, vcc, v3, v2, vcc
	v_mov_b32_e32 v2, 1
	global_store_dword v[0:1], v2, off
.LBB19_68:
	s_or_b64 exec, exec, s[0:1]
                                        ; implicit-def: $vgpr0
                                        ; implicit-def: $vgpr1_vgpr2
                                        ; implicit-def: $vgpr3_vgpr4
.LBB19_69:
	s_andn2_saveexec_b64 s[0:1], s[14:15]
	s_cbranch_execz .LBB19_76
; %bb.70:
	v_cmp_eq_u32_e32 vcc, 31, v0
	s_and_saveexec_b64 s[0:1], vcc
	s_cbranch_execz .LBB19_76
; %bb.71:
	s_mov_b64 s[0:1], exec
	v_add_u32_e32 v0, s33, v3
	s_brev_b32 s2, -2
.LBB19_72:                              ; =>This Inner Loop Header: Depth=1
	s_ff1_i32_b64 s3, s[0:1]
	v_readlane_b32 s6, v0, s3
	s_lshl_b64 s[4:5], 1, s3
	s_min_i32 s2, s2, s6
	s_andn2_b64 s[0:1], s[0:1], s[4:5]
	s_cmp_lg_u64 s[0:1], 0
	s_cbranch_scc1 .LBB19_72
; %bb.73:
	v_mbcnt_lo_u32_b32 v0, exec_lo, 0
	v_mbcnt_hi_u32_b32 v0, exec_hi, v0
	v_cmp_eq_u32_e32 vcc, 0, v0
	s_and_saveexec_b64 s[0:1], vcc
	s_xor_b64 s[0:1], exec, s[0:1]
	s_cbranch_execz .LBB19_75
; %bb.74:
	v_mov_b32_e32 v0, 0
	v_mov_b32_e32 v3, s2
	global_atomic_smin v0, v3, s[22:23]
.LBB19_75:
	s_or_b64 exec, exec, s[0:1]
	v_mov_b32_e32 v3, s19
	v_add_co_u32_e32 v0, vcc, s18, v1
	v_addc_co_u32_e32 v1, vcc, v3, v2, vcc
	v_mov_b32_e32 v2, 1
	s_waitcnt vmcnt(0)
	global_store_dword v[0:1], v2, off
.LBB19_76:
	s_endpgm
	.section	.rodata,"a",@progbits
	.p2align	6, 0x0
	.amdhsa_kernel _ZN9rocsparseL23bsric0_binsearch_kernelILj32ELj32ELb0EdEEv20rocsparse_direction_iiPKiS3_PT2_S3_PiS3_S6_21rocsparse_index_base_
		.amdhsa_group_segment_fixed_size 0
		.amdhsa_private_segment_fixed_size 0
		.amdhsa_kernarg_size 76
		.amdhsa_user_sgpr_count 6
		.amdhsa_user_sgpr_private_segment_buffer 1
		.amdhsa_user_sgpr_dispatch_ptr 0
		.amdhsa_user_sgpr_queue_ptr 0
		.amdhsa_user_sgpr_kernarg_segment_ptr 1
		.amdhsa_user_sgpr_dispatch_id 0
		.amdhsa_user_sgpr_flat_scratch_init 0
		.amdhsa_user_sgpr_private_segment_size 0
		.amdhsa_uses_dynamic_stack 0
		.amdhsa_system_sgpr_private_segment_wavefront_offset 0
		.amdhsa_system_sgpr_workgroup_id_x 1
		.amdhsa_system_sgpr_workgroup_id_y 0
		.amdhsa_system_sgpr_workgroup_id_z 0
		.amdhsa_system_sgpr_workgroup_info 0
		.amdhsa_system_vgpr_workitem_id 0
		.amdhsa_next_free_vgpr 53
		.amdhsa_next_free_sgpr 57
		.amdhsa_reserve_vcc 1
		.amdhsa_reserve_flat_scratch 0
		.amdhsa_float_round_mode_32 0
		.amdhsa_float_round_mode_16_64 0
		.amdhsa_float_denorm_mode_32 3
		.amdhsa_float_denorm_mode_16_64 3
		.amdhsa_dx10_clamp 1
		.amdhsa_ieee_mode 1
		.amdhsa_fp16_overflow 0
		.amdhsa_exception_fp_ieee_invalid_op 0
		.amdhsa_exception_fp_denorm_src 0
		.amdhsa_exception_fp_ieee_div_zero 0
		.amdhsa_exception_fp_ieee_overflow 0
		.amdhsa_exception_fp_ieee_underflow 0
		.amdhsa_exception_fp_ieee_inexact 0
		.amdhsa_exception_int_div_zero 0
	.end_amdhsa_kernel
	.section	.text._ZN9rocsparseL23bsric0_binsearch_kernelILj32ELj32ELb0EdEEv20rocsparse_direction_iiPKiS3_PT2_S3_PiS3_S6_21rocsparse_index_base_,"axG",@progbits,_ZN9rocsparseL23bsric0_binsearch_kernelILj32ELj32ELb0EdEEv20rocsparse_direction_iiPKiS3_PT2_S3_PiS3_S6_21rocsparse_index_base_,comdat
.Lfunc_end19:
	.size	_ZN9rocsparseL23bsric0_binsearch_kernelILj32ELj32ELb0EdEEv20rocsparse_direction_iiPKiS3_PT2_S3_PiS3_S6_21rocsparse_index_base_, .Lfunc_end19-_ZN9rocsparseL23bsric0_binsearch_kernelILj32ELj32ELb0EdEEv20rocsparse_direction_iiPKiS3_PT2_S3_PiS3_S6_21rocsparse_index_base_
                                        ; -- End function
	.set _ZN9rocsparseL23bsric0_binsearch_kernelILj32ELj32ELb0EdEEv20rocsparse_direction_iiPKiS3_PT2_S3_PiS3_S6_21rocsparse_index_base_.num_vgpr, 53
	.set _ZN9rocsparseL23bsric0_binsearch_kernelILj32ELj32ELb0EdEEv20rocsparse_direction_iiPKiS3_PT2_S3_PiS3_S6_21rocsparse_index_base_.num_agpr, 0
	.set _ZN9rocsparseL23bsric0_binsearch_kernelILj32ELj32ELb0EdEEv20rocsparse_direction_iiPKiS3_PT2_S3_PiS3_S6_21rocsparse_index_base_.numbered_sgpr, 57
	.set _ZN9rocsparseL23bsric0_binsearch_kernelILj32ELj32ELb0EdEEv20rocsparse_direction_iiPKiS3_PT2_S3_PiS3_S6_21rocsparse_index_base_.num_named_barrier, 0
	.set _ZN9rocsparseL23bsric0_binsearch_kernelILj32ELj32ELb0EdEEv20rocsparse_direction_iiPKiS3_PT2_S3_PiS3_S6_21rocsparse_index_base_.private_seg_size, 0
	.set _ZN9rocsparseL23bsric0_binsearch_kernelILj32ELj32ELb0EdEEv20rocsparse_direction_iiPKiS3_PT2_S3_PiS3_S6_21rocsparse_index_base_.uses_vcc, 1
	.set _ZN9rocsparseL23bsric0_binsearch_kernelILj32ELj32ELb0EdEEv20rocsparse_direction_iiPKiS3_PT2_S3_PiS3_S6_21rocsparse_index_base_.uses_flat_scratch, 0
	.set _ZN9rocsparseL23bsric0_binsearch_kernelILj32ELj32ELb0EdEEv20rocsparse_direction_iiPKiS3_PT2_S3_PiS3_S6_21rocsparse_index_base_.has_dyn_sized_stack, 0
	.set _ZN9rocsparseL23bsric0_binsearch_kernelILj32ELj32ELb0EdEEv20rocsparse_direction_iiPKiS3_PT2_S3_PiS3_S6_21rocsparse_index_base_.has_recursion, 0
	.set _ZN9rocsparseL23bsric0_binsearch_kernelILj32ELj32ELb0EdEEv20rocsparse_direction_iiPKiS3_PT2_S3_PiS3_S6_21rocsparse_index_base_.has_indirect_call, 0
	.section	.AMDGPU.csdata,"",@progbits
; Kernel info:
; codeLenInByte = 2752
; TotalNumSgprs: 61
; NumVgprs: 53
; ScratchSize: 0
; MemoryBound: 0
; FloatMode: 240
; IeeeMode: 1
; LDSByteSize: 0 bytes/workgroup (compile time only)
; SGPRBlocks: 7
; VGPRBlocks: 13
; NumSGPRsForWavesPerEU: 61
; NumVGPRsForWavesPerEU: 53
; Occupancy: 4
; WaveLimiterHint : 1
; COMPUTE_PGM_RSRC2:SCRATCH_EN: 0
; COMPUTE_PGM_RSRC2:USER_SGPR: 6
; COMPUTE_PGM_RSRC2:TRAP_HANDLER: 0
; COMPUTE_PGM_RSRC2:TGID_X_EN: 1
; COMPUTE_PGM_RSRC2:TGID_Y_EN: 0
; COMPUTE_PGM_RSRC2:TGID_Z_EN: 0
; COMPUTE_PGM_RSRC2:TIDIG_COMP_CNT: 0
	.section	.text._ZN9rocsparseL23bsric0_binsearch_kernelILj64ELj64ELb1EdEEv20rocsparse_direction_iiPKiS3_PT2_S3_PiS3_S6_21rocsparse_index_base_,"axG",@progbits,_ZN9rocsparseL23bsric0_binsearch_kernelILj64ELj64ELb1EdEEv20rocsparse_direction_iiPKiS3_PT2_S3_PiS3_S6_21rocsparse_index_base_,comdat
	.globl	_ZN9rocsparseL23bsric0_binsearch_kernelILj64ELj64ELb1EdEEv20rocsparse_direction_iiPKiS3_PT2_S3_PiS3_S6_21rocsparse_index_base_ ; -- Begin function _ZN9rocsparseL23bsric0_binsearch_kernelILj64ELj64ELb1EdEEv20rocsparse_direction_iiPKiS3_PT2_S3_PiS3_S6_21rocsparse_index_base_
	.p2align	8
	.type	_ZN9rocsparseL23bsric0_binsearch_kernelILj64ELj64ELb1EdEEv20rocsparse_direction_iiPKiS3_PT2_S3_PiS3_S6_21rocsparse_index_base_,@function
_ZN9rocsparseL23bsric0_binsearch_kernelILj64ELj64ELb1EdEEv20rocsparse_direction_iiPKiS3_PT2_S3_PiS3_S6_21rocsparse_index_base_: ; @_ZN9rocsparseL23bsric0_binsearch_kernelILj64ELj64ELb1EdEEv20rocsparse_direction_iiPKiS3_PT2_S3_PiS3_S6_21rocsparse_index_base_
; %bb.0:
	s_load_dwordx8 s[16:23], s[4:5], 0x28
	s_ashr_i32 s7, s6, 31
	s_lshl_b64 s[0:1], s[6:7], 2
	v_mov_b32_e32 v1, 0
	s_load_dword s33, s[4:5], 0x48
	s_waitcnt lgkmcnt(0)
	s_add_u32 s0, s20, s0
	s_addc_u32 s1, s21, s1
	global_load_dword v3, v1, s[0:1]
	v_mov_b32_e32 v5, s17
	s_waitcnt vmcnt(0)
	v_ashrrev_i32_e32 v4, 31, v3
	v_lshlrev_b64 v[1:2], 2, v[3:4]
	v_add_co_u32_e32 v4, vcc, s16, v1
	v_addc_co_u32_e32 v5, vcc, v5, v2, vcc
	global_load_dword v21, v[4:5], off
	s_waitcnt vmcnt(0)
	v_readfirstlane_b32 s0, v21
	s_cmp_lg_u32 s0, -1
	s_cselect_b64 s[0:1], -1, 0
	s_and_saveexec_b64 s[2:3], s[0:1]
	s_xor_b64 s[14:15], exec, s[2:3]
	s_cbranch_execz .LBB20_71
; %bb.1:
	s_load_dword s52, s[4:5], 0x8
	s_waitcnt lgkmcnt(0)
	v_cmp_gt_i32_e32 vcc, s52, v0
	s_and_saveexec_b64 s[20:21], vcc
	s_cbranch_execz .LBB20_68
; %bb.2:
	s_load_dwordx4 s[24:27], s[4:5], 0x10
	s_load_dword s6, s[4:5], 0x0
	v_add_u32_e32 v22, s33, v3
	s_mul_i32 s53, s52, s52
	s_load_dwordx2 s[28:29], s[4:5], 0x20
	s_waitcnt lgkmcnt(0)
	v_mov_b32_e32 v5, s25
	v_add_co_u32_e32 v4, vcc, s24, v1
	v_addc_co_u32_e32 v5, vcc, v5, v2, vcc
	global_load_dwordx2 v[4:5], v[4:5], off
	v_mul_lo_u32 v28, v21, s53
	s_cmp_eq_u32 s6, 0
	s_mov_b32 s34, 0
	v_mov_b32_e32 v6, s27
	s_cselect_b64 s[2:3], -1, 0
	s_cmp_lg_u32 s6, 0
	v_cmp_ne_u32_e64 s[0:1], 0, v0
	s_mov_b64 s[30:31], 0
	v_mov_b32_e32 v23, 0
	s_brev_b32 s35, 8
	v_mov_b32_e32 v24, 0x260
	v_mov_b32_e32 v25, 0x3ff00000
	;; [unrolled: 1-line block ×4, first 2 shown]
	s_cselect_b64 s[36:37], -1, 0
	v_mov_b32_e32 v33, v0
	s_waitcnt vmcnt(0)
	v_subrev_u32_e32 v29, s33, v4
	v_xad_u32 v30, s33, -1, v5
	v_add_u32_e32 v3, v30, v29
	v_ashrrev_i32_e32 v3, 1, v3
	v_mul_lo_u32 v31, s53, v29
	v_ashrrev_i32_e32 v4, 31, v3
	v_lshlrev_b64 v[4:5], 2, v[3:4]
	v_cmp_lt_i32_e64 s[4:5], v29, v21
	v_add_co_u32_e32 v4, vcc, s26, v4
	v_cmp_ge_i32_e64 s[6:7], v29, v21
	v_cmp_lt_i32_e64 s[8:9], v29, v30
	v_add_u32_e32 v32, v31, v0
	v_addc_co_u32_e32 v5, vcc, v6, v5, vcc
	s_branch .LBB20_4
.LBB20_3:                               ;   in Loop: Header=BB20_4 Depth=1
	v_add_u32_e32 v33, 64, v33
	v_cmp_le_i32_e32 vcc, s52, v33
	s_or_b64 s[30:31], vcc, s[30:31]
	v_add_u32_e32 v32, 64, v32
	s_andn2_b64 exec, exec, s[30:31]
	s_cbranch_execz .LBB20_68
.LBB20_4:                               ; =>This Loop Header: Depth=1
                                        ;     Child Loop BB20_9 Depth 2
                                        ;       Child Loop BB20_13 Depth 3
                                        ;         Child Loop BB20_14 Depth 4
                                        ;       Child Loop BB20_18 Depth 3
                                        ;         Child Loop BB20_20 Depth 4
                                        ;         Child Loop BB20_27 Depth 4
                                        ;           Child Loop BB20_29 Depth 5
                                        ;           Child Loop BB20_35 Depth 5
                                        ;     Child Loop BB20_42 Depth 2
                                        ;       Child Loop BB20_46 Depth 3
                                        ;       Child Loop BB20_54 Depth 3
                                        ;         Child Loop BB20_56 Depth 4
                                        ;       Child Loop BB20_64 Depth 3
	v_mul_lo_u32 v34, v33, s52
	s_and_saveexec_b64 s[10:11], s[6:7]
	s_xor_b64 s[10:11], exec, s[10:11]
; %bb.5:                                ;   in Loop: Header=BB20_4 Depth=1
	v_mul_lo_u32 v34, v33, s52
; %bb.6:                                ;   in Loop: Header=BB20_4 Depth=1
	s_or_saveexec_b64 s[38:39], s[10:11]
	v_mov_b32_e32 v6, 0
	v_mov_b32_e32 v7, 0
	s_xor_b64 exec, exec, s[38:39]
	s_cbranch_execz .LBB20_39
; %bb.7:                                ;   in Loop: Header=BB20_4 Depth=1
	v_mov_b32_e32 v6, 0
	v_mov_b32_e32 v7, 0
	s_mov_b64 s[40:41], 0
	v_mov_b32_e32 v8, v29
	s_branch .LBB20_9
.LBB20_8:                               ;   in Loop: Header=BB20_9 Depth=2
	s_or_b64 exec, exec, s[42:43]
	v_add_u32_e32 v8, 1, v8
	v_cmp_ge_i32_e32 vcc, v8, v21
	s_xor_b64 s[10:11], s[10:11], -1
	s_or_b64 s[10:11], s[10:11], vcc
	s_and_b64 s[10:11], exec, s[10:11]
	s_or_b64 s[40:41], s[10:11], s[40:41]
	s_andn2_b64 exec, exec, s[40:41]
	s_cbranch_execz .LBB20_38
.LBB20_9:                               ;   Parent Loop BB20_4 Depth=1
                                        ; =>  This Loop Header: Depth=2
                                        ;       Child Loop BB20_13 Depth 3
                                        ;         Child Loop BB20_14 Depth 4
                                        ;       Child Loop BB20_18 Depth 3
                                        ;         Child Loop BB20_20 Depth 4
                                        ;         Child Loop BB20_27 Depth 4
                                        ;           Child Loop BB20_29 Depth 5
                                        ;           Child Loop BB20_35 Depth 5
	v_ashrrev_i32_e32 v9, 31, v8
	v_lshlrev_b64 v[9:10], 2, v[8:9]
	v_mov_b32_e32 v11, s27
	v_add_co_u32_e32 v9, vcc, s26, v9
	v_addc_co_u32_e32 v10, vcc, v11, v10, vcc
	global_load_dword v35, v[9:10], off
	v_mov_b32_e32 v13, s17
	s_waitcnt vmcnt(0)
	v_subrev_u32_e32 v9, s33, v35
	v_ashrrev_i32_e32 v10, 31, v9
	v_lshlrev_b64 v[10:11], 2, v[9:10]
	v_add_co_u32_e32 v12, vcc, s16, v10
	v_addc_co_u32_e32 v13, vcc, v13, v11, vcc
	global_load_dword v36, v[12:13], off
	s_waitcnt vmcnt(0)
	v_cmp_ne_u32_e64 s[10:11], -1, v36
	s_and_saveexec_b64 s[42:43], s[10:11]
	s_cbranch_execz .LBB20_8
; %bb.10:                               ;   in Loop: Header=BB20_9 Depth=2
	v_mov_b32_e32 v13, s25
	v_add_co_u32_e32 v12, vcc, s24, v10
	v_addc_co_u32_e32 v13, vcc, v13, v11, vcc
	global_load_dword v12, v[12:13], off
	v_mov_b32_e32 v13, s19
	v_add_co_u32_e32 v10, vcc, s18, v10
	v_addc_co_u32_e32 v11, vcc, v13, v11, vcc
	global_load_dword v13, v[10:11], off glc
	s_waitcnt vmcnt(0)
	v_cmp_eq_u32_e32 vcc, 0, v13
	s_and_saveexec_b64 s[12:13], vcc
	s_cbranch_execz .LBB20_15
; %bb.11:                               ;   in Loop: Header=BB20_9 Depth=2
	s_mov_b32 s46, 0
	s_mov_b64 s[44:45], 0
	s_branch .LBB20_13
.LBB20_12:                              ;   in Loop: Header=BB20_13 Depth=3
	global_load_dword v13, v[10:11], off glc
	s_cmpk_lt_u32 s46, 0xf43
	s_cselect_b64 s[48:49], -1, 0
	s_cmp_lg_u64 s[48:49], 0
	s_addc_u32 s46, s46, 0
	s_waitcnt vmcnt(0)
	v_cmp_ne_u32_e32 vcc, 0, v13
	s_or_b64 s[44:45], vcc, s[44:45]
	s_andn2_b64 exec, exec, s[44:45]
	s_cbranch_execz .LBB20_15
.LBB20_13:                              ;   Parent Loop BB20_4 Depth=1
                                        ;     Parent Loop BB20_9 Depth=2
                                        ; =>    This Loop Header: Depth=3
                                        ;         Child Loop BB20_14 Depth 4
	s_cmp_eq_u32 s46, 0
	s_mov_b32 s47, s46
	s_cbranch_scc1 .LBB20_12
.LBB20_14:                              ;   Parent Loop BB20_4 Depth=1
                                        ;     Parent Loop BB20_9 Depth=2
                                        ;       Parent Loop BB20_13 Depth=3
                                        ; =>      This Inner Loop Header: Depth=4
	s_add_i32 s47, s47, -1
	s_cmp_eq_u32 s47, 0
	s_sleep 1
	s_cbranch_scc0 .LBB20_14
	s_branch .LBB20_12
.LBB20_15:                              ;   in Loop: Header=BB20_9 Depth=2
	s_or_b64 exec, exec, s[12:13]
	v_subrev_u32_e32 v37, s33, v12
	v_mul_lo_u32 v10, v8, s53
	v_mul_lo_u32 v38, v9, s52
	;; [unrolled: 1-line block ×4, first 2 shown]
	v_add_u32_e32 v40, v10, v33
	v_add_u32_e32 v42, v10, v34
	v_cmp_le_i32_e64 s[12:13], v37, v36
	s_mov_b32 s54, 0
	buffer_wbinvl1_vol
	s_branch .LBB20_18
.LBB20_16:                              ;   in Loop: Header=BB20_18 Depth=3
	s_or_b64 exec, exec, s[46:47]
.LBB20_17:                              ;   in Loop: Header=BB20_18 Depth=3
	s_or_b64 exec, exec, s[44:45]
	s_waitcnt vmcnt(0)
	v_add_f64 v[13:14], v[13:14], -v[15:16]
	s_add_i32 s54, s54, 1
	s_cmp_eq_u32 s54, s52
	v_add_u32_e32 v41, 1, v41
	v_div_scale_f64 v[15:16], s[44:45], v[9:10], v[9:10], v[13:14]
	v_div_scale_f64 v[43:44], vcc, v[13:14], v[9:10], v[13:14]
	v_rcp_f64_e32 v[17:18], v[15:16]
	v_fma_f64 v[19:20], -v[15:16], v[17:18], 1.0
	v_fma_f64 v[17:18], v[17:18], v[19:20], v[17:18]
	v_fma_f64 v[19:20], -v[15:16], v[17:18], 1.0
	v_fma_f64 v[17:18], v[17:18], v[19:20], v[17:18]
	v_mul_f64 v[19:20], v[43:44], v[17:18]
	v_fma_f64 v[15:16], -v[15:16], v[19:20], v[43:44]
	v_div_fmas_f64 v[15:16], v[15:16], v[17:18], v[19:20]
	v_div_fixup_f64 v[9:10], v[15:16], v[9:10], v[13:14]
	v_fma_f64 v[6:7], v[9:10], v[9:10], v[6:7]
	global_store_dwordx2 v[11:12], v[9:10], off
	s_cbranch_scc1 .LBB20_8
.LBB20_18:                              ;   Parent Loop BB20_4 Depth=1
                                        ;     Parent Loop BB20_9 Depth=2
                                        ; =>    This Loop Header: Depth=3
                                        ;         Child Loop BB20_20 Depth 4
                                        ;         Child Loop BB20_27 Depth 4
                                        ;           Child Loop BB20_29 Depth 5
                                        ;           Child Loop BB20_35 Depth 5
	s_mul_i32 s55, s54, s52
	s_add_i32 s44, s55, s54
	v_add_u32_e32 v9, s44, v39
	v_ashrrev_i32_e32 v10, 31, v9
	v_lshlrev_b64 v[9:10], 3, v[9:10]
	v_mov_b32_e32 v11, s29
	v_add_co_u32_e32 v9, vcc, s28, v9
	v_addc_co_u32_e32 v10, vcc, v11, v10, vcc
	global_load_dwordx2 v[9:10], v[9:10], off
	s_waitcnt vmcnt(0)
	v_cmp_neq_f64_e32 vcc, 0, v[9:10]
	v_cndmask_b32_e32 v10, v25, v10, vcc
	s_nor_b64 s[46:47], vcc, s[0:1]
	v_cndmask_b32_e32 v9, 0, v9, vcc
	s_and_saveexec_b64 s[44:45], s[46:47]
	s_cbranch_execz .LBB20_24
; %bb.19:                               ;   in Loop: Header=BB20_18 Depth=3
	s_mov_b64 s[46:47], exec
	s_brev_b32 s48, -2
.LBB20_20:                              ;   Parent Loop BB20_4 Depth=1
                                        ;     Parent Loop BB20_9 Depth=2
                                        ;       Parent Loop BB20_18 Depth=3
                                        ; =>      This Inner Loop Header: Depth=4
	s_ff1_i32_b64 s49, s[46:47]
	v_readlane_b32 s56, v35, s49
	s_lshl_b64 s[50:51], 1, s49
	s_min_i32 s48, s48, s56
	s_andn2_b64 s[46:47], s[46:47], s[50:51]
	s_cmp_lg_u64 s[46:47], 0
	s_cbranch_scc1 .LBB20_20
; %bb.21:                               ;   in Loop: Header=BB20_18 Depth=3
	v_mbcnt_lo_u32_b32 v9, exec_lo, 0
	v_mbcnt_hi_u32_b32 v9, exec_hi, v9
	v_cmp_eq_u32_e32 vcc, 0, v9
	s_and_saveexec_b64 s[46:47], vcc
	s_xor_b64 s[46:47], exec, s[46:47]
	s_cbranch_execz .LBB20_23
; %bb.22:                               ;   in Loop: Header=BB20_18 Depth=3
	v_mov_b32_e32 v9, s48
	global_atomic_smin v23, v9, s[22:23]
.LBB20_23:                              ;   in Loop: Header=BB20_18 Depth=3
	s_or_b64 exec, exec, s[46:47]
	v_mov_b32_e32 v9, 0
	v_mov_b32_e32 v10, 0x3ff00000
.LBB20_24:                              ;   in Loop: Header=BB20_18 Depth=3
	s_or_b64 exec, exec, s[44:45]
	v_add_u32_e32 v11, s55, v40
	v_add_u32_e32 v12, s54, v42
	v_cndmask_b32_e64 v11, v11, v12, s[2:3]
	v_ashrrev_i32_e32 v12, 31, v11
	v_lshlrev_b64 v[11:12], 3, v[11:12]
	v_mov_b32_e32 v13, s29
	v_add_co_u32_e32 v11, vcc, s28, v11
	v_addc_co_u32_e32 v12, vcc, v13, v12, vcc
	global_load_dwordx2 v[13:14], v[11:12], off
	v_mov_b32_e32 v15, 0
	v_mov_b32_e32 v16, 0
	s_and_saveexec_b64 s[44:45], s[12:13]
	s_cbranch_execz .LBB20_17
; %bb.25:                               ;   in Loop: Header=BB20_18 Depth=3
	global_load_dword v43, v[4:5], off
	v_mov_b32_e32 v15, 0
	v_add_u32_e32 v44, s54, v38
	v_mov_b32_e32 v16, 0
	s_mov_b64 s[46:47], 0
	v_mov_b32_e32 v45, v41
	v_mov_b32_e32 v17, v37
	s_branch .LBB20_27
.LBB20_26:                              ;   in Loop: Header=BB20_27 Depth=4
	s_or_b64 exec, exec, s[48:49]
	v_add_u32_e32 v18, 1, v17
	v_cmp_ge_i32_e32 vcc, v17, v36
	v_add_u32_e32 v45, s53, v45
	s_or_b64 s[46:47], vcc, s[46:47]
	v_mov_b32_e32 v17, v18
	s_andn2_b64 exec, exec, s[46:47]
	s_cbranch_execz .LBB20_16
.LBB20_27:                              ;   Parent Loop BB20_4 Depth=1
                                        ;     Parent Loop BB20_9 Depth=2
                                        ;       Parent Loop BB20_18 Depth=3
                                        ; =>      This Loop Header: Depth=4
                                        ;           Child Loop BB20_29 Depth 5
                                        ;           Child Loop BB20_35 Depth 5
	v_ashrrev_i32_e32 v18, 31, v17
	v_lshlrev_b64 v[18:19], 2, v[17:18]
	v_mov_b32_e32 v20, s27
	v_add_co_u32_e32 v18, vcc, s26, v18
	v_addc_co_u32_e32 v19, vcc, v20, v19, vcc
	global_load_dword v20, v[18:19], off
	s_waitcnt vmcnt(1)
	v_mov_b32_e32 v19, v43
	v_mov_b32_e32 v18, v3
	s_and_saveexec_b64 s[48:49], s[8:9]
	s_cbranch_execz .LBB20_31
; %bb.28:                               ;   in Loop: Header=BB20_27 Depth=4
	s_mov_b64 s[50:51], 0
	v_mov_b32_e32 v19, v43
	v_mov_b32_e32 v18, v3
	;; [unrolled: 1-line block ×4, first 2 shown]
.LBB20_29:                              ;   Parent Loop BB20_4 Depth=1
                                        ;     Parent Loop BB20_9 Depth=2
                                        ;       Parent Loop BB20_18 Depth=3
                                        ;         Parent Loop BB20_27 Depth=4
                                        ; =>        This Inner Loop Header: Depth=5
	v_add_u32_e32 v48, 1, v18
	s_waitcnt vmcnt(0)
	v_cmp_lt_i32_e32 vcc, v19, v20
	v_cndmask_b32_e32 v47, v47, v48, vcc
	v_cndmask_b32_e32 v46, v18, v46, vcc
	v_add_u32_e32 v18, v46, v47
	v_ashrrev_i32_e32 v18, 1, v18
	v_ashrrev_i32_e32 v19, 31, v18
	v_lshlrev_b64 v[48:49], 2, v[18:19]
	v_mov_b32_e32 v19, s27
	v_add_co_u32_e32 v48, vcc, s26, v48
	v_addc_co_u32_e32 v49, vcc, v19, v49, vcc
	global_load_dword v19, v[48:49], off
	v_cmp_ge_i32_e32 vcc, v47, v46
	s_or_b64 s[50:51], vcc, s[50:51]
	s_andn2_b64 exec, exec, s[50:51]
	s_cbranch_execnz .LBB20_29
; %bb.30:                               ;   in Loop: Header=BB20_27 Depth=4
	s_or_b64 exec, exec, s[50:51]
.LBB20_31:                              ;   in Loop: Header=BB20_27 Depth=4
	s_or_b64 exec, exec, s[48:49]
	s_waitcnt vmcnt(0)
	v_cmp_eq_u32_e32 vcc, v19, v20
	s_and_saveexec_b64 s[48:49], vcc
	s_cbranch_execz .LBB20_26
; %bb.32:                               ;   in Loop: Header=BB20_27 Depth=4
	v_mul_lo_u32 v19, v17, s53
	v_mul_lo_u32 v18, v18, s53
	v_subrev_u32_e32 v20, s33, v20
	v_mul_lo_u32 v46, v20, s52
	v_add_u32_e32 v47, s55, v19
	v_add_u32_e32 v48, v18, v34
	;; [unrolled: 1-line block ×3, first 2 shown]
	s_mov_b32 s56, 0
	v_mov_b32_e32 v50, v45
	s_branch .LBB20_35
.LBB20_33:                              ;   in Loop: Header=BB20_35 Depth=5
	v_ashrrev_i32_e32 v20, 31, v19
	v_lshlrev_b64 v[19:20], 3, v[19:20]
	v_mov_b32_e32 v52, s29
	v_add_co_u32_e32 v51, vcc, s28, v19
	v_ashrrev_i32_e32 v19, 31, v18
	v_lshlrev_b64 v[18:19], 3, v[18:19]
	v_addc_co_u32_e32 v52, vcc, v52, v20, vcc
	v_mov_b32_e32 v20, s29
	v_add_co_u32_e32 v18, vcc, s28, v18
	v_addc_co_u32_e32 v19, vcc, v20, v19, vcc
	global_load_dwordx2 v[51:52], v[51:52], off
	s_nop 0
	global_load_dwordx2 v[18:19], v[18:19], off
	s_waitcnt vmcnt(0)
	v_fma_f64 v[15:16], v[51:52], v[18:19], v[15:16]
.LBB20_34:                              ;   in Loop: Header=BB20_35 Depth=5
	s_or_b64 exec, exec, s[50:51]
	s_add_i32 s56, s56, 1
	v_add_u32_e32 v49, s52, v49
	s_cmp_lg_u32 s52, s56
	v_add_u32_e32 v50, s52, v50
	s_cbranch_scc0 .LBB20_26
.LBB20_35:                              ;   Parent Loop BB20_4 Depth=1
                                        ;     Parent Loop BB20_9 Depth=2
                                        ;       Parent Loop BB20_18 Depth=3
                                        ;         Parent Loop BB20_27 Depth=4
                                        ; =>        This Inner Loop Header: Depth=5
	v_add_u32_e32 v18, s56, v46
	v_cmp_lt_i32_e32 vcc, v18, v44
	s_and_saveexec_b64 s[50:51], vcc
	s_cbranch_execz .LBB20_34
; %bb.36:                               ;   in Loop: Header=BB20_35 Depth=5
	s_andn2_b64 vcc, exec, s[2:3]
	v_mov_b32_e32 v18, v49
	v_mov_b32_e32 v19, v50
	s_cbranch_vccnz .LBB20_33
; %bb.37:                               ;   in Loop: Header=BB20_35 Depth=5
	v_add_u32_e32 v19, s56, v47
	v_add_u32_e32 v18, s56, v48
	s_branch .LBB20_33
.LBB20_38:                              ;   in Loop: Header=BB20_4 Depth=1
	s_or_b64 exec, exec, s[40:41]
.LBB20_39:                              ;   in Loop: Header=BB20_4 Depth=1
	s_or_b64 exec, exec, s[38:39]
	v_add_u32_e32 v19, v34, v28
	s_mov_b32 s42, 0
	v_mov_b32_e32 v20, v31
	s_branch .LBB20_42
.LBB20_40:                              ;   in Loop: Header=BB20_42 Depth=2
	s_waitcnt vmcnt(0)
	v_add_f64 v[12:13], v[12:13], -v[14:15]
	v_div_scale_f64 v[14:15], s[12:13], v[8:9], v[8:9], v[12:13]
	v_div_scale_f64 v[37:38], vcc, v[12:13], v[8:9], v[12:13]
	v_rcp_f64_e32 v[16:17], v[14:15]
	v_fma_f64 v[35:36], -v[14:15], v[16:17], 1.0
	v_fma_f64 v[16:17], v[16:17], v[35:36], v[16:17]
	v_fma_f64 v[35:36], -v[14:15], v[16:17], 1.0
	v_fma_f64 v[16:17], v[16:17], v[35:36], v[16:17]
	v_mul_f64 v[35:36], v[37:38], v[16:17]
	v_fma_f64 v[14:15], -v[14:15], v[35:36], v[37:38]
	v_div_fmas_f64 v[14:15], v[14:15], v[16:17], v[35:36]
	v_div_fixup_f64 v[8:9], v[14:15], v[8:9], v[12:13]
	v_fma_f64 v[6:7], v[8:9], v[8:9], v[6:7]
	global_store_dwordx2 v[10:11], v[8:9], off
.LBB20_41:                              ;   in Loop: Header=BB20_42 Depth=2
	s_or_b64 exec, exec, s[10:11]
	s_add_i32 s42, s42, 1
	s_cmp_eq_u32 s42, s52
	v_add_u32_e32 v20, 1, v20
	s_waitcnt vmcnt(0)
	buffer_wbinvl1_vol
	s_cbranch_scc1 .LBB20_3
.LBB20_42:                              ;   Parent Loop BB20_4 Depth=1
                                        ; =>  This Loop Header: Depth=2
                                        ;       Child Loop BB20_46 Depth 3
                                        ;       Child Loop BB20_54 Depth 3
                                        ;         Child Loop BB20_56 Depth 4
                                        ;       Child Loop BB20_64 Depth 3
	s_mul_i32 s43, s42, s52
	v_add_u32_e32 v35, s43, v28
	v_add_u32_e32 v8, s42, v35
	v_ashrrev_i32_e32 v9, 31, v8
	v_lshlrev_b64 v[8:9], 3, v[8:9]
	v_cmp_eq_u32_e32 vcc, s42, v33
	s_and_saveexec_b64 s[10:11], vcc
	s_cbranch_execz .LBB20_44
; %bb.43:                               ;   in Loop: Header=BB20_42 Depth=2
	v_mov_b32_e32 v11, s29
	v_add_co_u32_e32 v10, vcc, s28, v8
	v_addc_co_u32_e32 v11, vcc, v11, v9, vcc
	global_load_dwordx2 v[12:13], v[10:11], off
	s_waitcnt vmcnt(0)
	v_add_f64 v[12:13], v[12:13], -v[6:7]
	v_cmp_gt_f64_e32 vcc, 0, v[12:13]
	v_xor_b32_e32 v14, 0x80000000, v13
	v_cndmask_b32_e32 v13, v13, v14, vcc
	v_cmp_gt_f64_e32 vcc, s[34:35], v[12:13]
	v_cndmask_b32_e32 v14, 0, v26, vcc
	v_ldexp_f64 v[12:13], v[12:13], v14
	v_rsq_f64_e32 v[14:15], v[12:13]
	v_mul_f64 v[16:17], v[12:13], v[14:15]
	v_mul_f64 v[14:15], v[14:15], 0.5
	v_fma_f64 v[36:37], -v[14:15], v[16:17], 0.5
	v_fma_f64 v[16:17], v[16:17], v[36:37], v[16:17]
	v_fma_f64 v[14:15], v[14:15], v[36:37], v[14:15]
	v_fma_f64 v[36:37], -v[16:17], v[16:17], v[12:13]
	v_fma_f64 v[16:17], v[36:37], v[14:15], v[16:17]
	v_fma_f64 v[36:37], -v[16:17], v[16:17], v[12:13]
	v_fma_f64 v[14:15], v[36:37], v[14:15], v[16:17]
	v_cndmask_b32_e32 v16, 0, v27, vcc
	v_cmp_class_f64_e32 vcc, v[12:13], v24
	v_ldexp_f64 v[14:15], v[14:15], v16
	v_cndmask_b32_e32 v13, v15, v13, vcc
	v_cndmask_b32_e32 v12, v14, v12, vcc
	global_store_dwordx2 v[10:11], v[12:13], off
.LBB20_44:                              ;   in Loop: Header=BB20_42 Depth=2
	s_or_b64 exec, exec, s[10:11]
	v_mov_b32_e32 v10, s29
	v_add_co_u32_e32 v8, vcc, s28, v8
	v_addc_co_u32_e32 v9, vcc, v10, v9, vcc
	s_waitcnt vmcnt(0)
	buffer_wbinvl1_vol
	global_load_dwordx2 v[8:9], v[8:9], off
	s_waitcnt vmcnt(0)
	v_cmp_neq_f64_e32 vcc, 0, v[8:9]
	v_cndmask_b32_e32 v9, v25, v9, vcc
	s_nor_b64 s[12:13], vcc, s[0:1]
	v_cndmask_b32_e32 v8, 0, v8, vcc
	s_and_saveexec_b64 s[10:11], s[12:13]
	s_cbranch_execz .LBB20_50
; %bb.45:                               ;   in Loop: Header=BB20_42 Depth=2
	s_mov_b64 s[12:13], exec
	s_brev_b32 s38, -2
.LBB20_46:                              ;   Parent Loop BB20_4 Depth=1
                                        ;     Parent Loop BB20_42 Depth=2
                                        ; =>    This Inner Loop Header: Depth=3
	s_ff1_i32_b64 s39, s[12:13]
	v_readlane_b32 s44, v22, s39
	s_lshl_b64 s[40:41], 1, s39
	s_min_i32 s38, s38, s44
	s_andn2_b64 s[12:13], s[12:13], s[40:41]
	s_cmp_lg_u64 s[12:13], 0
	s_cbranch_scc1 .LBB20_46
; %bb.47:                               ;   in Loop: Header=BB20_42 Depth=2
	v_mbcnt_lo_u32_b32 v8, exec_lo, 0
	v_mbcnt_hi_u32_b32 v8, exec_hi, v8
	v_cmp_eq_u32_e32 vcc, 0, v8
	s_and_saveexec_b64 s[12:13], vcc
	s_xor_b64 s[12:13], exec, s[12:13]
	s_cbranch_execz .LBB20_49
; %bb.48:                               ;   in Loop: Header=BB20_42 Depth=2
	v_mov_b32_e32 v8, s38
	global_atomic_smin v23, v8, s[22:23]
.LBB20_49:                              ;   in Loop: Header=BB20_42 Depth=2
	s_or_b64 exec, exec, s[12:13]
	v_mov_b32_e32 v8, 0
	v_mov_b32_e32 v9, 0x3ff00000
.LBB20_50:                              ;   in Loop: Header=BB20_42 Depth=2
	s_or_b64 exec, exec, s[10:11]
	v_cmp_lt_i32_e32 vcc, s42, v33
	s_and_saveexec_b64 s[10:11], vcc
	s_cbranch_execz .LBB20_41
; %bb.51:                               ;   in Loop: Header=BB20_42 Depth=2
	v_add_u32_e32 v10, v35, v33
	v_add_u32_e32 v11, s42, v19
	v_cndmask_b32_e64 v10, v10, v11, s[2:3]
	v_ashrrev_i32_e32 v11, 31, v10
	v_lshlrev_b64 v[10:11], 3, v[10:11]
	v_mov_b32_e32 v12, s29
	v_add_co_u32_e32 v10, vcc, s28, v10
	v_addc_co_u32_e32 v11, vcc, v12, v11, vcc
	global_load_dwordx2 v[12:13], v[10:11], off
	v_mov_b32_e32 v14, 0
	v_mov_b32_e32 v15, 0
	s_and_saveexec_b64 s[12:13], s[4:5]
	s_cbranch_execz .LBB20_61
; %bb.52:                               ;   in Loop: Header=BB20_42 Depth=2
	v_mov_b32_e32 v14, 0
	v_mov_b32_e32 v15, 0
	s_mov_b64 s[38:39], 0
	v_mov_b32_e32 v36, v20
	v_mov_b32_e32 v37, v32
	;; [unrolled: 1-line block ×3, first 2 shown]
	s_branch .LBB20_54
.LBB20_53:                              ;   in Loop: Header=BB20_54 Depth=3
	v_add_u32_e32 v38, 1, v38
	v_cmp_ge_i32_e32 vcc, v38, v21
	v_add_u32_e32 v37, s53, v37
	s_or_b64 s[38:39], vcc, s[38:39]
	v_add_u32_e32 v36, s53, v36
	s_andn2_b64 exec, exec, s[38:39]
	s_cbranch_execz .LBB20_60
.LBB20_54:                              ;   Parent Loop BB20_4 Depth=1
                                        ;     Parent Loop BB20_42 Depth=2
                                        ; =>    This Loop Header: Depth=3
                                        ;         Child Loop BB20_56 Depth 4
	v_mul_lo_u32 v16, v38, s53
	s_mov_b32 s44, 0
	s_mov_b32 s45, s52
	s_mov_b32 s46, 0
	v_add_u32_e32 v39, s43, v16
	v_add_u32_e32 v40, v16, v34
	s_branch .LBB20_56
.LBB20_55:                              ;   in Loop: Header=BB20_56 Depth=4
	v_ashrrev_i32_e32 v18, 31, v17
	v_lshlrev_b64 v[17:18], 3, v[17:18]
	v_mov_b32_e32 v43, s29
	v_add_co_u32_e32 v41, vcc, s28, v17
	v_ashrrev_i32_e32 v17, 31, v16
	v_lshlrev_b64 v[16:17], 3, v[16:17]
	v_addc_co_u32_e32 v42, vcc, v43, v18, vcc
	v_add_co_u32_e32 v16, vcc, s28, v16
	v_addc_co_u32_e32 v17, vcc, v43, v17, vcc
	global_load_dwordx2 v[43:44], v[41:42], off
	global_load_dwordx2 v[45:46], v[16:17], off
	s_add_i32 s46, s46, 1
	s_add_i32 s44, s44, s52
	s_add_i32 s45, s45, -1
	s_cmp_eq_u32 s45, 0
	s_waitcnt vmcnt(0)
	v_fma_f64 v[14:15], v[43:44], v[45:46], v[14:15]
	s_cbranch_scc1 .LBB20_53
.LBB20_56:                              ;   Parent Loop BB20_4 Depth=1
                                        ;     Parent Loop BB20_42 Depth=2
                                        ;       Parent Loop BB20_54 Depth=3
                                        ; =>      This Inner Loop Header: Depth=4
	s_mov_b64 s[40:41], -1
	s_and_b64 vcc, exec, s[36:37]
                                        ; implicit-def: $vgpr17
                                        ; implicit-def: $vgpr16
	s_cbranch_vccz .LBB20_58
; %bb.57:                               ;   in Loop: Header=BB20_56 Depth=4
	v_add_u32_e32 v17, s44, v36
	v_add_u32_e32 v16, s44, v37
	s_mov_b64 s[40:41], 0
.LBB20_58:                              ;   in Loop: Header=BB20_56 Depth=4
	s_andn2_b64 vcc, exec, s[40:41]
	s_cbranch_vccnz .LBB20_55
; %bb.59:                               ;   in Loop: Header=BB20_56 Depth=4
	v_add_u32_e32 v17, s46, v39
	v_add_u32_e32 v16, s46, v40
	s_branch .LBB20_55
.LBB20_60:                              ;   in Loop: Header=BB20_42 Depth=2
	s_or_b64 exec, exec, s[38:39]
.LBB20_61:                              ;   in Loop: Header=BB20_42 Depth=2
	s_or_b64 exec, exec, s[12:13]
	s_cmp_eq_u32 s42, 0
	s_cbranch_scc1 .LBB20_40
; %bb.62:                               ;   in Loop: Header=BB20_42 Depth=2
	s_mov_b32 s38, 0
	v_mov_b32_e32 v36, v28
	s_branch .LBB20_64
.LBB20_63:                              ;   in Loop: Header=BB20_64 Depth=3
	v_ashrrev_i32_e32 v18, 31, v17
	v_lshlrev_b64 v[17:18], 3, v[17:18]
	v_mov_b32_e32 v39, s29
	v_add_co_u32_e32 v37, vcc, s28, v17
	v_ashrrev_i32_e32 v17, 31, v16
	v_lshlrev_b64 v[16:17], 3, v[16:17]
	v_addc_co_u32_e32 v38, vcc, v39, v18, vcc
	v_add_co_u32_e32 v16, vcc, s28, v16
	v_addc_co_u32_e32 v17, vcc, v39, v17, vcc
	global_load_dwordx2 v[39:40], v[37:38], off
	global_load_dwordx2 v[41:42], v[16:17], off
	s_add_i32 s38, s38, 1
	s_cmp_eq_u32 s42, s38
	v_add_u32_e32 v36, s52, v36
	s_waitcnt vmcnt(0)
	v_fma_f64 v[14:15], v[39:40], v[41:42], v[14:15]
	s_cbranch_scc1 .LBB20_40
.LBB20_64:                              ;   Parent Loop BB20_4 Depth=1
                                        ;     Parent Loop BB20_42 Depth=2
                                        ; =>    This Inner Loop Header: Depth=3
	s_mov_b64 s[12:13], -1
	s_and_b64 vcc, exec, s[36:37]
                                        ; implicit-def: $vgpr17
                                        ; implicit-def: $vgpr16
	s_cbranch_vccz .LBB20_66
; %bb.65:                               ;   in Loop: Header=BB20_64 Depth=3
	v_add_u32_e32 v17, s42, v36
	v_add_u32_e32 v16, v33, v36
	s_mov_b64 s[12:13], 0
.LBB20_66:                              ;   in Loop: Header=BB20_64 Depth=3
	s_andn2_b64 vcc, exec, s[12:13]
	s_cbranch_vccnz .LBB20_63
; %bb.67:                               ;   in Loop: Header=BB20_64 Depth=3
	v_add_u32_e32 v17, s38, v35
	v_add_u32_e32 v16, s38, v19
	s_branch .LBB20_63
.LBB20_68:
	s_or_b64 exec, exec, s[20:21]
	v_cmp_eq_u32_e32 vcc, 63, v0
	s_and_saveexec_b64 s[0:1], vcc
	s_cbranch_execz .LBB20_70
; %bb.69:
	v_mov_b32_e32 v3, s19
	v_add_co_u32_e32 v0, vcc, s18, v1
	v_addc_co_u32_e32 v1, vcc, v3, v2, vcc
	v_mov_b32_e32 v2, 1
	global_store_dword v[0:1], v2, off
.LBB20_70:
	s_or_b64 exec, exec, s[0:1]
                                        ; implicit-def: $vgpr0
                                        ; implicit-def: $vgpr1_vgpr2
                                        ; implicit-def: $vgpr3_vgpr4
.LBB20_71:
	s_andn2_saveexec_b64 s[0:1], s[14:15]
	s_cbranch_execz .LBB20_78
; %bb.72:
	v_cmp_eq_u32_e32 vcc, 63, v0
	s_and_saveexec_b64 s[0:1], vcc
	s_cbranch_execz .LBB20_78
; %bb.73:
	s_mov_b64 s[0:1], exec
	v_add_u32_e32 v0, s33, v3
	s_brev_b32 s2, -2
.LBB20_74:                              ; =>This Inner Loop Header: Depth=1
	s_ff1_i32_b64 s3, s[0:1]
	v_readlane_b32 s6, v0, s3
	s_lshl_b64 s[4:5], 1, s3
	s_min_i32 s2, s2, s6
	s_andn2_b64 s[0:1], s[0:1], s[4:5]
	s_cmp_lg_u64 s[0:1], 0
	s_cbranch_scc1 .LBB20_74
; %bb.75:
	v_mbcnt_lo_u32_b32 v0, exec_lo, 0
	v_mbcnt_hi_u32_b32 v0, exec_hi, v0
	v_cmp_eq_u32_e32 vcc, 0, v0
	s_and_saveexec_b64 s[0:1], vcc
	s_xor_b64 s[0:1], exec, s[0:1]
	s_cbranch_execz .LBB20_77
; %bb.76:
	v_mov_b32_e32 v0, 0
	v_mov_b32_e32 v3, s2
	global_atomic_smin v0, v3, s[22:23]
.LBB20_77:
	s_or_b64 exec, exec, s[0:1]
	v_mov_b32_e32 v3, s19
	v_add_co_u32_e32 v0, vcc, s18, v1
	v_addc_co_u32_e32 v1, vcc, v3, v2, vcc
	v_mov_b32_e32 v2, 1
	s_waitcnt vmcnt(0)
	global_store_dword v[0:1], v2, off
.LBB20_78:
	s_endpgm
	.section	.rodata,"a",@progbits
	.p2align	6, 0x0
	.amdhsa_kernel _ZN9rocsparseL23bsric0_binsearch_kernelILj64ELj64ELb1EdEEv20rocsparse_direction_iiPKiS3_PT2_S3_PiS3_S6_21rocsparse_index_base_
		.amdhsa_group_segment_fixed_size 0
		.amdhsa_private_segment_fixed_size 0
		.amdhsa_kernarg_size 76
		.amdhsa_user_sgpr_count 6
		.amdhsa_user_sgpr_private_segment_buffer 1
		.amdhsa_user_sgpr_dispatch_ptr 0
		.amdhsa_user_sgpr_queue_ptr 0
		.amdhsa_user_sgpr_kernarg_segment_ptr 1
		.amdhsa_user_sgpr_dispatch_id 0
		.amdhsa_user_sgpr_flat_scratch_init 0
		.amdhsa_user_sgpr_private_segment_size 0
		.amdhsa_uses_dynamic_stack 0
		.amdhsa_system_sgpr_private_segment_wavefront_offset 0
		.amdhsa_system_sgpr_workgroup_id_x 1
		.amdhsa_system_sgpr_workgroup_id_y 0
		.amdhsa_system_sgpr_workgroup_id_z 0
		.amdhsa_system_sgpr_workgroup_info 0
		.amdhsa_system_vgpr_workitem_id 0
		.amdhsa_next_free_vgpr 53
		.amdhsa_next_free_sgpr 57
		.amdhsa_reserve_vcc 1
		.amdhsa_reserve_flat_scratch 0
		.amdhsa_float_round_mode_32 0
		.amdhsa_float_round_mode_16_64 0
		.amdhsa_float_denorm_mode_32 3
		.amdhsa_float_denorm_mode_16_64 3
		.amdhsa_dx10_clamp 1
		.amdhsa_ieee_mode 1
		.amdhsa_fp16_overflow 0
		.amdhsa_exception_fp_ieee_invalid_op 0
		.amdhsa_exception_fp_denorm_src 0
		.amdhsa_exception_fp_ieee_div_zero 0
		.amdhsa_exception_fp_ieee_overflow 0
		.amdhsa_exception_fp_ieee_underflow 0
		.amdhsa_exception_fp_ieee_inexact 0
		.amdhsa_exception_int_div_zero 0
	.end_amdhsa_kernel
	.section	.text._ZN9rocsparseL23bsric0_binsearch_kernelILj64ELj64ELb1EdEEv20rocsparse_direction_iiPKiS3_PT2_S3_PiS3_S6_21rocsparse_index_base_,"axG",@progbits,_ZN9rocsparseL23bsric0_binsearch_kernelILj64ELj64ELb1EdEEv20rocsparse_direction_iiPKiS3_PT2_S3_PiS3_S6_21rocsparse_index_base_,comdat
.Lfunc_end20:
	.size	_ZN9rocsparseL23bsric0_binsearch_kernelILj64ELj64ELb1EdEEv20rocsparse_direction_iiPKiS3_PT2_S3_PiS3_S6_21rocsparse_index_base_, .Lfunc_end20-_ZN9rocsparseL23bsric0_binsearch_kernelILj64ELj64ELb1EdEEv20rocsparse_direction_iiPKiS3_PT2_S3_PiS3_S6_21rocsparse_index_base_
                                        ; -- End function
	.set _ZN9rocsparseL23bsric0_binsearch_kernelILj64ELj64ELb1EdEEv20rocsparse_direction_iiPKiS3_PT2_S3_PiS3_S6_21rocsparse_index_base_.num_vgpr, 53
	.set _ZN9rocsparseL23bsric0_binsearch_kernelILj64ELj64ELb1EdEEv20rocsparse_direction_iiPKiS3_PT2_S3_PiS3_S6_21rocsparse_index_base_.num_agpr, 0
	.set _ZN9rocsparseL23bsric0_binsearch_kernelILj64ELj64ELb1EdEEv20rocsparse_direction_iiPKiS3_PT2_S3_PiS3_S6_21rocsparse_index_base_.numbered_sgpr, 57
	.set _ZN9rocsparseL23bsric0_binsearch_kernelILj64ELj64ELb1EdEEv20rocsparse_direction_iiPKiS3_PT2_S3_PiS3_S6_21rocsparse_index_base_.num_named_barrier, 0
	.set _ZN9rocsparseL23bsric0_binsearch_kernelILj64ELj64ELb1EdEEv20rocsparse_direction_iiPKiS3_PT2_S3_PiS3_S6_21rocsparse_index_base_.private_seg_size, 0
	.set _ZN9rocsparseL23bsric0_binsearch_kernelILj64ELj64ELb1EdEEv20rocsparse_direction_iiPKiS3_PT2_S3_PiS3_S6_21rocsparse_index_base_.uses_vcc, 1
	.set _ZN9rocsparseL23bsric0_binsearch_kernelILj64ELj64ELb1EdEEv20rocsparse_direction_iiPKiS3_PT2_S3_PiS3_S6_21rocsparse_index_base_.uses_flat_scratch, 0
	.set _ZN9rocsparseL23bsric0_binsearch_kernelILj64ELj64ELb1EdEEv20rocsparse_direction_iiPKiS3_PT2_S3_PiS3_S6_21rocsparse_index_base_.has_dyn_sized_stack, 0
	.set _ZN9rocsparseL23bsric0_binsearch_kernelILj64ELj64ELb1EdEEv20rocsparse_direction_iiPKiS3_PT2_S3_PiS3_S6_21rocsparse_index_base_.has_recursion, 0
	.set _ZN9rocsparseL23bsric0_binsearch_kernelILj64ELj64ELb1EdEEv20rocsparse_direction_iiPKiS3_PT2_S3_PiS3_S6_21rocsparse_index_base_.has_indirect_call, 0
	.section	.AMDGPU.csdata,"",@progbits
; Kernel info:
; codeLenInByte = 2808
; TotalNumSgprs: 61
; NumVgprs: 53
; ScratchSize: 0
; MemoryBound: 0
; FloatMode: 240
; IeeeMode: 1
; LDSByteSize: 0 bytes/workgroup (compile time only)
; SGPRBlocks: 7
; VGPRBlocks: 13
; NumSGPRsForWavesPerEU: 61
; NumVGPRsForWavesPerEU: 53
; Occupancy: 4
; WaveLimiterHint : 1
; COMPUTE_PGM_RSRC2:SCRATCH_EN: 0
; COMPUTE_PGM_RSRC2:USER_SGPR: 6
; COMPUTE_PGM_RSRC2:TRAP_HANDLER: 0
; COMPUTE_PGM_RSRC2:TGID_X_EN: 1
; COMPUTE_PGM_RSRC2:TGID_Y_EN: 0
; COMPUTE_PGM_RSRC2:TGID_Z_EN: 0
; COMPUTE_PGM_RSRC2:TIDIG_COMP_CNT: 0
	.section	.text._ZN9rocsparseL26bsric0_2_8_unrolled_kernelILi1ELi32ELi1EdEEv20rocsparse_direction_iiPKiS3_PT2_S3_PiS3_S6_21rocsparse_index_base_,"axG",@progbits,_ZN9rocsparseL26bsric0_2_8_unrolled_kernelILi1ELi32ELi1EdEEv20rocsparse_direction_iiPKiS3_PT2_S3_PiS3_S6_21rocsparse_index_base_,comdat
	.globl	_ZN9rocsparseL26bsric0_2_8_unrolled_kernelILi1ELi32ELi1EdEEv20rocsparse_direction_iiPKiS3_PT2_S3_PiS3_S6_21rocsparse_index_base_ ; -- Begin function _ZN9rocsparseL26bsric0_2_8_unrolled_kernelILi1ELi32ELi1EdEEv20rocsparse_direction_iiPKiS3_PT2_S3_PiS3_S6_21rocsparse_index_base_
	.p2align	8
	.type	_ZN9rocsparseL26bsric0_2_8_unrolled_kernelILi1ELi32ELi1EdEEv20rocsparse_direction_iiPKiS3_PT2_S3_PiS3_S6_21rocsparse_index_base_,@function
_ZN9rocsparseL26bsric0_2_8_unrolled_kernelILi1ELi32ELi1EdEEv20rocsparse_direction_iiPKiS3_PT2_S3_PiS3_S6_21rocsparse_index_base_: ; @_ZN9rocsparseL26bsric0_2_8_unrolled_kernelILi1ELi32ELi1EdEEv20rocsparse_direction_iiPKiS3_PT2_S3_PiS3_S6_21rocsparse_index_base_
; %bb.0:
	s_load_dwordx8 s[8:15], s[4:5], 0x28
	s_mov_b32 s7, 0
	s_lshl_b64 s[0:1], s[6:7], 2
	s_waitcnt lgkmcnt(0)
	s_add_u32 s0, s12, s0
	s_addc_u32 s1, s13, s1
	s_load_dword s12, s[0:1], 0x0
	s_waitcnt lgkmcnt(0)
	s_ashr_i32 s13, s12, 31
	s_lshl_b64 s[6:7], s[12:13], 2
	s_add_u32 s0, s8, s6
	s_addc_u32 s1, s9, s7
	s_load_dword s16, s[0:1], 0x0
	s_load_dword s13, s[4:5], 0x48
	s_waitcnt lgkmcnt(0)
	s_cmp_lg_u32 s16, -1
	s_cbranch_scc0 .LBB21_6
; %bb.1:
	s_load_dwordx4 s[0:3], s[4:5], 0x10
	s_waitcnt lgkmcnt(0)
	s_add_u32 s18, s0, s6
	s_addc_u32 s19, s1, s7
	s_load_dword s17, s[18:19], 0x0
	s_waitcnt lgkmcnt(0)
	s_sub_i32 s18, s17, s13
	s_cmp_gt_i32 s18, s16
	s_cbranch_scc1 .LBB21_4
; %bb.2:
	s_not_b32 s19, s13
	s_add_i32 s17, s19, s17
	s_ashr_i32 s19, s18, 31
	s_lshl_b64 s[20:21], s[18:19], 2
	s_add_u32 s20, s2, s20
	s_movk_i32 s22, 0x100
	s_addc_u32 s21, s3, s21
.LBB21_3:                               ; =>This Inner Loop Header: Depth=1
	s_load_dword s19, s[20:21], 0x0
	v_mov_b32_e32 v0, s22
	s_add_i32 s17, s17, 1
	s_add_i32 s22, s22, 4
	s_waitcnt lgkmcnt(0)
	s_sub_i32 s19, s19, s13
	s_add_u32 s20, s20, 4
	s_addc_u32 s21, s21, 0
	v_mov_b32_e32 v1, s19
	s_cmp_ge_i32 s17, s16
	ds_write_b32 v0, v1
	s_cbranch_scc0 .LBB21_3
.LBB21_4:
	s_load_dwordx2 s[4:5], s[4:5], 0x20
	v_mov_b32_e32 v0, 0
	s_mov_b32 s19, 0
	v_mov_b32_e32 v1, v0
	s_cmp_lt_i32 s18, s16
	ds_write_b64 v0, v[0:1] offset:432
	s_waitcnt lgkmcnt(0)
	s_cbranch_scc1 .LBB21_7
; %bb.5:
	s_cbranch_execz .LBB21_8
	s_branch .LBB21_39
.LBB21_6:
	s_mov_b64 s[0:1], 0
	s_cbranch_execnz .LBB21_51
	s_branch .LBB21_52
.LBB21_7:
                                        ; implicit-def: $sgpr19
.LBB21_8:
	s_mov_b32 s19, 0
	v_mov_b32_e32 v4, 0
	v_mov_b32_e32 v5, s5
	;; [unrolled: 1-line block ×7, first 2 shown]
	s_mov_b32 s20, s18
	s_branch .LBB21_10
.LBB21_9:                               ;   in Loop: Header=BB21_10 Depth=1
                                        ; implicit-def: $sgpr20
	s_cbranch_execnz .LBB21_39
.LBB21_10:                              ; =>This Loop Header: Depth=1
                                        ;     Child Loop BB21_13 Depth 2
                                        ;     Child Loop BB21_24 Depth 2
	;; [unrolled: 1-line block ×4, first 2 shown]
	s_ashr_i32 s21, s20, 31
	s_lshl_b64 s[22:23], s[20:21], 2
	s_add_u32 s22, s2, s22
	s_addc_u32 s23, s3, s23
	s_load_dword s17, s[22:23], 0x0
	s_waitcnt lgkmcnt(0)
	s_sub_i32 s28, s17, s13
	s_ashr_i32 s29, s28, 31
	s_lshl_b64 s[26:27], s[28:29], 2
	s_add_u32 s22, s8, s26
	s_addc_u32 s23, s9, s27
	s_load_dword s24, s[22:23], 0x0
	s_waitcnt lgkmcnt(0)
	s_cmp_eq_u32 s24, -1
	s_cbranch_scc1 .LBB21_9
; %bb.11:                               ;   in Loop: Header=BB21_10 Depth=1
	s_add_u32 s22, s0, s26
	s_addc_u32 s23, s1, s27
	s_load_dword s25, s[22:23], 0x0
	s_lshl_b64 s[22:23], s[20:21], 3
	s_mov_b32 s21, 0
	ds_read_b32 v2, v4 offset:256
	s_waitcnt lgkmcnt(0)
	s_sub_i32 s30, s25, s13
	s_add_u32 s22, s4, s22
	s_addc_u32 s23, s5, s23
	global_load_dwordx2 v[0:1], v4, s[22:23]
	s_cmp_le_i32 s30, s24
	s_cselect_b64 s[34:35], -1, 0
	v_cmp_ge_i32_e32 vcc, s28, v2
	s_and_b64 s[34:35], s[34:35], vcc
	s_andn2_b64 vcc, exec, s[34:35]
	s_waitcnt vmcnt(0)
	ds_write_b64 v6, v[0:1]
	s_cbranch_vccnz .LBB21_23
; %bb.12:                               ;   in Loop: Header=BB21_10 Depth=1
	s_mov_b32 s25, 0
	s_mov_b32 s29, 0
.LBB21_13:                              ;   Parent Loop BB21_10 Depth=1
                                        ; =>  This Inner Loop Header: Depth=2
	s_ashr_i32 s31, s30, 31
	s_lshl_b64 s[34:35], s[30:31], 2
	s_add_u32 s34, s2, s34
	s_addc_u32 s35, s3, s35
	s_lshl_b32 s31, s29, 2
	s_load_dword s21, s[34:35], 0x0
	v_mov_b32_e32 v0, s31
	ds_read_b32 v0, v0 offset:256
	s_mov_b64 s[34:35], -1
                                        ; implicit-def: $sgpr36
                                        ; implicit-def: $sgpr33
	s_waitcnt lgkmcnt(0)
	s_sub_i32 s37, s21, s13
                                        ; implicit-def: $sgpr21
	v_cmp_ge_i32_e32 vcc, s37, v0
	v_readfirstlane_b32 s31, v0
	s_cbranch_vccz .LBB21_19
; %bb.14:                               ;   in Loop: Header=BB21_13 Depth=2
	s_cmp_le_i32 s37, s31
                                        ; implicit-def: $sgpr21
                                        ; implicit-def: $sgpr36
                                        ; implicit-def: $sgpr33
	s_cbranch_scc0 .LBB21_16
; %bb.15:                               ;   in Loop: Header=BB21_13 Depth=2
	s_add_i32 s21, s29, s18
	s_lshl_b32 s33, s25, 2
	v_mov_b32_e32 v0, s33
	v_mov_b32_e32 v1, s21
	;; [unrolled: 1-line block ×3, first 2 shown]
	ds_write2_b32 v0, v2, v1 offset1:32
	s_add_i32 s33, s29, 1
	s_add_i32 s36, s30, 1
	;; [unrolled: 1-line block ×3, first 2 shown]
	s_mov_b64 s[34:35], 0
.LBB21_16:                              ;   in Loop: Header=BB21_13 Depth=2
	s_andn2_b64 vcc, exec, s[34:35]
	s_cbranch_vccnz .LBB21_18
; %bb.17:                               ;   in Loop: Header=BB21_13 Depth=2
	s_add_i32 s33, s29, 1
	s_mov_b32 s21, s25
	s_mov_b32 s36, s30
.LBB21_18:                              ;   in Loop: Header=BB21_13 Depth=2
	s_mov_b64 s[34:35], 0
.LBB21_19:                              ;   in Loop: Header=BB21_13 Depth=2
	s_andn2_b64 vcc, exec, s[34:35]
	s_cbranch_vccnz .LBB21_21
; %bb.20:                               ;   in Loop: Header=BB21_13 Depth=2
	s_add_i32 s36, s30, 1
	s_mov_b32 s33, s29
	s_mov_b32 s21, s25
.LBB21_21:                              ;   in Loop: Header=BB21_13 Depth=2
	s_cmp_le_i32 s36, s24
	s_cselect_b64 s[34:35], -1, 0
	s_cmp_le_i32 s31, s28
	s_cselect_b64 s[30:31], -1, 0
	s_and_b64 s[30:31], s[34:35], s[30:31]
	s_and_b64 vcc, exec, s[30:31]
	s_cbranch_vccz .LBB21_23
; %bb.22:                               ;   in Loop: Header=BB21_13 Depth=2
	s_mov_b32 s25, s21
	s_mov_b32 s30, s36
	;; [unrolled: 1-line block ×3, first 2 shown]
	s_branch .LBB21_13
.LBB21_23:                              ;   in Loop: Header=BB21_10 Depth=1
	s_add_u32 s26, s10, s26
	s_addc_u32 s27, s11, s27
	s_waitcnt lgkmcnt(0)
.LBB21_24:                              ;   Parent Loop BB21_10 Depth=1
                                        ; =>  This Inner Loop Header: Depth=2
	global_load_dword v0, v4, s[26:27] glc
	s_waitcnt vmcnt(0)
	v_cmp_eq_u32_e32 vcc, 0, v0
	s_cbranch_vccnz .LBB21_24
; %bb.25:                               ;   in Loop: Header=BB21_10 Depth=1
	s_ashr_i32 s25, s24, 31
	s_lshl_b64 s[24:25], s[24:25], 3
	s_add_u32 s24, s4, s24
	s_addc_u32 s25, s5, s25
	buffer_wbinvl1_vol
	global_load_dwordx2 v[2:3], v4, s[24:25]
	v_mov_b32_e32 v0, 0
	v_mov_b32_e32 v1, 0
	s_cmp_lt_i32 s21, 2
	s_waitcnt vmcnt(0)
	ds_write_b64 v8, v[2:3]
	s_waitcnt lgkmcnt(0)
	s_cbranch_scc1 .LBB21_33
; %bb.26:                               ;   in Loop: Header=BB21_10 Depth=1
	s_add_i32 s24, s21, -2
	s_add_i32 s21, s21, -1
	s_cmp_lt_u32 s24, 7
	s_cbranch_scc1 .LBB21_30
; %bb.27:                               ;   in Loop: Header=BB21_10 Depth=1
	v_mov_b32_e32 v0, 0
	s_and_b32 s24, s21, -8
	s_mov_b32 s25, 0
	v_mov_b32_e32 v1, 0
	s_mov_b32 s26, 0
.LBB21_28:                              ;   Parent Loop BB21_10 Depth=1
                                        ; =>  This Inner Loop Header: Depth=2
	v_mov_b32_e32 v2, s25
	ds_read_b128 v[11:14], v2
	ds_read_b128 v[15:18], v2 offset:16
	ds_read_b128 v[19:22], v2 offset:128
	ds_read_b128 v[23:26], v2 offset:144
	s_add_i32 s26, s26, 8
	s_waitcnt lgkmcnt(3)
	v_ashrrev_i32_e32 v3, 31, v11
	v_mov_b32_e32 v2, v11
	v_lshlrev_b64 v[2:3], 3, v[2:3]
	v_ashrrev_i32_e32 v28, 31, v12
	v_mov_b32_e32 v27, v12
	v_ashrrev_i32_e32 v12, 31, v13
	v_mov_b32_e32 v11, v13
	v_ashrrev_i32_e32 v30, 31, v14
	v_mov_b32_e32 v29, v14
	s_waitcnt lgkmcnt(1)
	v_ashrrev_i32_e32 v14, 31, v19
	v_mov_b32_e32 v13, v19
	v_lshlrev_b64 v[13:14], 3, v[13:14]
	v_add_co_u32_e32 v2, vcc, s4, v2
	v_addc_co_u32_e32 v3, vcc, v5, v3, vcc
	v_ashrrev_i32_e32 v32, 31, v20
	v_mov_b32_e32 v31, v20
	v_ashrrev_i32_e32 v20, 31, v21
	v_mov_b32_e32 v19, v21
	v_ashrrev_i32_e32 v34, 31, v22
	v_mov_b32_e32 v33, v22
	v_ashrrev_i32_e32 v22, 31, v15
	v_mov_b32_e32 v21, v15
	v_ashrrev_i32_e32 v36, 31, v16
	v_mov_b32_e32 v35, v16
	v_ashrrev_i32_e32 v16, 31, v17
	v_mov_b32_e32 v15, v17
	v_ashrrev_i32_e32 v38, 31, v18
	v_mov_b32_e32 v37, v18
	s_waitcnt lgkmcnt(0)
	v_ashrrev_i32_e32 v18, 31, v23
	v_mov_b32_e32 v17, v23
	v_ashrrev_i32_e32 v40, 31, v24
	v_mov_b32_e32 v39, v24
	;; [unrolled: 2-line block ×4, first 2 shown]
	v_lshlrev_b64 v[25:26], 3, v[27:28]
	v_add_co_u32_e32 v13, vcc, s4, v13
	v_addc_co_u32_e32 v14, vcc, v5, v14, vcc
	v_lshlrev_b64 v[27:28], 3, v[31:32]
	v_add_co_u32_e32 v25, vcc, s4, v25
	v_lshlrev_b64 v[31:32], 3, v[33:34]
	v_lshlrev_b64 v[33:34], 3, v[35:36]
	;; [unrolled: 1-line block ×4, first 2 shown]
	v_addc_co_u32_e32 v26, vcc, v5, v26, vcc
	global_load_dwordx2 v[41:42], v[13:14], off
	global_load_dwordx2 v[43:44], v[2:3], off
	v_lshlrev_b64 v[11:12], 3, v[11:12]
	v_add_co_u32_e32 v27, vcc, s4, v27
	v_addc_co_u32_e32 v28, vcc, v5, v28, vcc
	v_lshlrev_b64 v[19:20], 3, v[19:20]
	v_add_co_u32_e32 v11, vcc, s4, v11
	v_addc_co_u32_e32 v12, vcc, v5, v12, vcc
	;; [unrolled: 3-line block ×3, first 2 shown]
	v_add_co_u32_e32 v2, vcc, s4, v29
	v_addc_co_u32_e32 v3, vcc, v5, v30, vcc
	global_load_dwordx2 v[13:14], v[25:26], off
	global_load_dwordx2 v[29:30], v[27:28], off
	v_add_co_u32_e32 v25, vcc, s4, v31
	v_addc_co_u32_e32 v26, vcc, v5, v32, vcc
	global_load_dwordx2 v[27:28], v[11:12], off
	global_load_dwordx2 v[31:32], v[19:20], off
	v_lshlrev_b64 v[21:22], 3, v[21:22]
	v_lshlrev_b64 v[17:18], 3, v[17:18]
	v_add_co_u32_e32 v21, vcc, s4, v21
	v_addc_co_u32_e32 v22, vcc, v5, v22, vcc
	v_add_co_u32_e32 v11, vcc, s4, v17
	v_addc_co_u32_e32 v12, vcc, v5, v18, vcc
	global_load_dwordx2 v[17:18], v[2:3], off
	global_load_dwordx2 v[19:20], v[25:26], off
	v_add_co_u32_e32 v2, vcc, s4, v33
	v_addc_co_u32_e32 v3, vcc, v5, v34, vcc
	global_load_dwordx2 v[33:34], v[11:12], off
	global_load_dwordx2 v[45:46], v[21:22], off
	v_lshlrev_b64 v[15:16], 3, v[15:16]
	v_add_co_u32_e32 v25, vcc, s4, v35
	v_addc_co_u32_e32 v26, vcc, v5, v36, vcc
	v_add_co_u32_e32 v11, vcc, s4, v15
	v_addc_co_u32_e32 v12, vcc, v5, v16, vcc
	global_load_dwordx2 v[15:16], v[2:3], off
	global_load_dwordx2 v[21:22], v[25:26], off
	v_lshlrev_b64 v[23:24], 3, v[23:24]
	v_lshlrev_b64 v[37:38], 3, v[37:38]
	v_add_co_u32_e32 v2, vcc, s4, v23
	v_addc_co_u32_e32 v3, vcc, v5, v24, vcc
	global_load_dwordx2 v[25:26], v[2:3], off
	global_load_dwordx2 v[35:36], v[11:12], off
	v_add_co_u32_e32 v23, vcc, s4, v37
	v_addc_co_u32_e32 v24, vcc, v5, v38, vcc
	v_add_co_u32_e32 v2, vcc, s4, v39
	v_addc_co_u32_e32 v3, vcc, v5, v40, vcc
	global_load_dwordx2 v[11:12], v[23:24], off
	global_load_dwordx2 v[37:38], v[2:3], off
	s_add_i32 s25, s25, 32
	s_cmp_eq_u32 s24, s26
	s_waitcnt vmcnt(14)
	v_fma_f64 v[0:1], v[43:44], v[41:42], v[0:1]
	s_waitcnt vmcnt(12)
	v_fma_f64 v[0:1], v[13:14], v[29:30], v[0:1]
	;; [unrolled: 2-line block ×8, first 2 shown]
	s_cbranch_scc0 .LBB21_28
; %bb.29:                               ;   in Loop: Header=BB21_10 Depth=1
	s_and_b32 s21, s21, 7
	s_cmp_eq_u32 s21, 0
	s_cbranch_scc0 .LBB21_31
	s_branch .LBB21_33
.LBB21_30:                              ;   in Loop: Header=BB21_10 Depth=1
	v_mov_b32_e32 v0, 0
	v_mov_b32_e32 v1, 0
	s_mov_b32 s24, 0
	s_and_b32 s21, s21, 7
	s_cmp_eq_u32 s21, 0
	s_cbranch_scc1 .LBB21_33
.LBB21_31:                              ;   in Loop: Header=BB21_10 Depth=1
	s_lshl_b32 s24, s24, 2
.LBB21_32:                              ;   Parent Loop BB21_10 Depth=1
                                        ; =>  This Inner Loop Header: Depth=2
	v_mov_b32_e32 v2, s24
	ds_read2_b32 v[2:3], v2 offset1:32
	v_mov_b32_e32 v15, s5
	s_add_i32 s24, s24, 4
	s_add_i32 s21, s21, -1
	s_cmp_lg_u32 s21, 0
	s_waitcnt lgkmcnt(0)
	v_ashrrev_i32_e32 v12, 31, v2
	v_mov_b32_e32 v11, v2
	v_ashrrev_i32_e32 v14, 31, v3
	v_mov_b32_e32 v13, v3
	v_lshlrev_b64 v[2:3], 3, v[11:12]
	v_lshlrev_b64 v[11:12], 3, v[13:14]
	v_add_co_u32_e32 v2, vcc, s4, v2
	v_addc_co_u32_e32 v3, vcc, v15, v3, vcc
	v_add_co_u32_e32 v11, vcc, s4, v11
	v_addc_co_u32_e32 v12, vcc, v15, v12, vcc
	global_load_dwordx2 v[13:14], v[2:3], off
	global_load_dwordx2 v[15:16], v[11:12], off
	s_waitcnt vmcnt(0)
	v_fma_f64 v[0:1], v[13:14], v[15:16], v[0:1]
	s_cbranch_scc1 .LBB21_32
.LBB21_33:                              ;   in Loop: Header=BB21_10 Depth=1
	ds_write_b64 v7, v[0:1]
	s_waitcnt lgkmcnt(0)
	ds_read_b64 v[2:3], v4 offset:384
	ds_read_b64 v[0:1], v6
	s_waitcnt lgkmcnt(1)
	v_cmp_eq_f64_e32 vcc, 0, v[2:3]
	s_cbranch_vccz .LBB21_37
; %bb.34:                               ;   in Loop: Header=BB21_10 Depth=1
	v_mbcnt_lo_u32_b32 v2, exec_lo, 0
	v_mbcnt_hi_u32_b32 v2, exec_hi, v2
	v_cmp_ne_u32_e32 vcc, 0, v2
	s_and_b64 s[24:25], vcc, exec
	s_cbranch_scc1 .LBB21_36
; %bb.35:                               ;   in Loop: Header=BB21_10 Depth=1
	v_mov_b32_e32 v2, s17
	global_atomic_smin v4, v2, s[14:15]
.LBB21_36:                              ;   in Loop: Header=BB21_10 Depth=1
	v_mov_b32_e32 v2, 0
	v_mov_b32_e32 v3, 0x3ff00000
	s_branch .LBB21_38
.LBB21_37:                              ;   in Loop: Header=BB21_10 Depth=1
	v_cmp_neq_f64_e32 vcc, 0, v[2:3]
	v_cndmask_b32_e32 v3, v10, v3, vcc
	v_cndmask_b32_e32 v2, 0, v2, vcc
.LBB21_38:                              ;   in Loop: Header=BB21_10 Depth=1
	ds_read_b64 v[11:12], v7
	s_add_i32 s20, s20, 1
	s_cmp_ge_i32 s20, s16
	s_waitcnt lgkmcnt(0)
	v_add_f64 v[0:1], v[0:1], -v[11:12]
	v_div_scale_f64 v[11:12], s[24:25], v[2:3], v[2:3], v[0:1]
	v_rcp_f64_e32 v[13:14], v[11:12]
	v_fma_f64 v[15:16], -v[11:12], v[13:14], 1.0
	v_fma_f64 v[13:14], v[13:14], v[15:16], v[13:14]
	v_div_scale_f64 v[15:16], vcc, v[0:1], v[2:3], v[0:1]
	v_fma_f64 v[17:18], -v[11:12], v[13:14], 1.0
	v_fma_f64 v[13:14], v[13:14], v[17:18], v[13:14]
	v_mul_f64 v[17:18], v[15:16], v[13:14]
	v_fma_f64 v[11:12], -v[11:12], v[17:18], v[15:16]
	v_div_fmas_f64 v[11:12], v[11:12], v[13:14], v[17:18]
	v_div_fixup_f64 v[0:1], v[11:12], v[2:3], v[0:1]
	ds_write_b64 v6, v[0:1]
	s_waitcnt lgkmcnt(0)
	ds_read_b64 v[2:3], v6
	ds_read_b64 v[11:12], v9
	s_waitcnt lgkmcnt(0)
	v_fma_f64 v[0:1], v[0:1], v[2:3], v[11:12]
	ds_write_b64 v9, v[0:1]
	s_waitcnt lgkmcnt(0)
	ds_read_b64 v[0:1], v6
	s_waitcnt lgkmcnt(0)
	global_store_dwordx2 v4, v[0:1], s[22:23]
	s_waitcnt vmcnt(0)
	buffer_wbinvl1_vol
	s_cselect_b64 s[22:23], -1, 0
	s_and_b64 vcc, exec, s[22:23]
	s_cbranch_vccz .LBB21_10
.LBB21_39:
	s_ashr_i32 s17, s16, 31
	s_lshl_b64 s[0:1], s[16:17], 3
	s_add_u32 s2, s4, s0
	s_addc_u32 s3, s5, s1
	v_mov_b32_e32 v0, 0
	global_load_dwordx2 v[1:2], v0, s[2:3]
	s_cmp_lg_u32 s19, 0
	s_cselect_b64 s[4:5], -1, 0
	s_add_i32 s8, s12, s13
	s_waitcnt vmcnt(0)
	ds_write_b64 v0, v[1:2] offset:416
	s_waitcnt lgkmcnt(0)
	s_branch .LBB21_44
; %bb.40:
	ds_read_b64 v[0:1], v0 offset:416
	s_waitcnt lgkmcnt(0)
	v_cmp_neq_f64_e64 s[0:1], 0, v[0:1]
	s_or_b64 s[16:17], s[0:1], s[4:5]
	s_and_b64 vcc, exec, s[16:17]
	s_cbranch_vccnz .LBB21_45
; %bb.41:
	v_mbcnt_lo_u32_b32 v0, exec_lo, 0
	v_mbcnt_hi_u32_b32 v0, exec_hi, v0
	v_cmp_ne_u32_e32 vcc, 0, v0
	s_and_b64 s[0:1], vcc, exec
	s_cbranch_scc1 .LBB21_43
; %bb.42:
	v_mov_b32_e32 v0, 0
	v_mov_b32_e32 v1, s8
	global_atomic_smin v0, v1, s[14:15]
.LBB21_43:
	v_mov_b32_e32 v0, 0
	v_mov_b32_e32 v1, 0x3ff00000
	s_branch .LBB21_46
.LBB21_44:
	s_cbranch_execnz .LBB21_47
	s_branch .LBB21_50
.LBB21_45:
	v_mov_b32_e32 v2, 0x3ff00000
	v_cndmask_b32_e64 v1, v2, v1, s[0:1]
	v_cndmask_b32_e64 v0, 0, v0, s[0:1]
.LBB21_46:
	v_mov_b32_e32 v12, 0x1a0
	v_mov_b32_e32 v13, 0x1b0
	ds_read_b64 v[2:3], v12
	ds_read_b64 v[4:5], v13
	s_waitcnt lgkmcnt(0)
	v_add_f64 v[2:3], v[2:3], -v[4:5]
	v_div_scale_f64 v[4:5], s[0:1], v[0:1], v[0:1], v[2:3]
	v_rcp_f64_e32 v[6:7], v[4:5]
	v_fma_f64 v[8:9], -v[4:5], v[6:7], 1.0
	v_fma_f64 v[6:7], v[6:7], v[8:9], v[6:7]
	v_div_scale_f64 v[8:9], vcc, v[2:3], v[0:1], v[2:3]
	v_fma_f64 v[10:11], -v[4:5], v[6:7], 1.0
	v_fma_f64 v[6:7], v[6:7], v[10:11], v[6:7]
	v_mul_f64 v[10:11], v[8:9], v[6:7]
	v_fma_f64 v[4:5], -v[4:5], v[10:11], v[8:9]
	v_div_fmas_f64 v[4:5], v[4:5], v[6:7], v[10:11]
	v_div_fixup_f64 v[0:1], v[4:5], v[0:1], v[2:3]
	v_mov_b32_e32 v2, 0
	ds_write_b64 v12, v[0:1]
	s_waitcnt lgkmcnt(0)
	ds_read_b64 v[2:3], v2 offset:416
	ds_read_b64 v[4:5], v13
	s_waitcnt lgkmcnt(0)
	v_fma_f64 v[0:1], v[0:1], v[2:3], v[4:5]
	ds_write_b64 v13, v[0:1]
	s_branch .LBB21_50
.LBB21_47:
	v_mov_b32_e32 v8, 0
	ds_read2_b64 v[0:3], v8 offset0:52 offset1:54
	s_mov_b32 s0, 0
	s_brev_b32 s1, 8
	s_waitcnt lgkmcnt(0)
	v_add_f64 v[0:1], v[0:1], -v[2:3]
	v_cmp_gt_f64_e32 vcc, 0, v[0:1]
	v_xor_b32_e32 v2, 0x80000000, v1
	v_cndmask_b32_e32 v1, v1, v2, vcc
	v_cmp_gt_f64_e32 vcc, s[0:1], v[0:1]
	s_and_b64 s[0:1], vcc, exec
	s_cselect_b32 s0, 0x100, 0
	v_ldexp_f64 v[0:1], v[0:1], s0
	s_cselect_b32 s0, 0xffffff80, 0
	v_rsq_f64_e32 v[2:3], v[0:1]
	v_mul_f64 v[4:5], v[0:1], v[2:3]
	v_mul_f64 v[2:3], v[2:3], 0.5
	v_fma_f64 v[6:7], -v[2:3], v[4:5], 0.5
	v_fma_f64 v[4:5], v[4:5], v[6:7], v[4:5]
	v_fma_f64 v[2:3], v[2:3], v[6:7], v[2:3]
	v_fma_f64 v[6:7], -v[4:5], v[4:5], v[0:1]
	v_fma_f64 v[4:5], v[6:7], v[2:3], v[4:5]
	v_fma_f64 v[6:7], -v[4:5], v[4:5], v[0:1]
	v_fma_f64 v[2:3], v[6:7], v[2:3], v[4:5]
	v_mov_b32_e32 v4, 0x260
	v_cmp_class_f64_e32 vcc, v[0:1], v4
	v_ldexp_f64 v[2:3], v[2:3], s0
	v_cndmask_b32_e32 v1, v3, v1, vcc
	v_cndmask_b32_e32 v0, v2, v0, vcc
	ds_write_b64 v8, v[0:1] offset:416
	s_waitcnt lgkmcnt(0)
	ds_read_b64 v[0:1], v8 offset:416
	s_waitcnt lgkmcnt(0)
	v_cmp_neq_f64_e32 vcc, 0, v[0:1]
	s_or_b64 s[0:1], vcc, s[4:5]
	s_and_b64 vcc, exec, s[0:1]
	s_cbranch_vccnz .LBB21_50
; %bb.48:
	v_mbcnt_lo_u32_b32 v0, exec_lo, 0
	v_mbcnt_hi_u32_b32 v0, exec_hi, v0
	v_cmp_ne_u32_e32 vcc, 0, v0
	s_and_b64 s[0:1], vcc, exec
	s_cbranch_scc1 .LBB21_50
; %bb.49:
	v_mov_b32_e32 v0, 0
	v_mov_b32_e32 v1, s8
	global_atomic_smin v0, v1, s[14:15]
.LBB21_50:
	v_mov_b32_e32 v0, 0x1a0
	s_waitcnt lgkmcnt(0)
	ds_read_b64 v[0:1], v0
	v_mov_b32_e32 v2, 0
	s_cmp_eq_u32 s19, 0
	s_cselect_b64 s[0:1], -1, 0
	s_waitcnt lgkmcnt(0)
	global_store_dwordx2 v2, v[0:1], s[2:3]
	s_branch .LBB21_52
.LBB21_51:
	s_cbranch_execnz .LBB21_55
.LBB21_52:
	s_and_b64 vcc, exec, s[0:1]
	s_cbranch_vccz .LBB21_54
.LBB21_53:
	s_add_u32 s0, s10, s6
	s_addc_u32 s1, s11, s7
	v_mov_b32_e32 v0, 0
	v_mov_b32_e32 v1, 1
	s_waitcnt vmcnt(0)
	global_store_dword v0, v1, s[0:1]
.LBB21_54:
	s_endpgm
.LBB21_55:
	v_mbcnt_lo_u32_b32 v0, exec_lo, 0
	v_mbcnt_hi_u32_b32 v0, exec_hi, v0
	v_cmp_ne_u32_e32 vcc, 0, v0
	s_and_b64 s[0:1], vcc, exec
	s_cbranch_scc0 .LBB21_57
; %bb.56:
	s_cbranch_execnz .LBB21_53
	s_branch .LBB21_54
.LBB21_57:
	s_add_i32 s0, s12, s13
	v_mov_b32_e32 v0, 0
	v_mov_b32_e32 v1, s0
	global_atomic_smin v0, v1, s[14:15]
	s_cbranch_execnz .LBB21_53
	s_branch .LBB21_54
	.section	.rodata,"a",@progbits
	.p2align	6, 0x0
	.amdhsa_kernel _ZN9rocsparseL26bsric0_2_8_unrolled_kernelILi1ELi32ELi1EdEEv20rocsparse_direction_iiPKiS3_PT2_S3_PiS3_S6_21rocsparse_index_base_
		.amdhsa_group_segment_fixed_size 448
		.amdhsa_private_segment_fixed_size 0
		.amdhsa_kernarg_size 76
		.amdhsa_user_sgpr_count 6
		.amdhsa_user_sgpr_private_segment_buffer 1
		.amdhsa_user_sgpr_dispatch_ptr 0
		.amdhsa_user_sgpr_queue_ptr 0
		.amdhsa_user_sgpr_kernarg_segment_ptr 1
		.amdhsa_user_sgpr_dispatch_id 0
		.amdhsa_user_sgpr_flat_scratch_init 0
		.amdhsa_user_sgpr_private_segment_size 0
		.amdhsa_uses_dynamic_stack 0
		.amdhsa_system_sgpr_private_segment_wavefront_offset 0
		.amdhsa_system_sgpr_workgroup_id_x 1
		.amdhsa_system_sgpr_workgroup_id_y 0
		.amdhsa_system_sgpr_workgroup_id_z 0
		.amdhsa_system_sgpr_workgroup_info 0
		.amdhsa_system_vgpr_workitem_id 0
		.amdhsa_next_free_vgpr 47
		.amdhsa_next_free_sgpr 38
		.amdhsa_reserve_vcc 1
		.amdhsa_reserve_flat_scratch 0
		.amdhsa_float_round_mode_32 0
		.amdhsa_float_round_mode_16_64 0
		.amdhsa_float_denorm_mode_32 3
		.amdhsa_float_denorm_mode_16_64 3
		.amdhsa_dx10_clamp 1
		.amdhsa_ieee_mode 1
		.amdhsa_fp16_overflow 0
		.amdhsa_exception_fp_ieee_invalid_op 0
		.amdhsa_exception_fp_denorm_src 0
		.amdhsa_exception_fp_ieee_div_zero 0
		.amdhsa_exception_fp_ieee_overflow 0
		.amdhsa_exception_fp_ieee_underflow 0
		.amdhsa_exception_fp_ieee_inexact 0
		.amdhsa_exception_int_div_zero 0
	.end_amdhsa_kernel
	.section	.text._ZN9rocsparseL26bsric0_2_8_unrolled_kernelILi1ELi32ELi1EdEEv20rocsparse_direction_iiPKiS3_PT2_S3_PiS3_S6_21rocsparse_index_base_,"axG",@progbits,_ZN9rocsparseL26bsric0_2_8_unrolled_kernelILi1ELi32ELi1EdEEv20rocsparse_direction_iiPKiS3_PT2_S3_PiS3_S6_21rocsparse_index_base_,comdat
.Lfunc_end21:
	.size	_ZN9rocsparseL26bsric0_2_8_unrolled_kernelILi1ELi32ELi1EdEEv20rocsparse_direction_iiPKiS3_PT2_S3_PiS3_S6_21rocsparse_index_base_, .Lfunc_end21-_ZN9rocsparseL26bsric0_2_8_unrolled_kernelILi1ELi32ELi1EdEEv20rocsparse_direction_iiPKiS3_PT2_S3_PiS3_S6_21rocsparse_index_base_
                                        ; -- End function
	.set _ZN9rocsparseL26bsric0_2_8_unrolled_kernelILi1ELi32ELi1EdEEv20rocsparse_direction_iiPKiS3_PT2_S3_PiS3_S6_21rocsparse_index_base_.num_vgpr, 47
	.set _ZN9rocsparseL26bsric0_2_8_unrolled_kernelILi1ELi32ELi1EdEEv20rocsparse_direction_iiPKiS3_PT2_S3_PiS3_S6_21rocsparse_index_base_.num_agpr, 0
	.set _ZN9rocsparseL26bsric0_2_8_unrolled_kernelILi1ELi32ELi1EdEEv20rocsparse_direction_iiPKiS3_PT2_S3_PiS3_S6_21rocsparse_index_base_.numbered_sgpr, 38
	.set _ZN9rocsparseL26bsric0_2_8_unrolled_kernelILi1ELi32ELi1EdEEv20rocsparse_direction_iiPKiS3_PT2_S3_PiS3_S6_21rocsparse_index_base_.num_named_barrier, 0
	.set _ZN9rocsparseL26bsric0_2_8_unrolled_kernelILi1ELi32ELi1EdEEv20rocsparse_direction_iiPKiS3_PT2_S3_PiS3_S6_21rocsparse_index_base_.private_seg_size, 0
	.set _ZN9rocsparseL26bsric0_2_8_unrolled_kernelILi1ELi32ELi1EdEEv20rocsparse_direction_iiPKiS3_PT2_S3_PiS3_S6_21rocsparse_index_base_.uses_vcc, 1
	.set _ZN9rocsparseL26bsric0_2_8_unrolled_kernelILi1ELi32ELi1EdEEv20rocsparse_direction_iiPKiS3_PT2_S3_PiS3_S6_21rocsparse_index_base_.uses_flat_scratch, 0
	.set _ZN9rocsparseL26bsric0_2_8_unrolled_kernelILi1ELi32ELi1EdEEv20rocsparse_direction_iiPKiS3_PT2_S3_PiS3_S6_21rocsparse_index_base_.has_dyn_sized_stack, 0
	.set _ZN9rocsparseL26bsric0_2_8_unrolled_kernelILi1ELi32ELi1EdEEv20rocsparse_direction_iiPKiS3_PT2_S3_PiS3_S6_21rocsparse_index_base_.has_recursion, 0
	.set _ZN9rocsparseL26bsric0_2_8_unrolled_kernelILi1ELi32ELi1EdEEv20rocsparse_direction_iiPKiS3_PT2_S3_PiS3_S6_21rocsparse_index_base_.has_indirect_call, 0
	.section	.AMDGPU.csdata,"",@progbits
; Kernel info:
; codeLenInByte = 2776
; TotalNumSgprs: 42
; NumVgprs: 47
; ScratchSize: 0
; MemoryBound: 0
; FloatMode: 240
; IeeeMode: 1
; LDSByteSize: 448 bytes/workgroup (compile time only)
; SGPRBlocks: 5
; VGPRBlocks: 11
; NumSGPRsForWavesPerEU: 42
; NumVGPRsForWavesPerEU: 47
; Occupancy: 5
; WaveLimiterHint : 1
; COMPUTE_PGM_RSRC2:SCRATCH_EN: 0
; COMPUTE_PGM_RSRC2:USER_SGPR: 6
; COMPUTE_PGM_RSRC2:TRAP_HANDLER: 0
; COMPUTE_PGM_RSRC2:TGID_X_EN: 1
; COMPUTE_PGM_RSRC2:TGID_Y_EN: 0
; COMPUTE_PGM_RSRC2:TGID_Z_EN: 0
; COMPUTE_PGM_RSRC2:TIDIG_COMP_CNT: 0
	.section	.text._ZN9rocsparseL26bsric0_2_8_unrolled_kernelILi4ELi32ELi2EdEEv20rocsparse_direction_iiPKiS3_PT2_S3_PiS3_S6_21rocsparse_index_base_,"axG",@progbits,_ZN9rocsparseL26bsric0_2_8_unrolled_kernelILi4ELi32ELi2EdEEv20rocsparse_direction_iiPKiS3_PT2_S3_PiS3_S6_21rocsparse_index_base_,comdat
	.globl	_ZN9rocsparseL26bsric0_2_8_unrolled_kernelILi4ELi32ELi2EdEEv20rocsparse_direction_iiPKiS3_PT2_S3_PiS3_S6_21rocsparse_index_base_ ; -- Begin function _ZN9rocsparseL26bsric0_2_8_unrolled_kernelILi4ELi32ELi2EdEEv20rocsparse_direction_iiPKiS3_PT2_S3_PiS3_S6_21rocsparse_index_base_
	.p2align	8
	.type	_ZN9rocsparseL26bsric0_2_8_unrolled_kernelILi4ELi32ELi2EdEEv20rocsparse_direction_iiPKiS3_PT2_S3_PiS3_S6_21rocsparse_index_base_,@function
_ZN9rocsparseL26bsric0_2_8_unrolled_kernelILi4ELi32ELi2EdEEv20rocsparse_direction_iiPKiS3_PT2_S3_PiS3_S6_21rocsparse_index_base_: ; @_ZN9rocsparseL26bsric0_2_8_unrolled_kernelILi4ELi32ELi2EdEEv20rocsparse_direction_iiPKiS3_PT2_S3_PiS3_S6_21rocsparse_index_base_
; %bb.0:
	s_load_dwordx8 s[8:15], s[4:5], 0x28
	s_mov_b32 s7, 0
	s_lshl_b64 s[0:1], s[6:7], 2
	s_waitcnt lgkmcnt(0)
	s_add_u32 s0, s12, s0
	s_addc_u32 s1, s13, s1
	s_load_dword s12, s[0:1], 0x0
	s_waitcnt lgkmcnt(0)
	s_ashr_i32 s13, s12, 31
	s_lshl_b64 s[6:7], s[12:13], 2
	s_add_u32 s0, s8, s6
	s_addc_u32 s1, s9, s7
	s_load_dword s30, s[0:1], 0x0
	s_load_dword s13, s[4:5], 0x48
	s_waitcnt lgkmcnt(0)
	s_cmp_lg_u32 s30, -1
	s_cbranch_scc0 .LBB22_6
; %bb.1:
	s_load_dwordx4 s[16:19], s[4:5], 0x10
	s_load_dwordx2 s[2:3], s[4:5], 0x20
	v_lshlrev_b32_e32 v14, 1, v1
	v_add_u32_e32 v13, v14, v0
	s_waitcnt lgkmcnt(0)
	s_add_u32 s0, s16, s6
	s_addc_u32 s1, s17, s7
	s_load_dword s0, s[0:1], 0x0
	s_waitcnt lgkmcnt(0)
	s_sub_i32 s31, s0, s13
	v_add_u32_e32 v2, s31, v13
	v_cmp_ge_i32_e32 vcc, s30, v2
	s_and_saveexec_b64 s[0:1], vcc
	s_cbranch_execz .LBB22_4
; %bb.2:
	v_lshlrev_b32_e32 v3, 2, v0
	v_lshl_add_u32 v3, v1, 3, v3
	v_or_b32_e32 v5, 0x100, v3
	v_ashrrev_i32_e32 v3, 31, v2
	v_lshlrev_b64 v[3:4], 2, v[2:3]
	v_mov_b32_e32 v6, s19
	v_add_co_u32_e32 v3, vcc, s18, v3
	v_addc_co_u32_e32 v4, vcc, v6, v4, vcc
	s_mov_b64 s[20:21], 0
.LBB22_3:                               ; =>This Inner Loop Header: Depth=1
	global_load_dword v6, v[3:4], off
	v_add_co_u32_e32 v3, vcc, 16, v3
	v_add_u32_e32 v2, 4, v2
	v_addc_co_u32_e32 v4, vcc, 0, v4, vcc
	v_cmp_lt_i32_e32 vcc, s30, v2
	s_or_b64 s[20:21], vcc, s[20:21]
	s_waitcnt vmcnt(0)
	v_subrev_u32_e32 v6, s13, v6
	ds_write_b32 v5, v6
	v_add_u32_e32 v5, 16, v5
	s_andn2_b64 exec, exec, s[20:21]
	s_cbranch_execnz .LBB22_3
.LBB22_4:
	s_or_b64 exec, exec, s[0:1]
	v_mov_b32_e32 v2, 0x210
	v_mad_u32_u24 v11, v1, 24, v2
	v_mov_b32_e32 v2, 0
	v_lshl_add_u32 v10, v0, 3, v11
	v_mov_b32_e32 v3, v2
	s_cmp_lt_i32 s31, s30
	ds_write_b64 v10, v[2:3]
	s_waitcnt lgkmcnt(0)
	s_cbranch_scc1 .LBB22_8
; %bb.5:
	v_lshl_add_u32 v15, v0, 1, v1
	v_or_b32_e32 v12, v0, v1
	s_load_dword s33, s[4:5], 0x0
	s_cbranch_execz .LBB22_9
	s_branch .LBB22_54
.LBB22_6:
	s_cbranch_execnz .LBB22_73
.LBB22_7:
	s_endpgm
.LBB22_8:
                                        ; implicit-def: $vgpr15
                                        ; implicit-def: $vgpr12
	s_load_dword s33, s[4:5], 0x0
.LBB22_9:
	s_waitcnt lgkmcnt(0)
	s_cmp_lg_u32 s33, 0
	v_mul_u32_u24_e32 v3, 24, v1
	v_lshlrev_b32_e32 v4, 3, v0
	s_movk_i32 s0, 0x180
	s_cselect_b64 s[4:5], -1, 0
	s_cmp_eq_u32 s33, 0
	v_lshlrev_b32_e32 v16, 1, v0
	v_mov_b32_e32 v2, 0x1e0
	v_add3_u32 v19, v4, v3, s0
	v_mov_b32_e32 v3, 0x1b0
	v_add_u32_e32 v15, v16, v1
	v_mad_u32_u24 v17, v1, 24, v2
	v_mad_u32_u24 v22, v1, 24, v3
	v_or_b32_e32 v12, v0, v1
	s_cselect_b64 vcc, -1, 0
	v_add_u32_e32 v18, v17, v4
	v_add_u32_e32 v20, 2, v0
	;; [unrolled: 1-line block ×4, first 2 shown]
	v_mad_u32_u24 v24, v0, 24, v2
	v_cmp_ne_u32_e64 s[0:1], 0, v12
	v_cndmask_b32_e32 v25, v15, v13, vcc
	v_mov_b32_e32 v26, 0
	v_mov_b32_e32 v27, 0x3ff00000
	s_mov_b32 s20, s31
	s_branch .LBB22_12
.LBB22_10:                              ;   in Loop: Header=BB22_12 Depth=1
	s_or_b64 exec, exec, s[24:25]
	v_mov_b32_e32 v6, 0
	v_mov_b32_e32 v7, 0x3ff00000
.LBB22_11:                              ;   in Loop: Header=BB22_12 Depth=1
	s_or_b64 exec, exec, s[22:23]
	ds_read_b64 v[8:9], v26 offset:408
	ds_read_b64 v[28:29], v17
	ds_read_b64 v[30:31], v22 offset:8
	s_add_i32 s20, s20, 1
	s_cmp_ge_i32 s20, s30
	s_waitcnt lgkmcnt(0)
	v_fma_f64 v[8:9], v[8:9], v[28:29], v[30:31]
	v_add_f64 v[4:5], v[4:5], -v[8:9]
	v_div_scale_f64 v[8:9], s[22:23], v[6:7], v[6:7], v[4:5]
	s_cselect_b64 s[22:23], -1, 0
	v_rcp_f64_e32 v[28:29], v[8:9]
	v_fma_f64 v[30:31], -v[8:9], v[28:29], 1.0
	v_fma_f64 v[28:29], v[28:29], v[30:31], v[28:29]
	v_div_scale_f64 v[30:31], vcc, v[4:5], v[6:7], v[4:5]
	v_fma_f64 v[32:33], -v[8:9], v[28:29], 1.0
	v_fma_f64 v[28:29], v[28:29], v[32:33], v[28:29]
	v_mul_f64 v[32:33], v[30:31], v[28:29]
	v_fma_f64 v[8:9], -v[8:9], v[32:33], v[30:31]
	v_div_fmas_f64 v[8:9], v[8:9], v[28:29], v[32:33]
	v_div_fixup_f64 v[4:5], v[8:9], v[6:7], v[4:5]
	ds_write_b64 v17, v[4:5] offset:8
	s_waitcnt lgkmcnt(0)
	ds_read_b64 v[6:7], v24 offset:8
	ds_read_b64 v[8:9], v10
	s_waitcnt lgkmcnt(0)
	v_fma_f64 v[4:5], v[4:5], v[6:7], v[8:9]
	ds_write_b64 v10, v[4:5]
	s_waitcnt lgkmcnt(0)
	ds_read_b64 v[4:5], v18
	s_waitcnt lgkmcnt(0)
	global_store_dwordx2 v[2:3], v[4:5], off
	s_waitcnt vmcnt(0)
	buffer_wbinvl1_vol
	s_and_b64 vcc, exec, s[22:23]
	s_cbranch_vccnz .LBB22_54
.LBB22_12:                              ; =>This Loop Header: Depth=1
                                        ;     Child Loop BB22_15 Depth 2
                                        ;     Child Loop BB22_26 Depth 2
	;; [unrolled: 1-line block ×3, first 2 shown]
	s_ashr_i32 s21, s20, 31
	s_lshl_b64 s[22:23], s[20:21], 2
	s_add_u32 s22, s18, s22
	s_addc_u32 s23, s19, s23
	s_load_dword s21, s[22:23], 0x0
	s_waitcnt lgkmcnt(0)
	s_sub_i32 s24, s21, s13
	s_ashr_i32 s25, s24, 31
	s_lshl_b64 s[22:23], s[24:25], 2
	s_add_u32 s26, s8, s22
	s_addc_u32 s27, s9, s23
	s_load_dword s25, s[26:27], 0x0
	s_waitcnt lgkmcnt(0)
	s_cmp_eq_u32 s25, -1
	s_cbranch_scc1 .LBB22_39
; %bb.13:                               ;   in Loop: Header=BB22_12 Depth=1
	v_lshl_add_u32 v2, s20, 2, v25
	v_ashrrev_i32_e32 v3, 31, v2
	v_lshlrev_b64 v[2:3], 3, v[2:3]
	v_mov_b32_e32 v4, s3
	v_add_co_u32_e32 v2, vcc, s2, v2
	v_addc_co_u32_e32 v3, vcc, v4, v3, vcc
	global_load_dwordx2 v[4:5], v[2:3], off
	s_add_u32 s26, s16, s22
	s_addc_u32 s27, s17, s23
	s_load_dword s26, s[26:27], 0x0
	ds_read_b32 v6, v26 offset:256
	s_mov_b32 s27, 0
	s_waitcnt lgkmcnt(0)
	s_sub_i32 s26, s26, s13
	s_cmp_le_i32 s26, s25
	v_cmp_ge_i32_e32 vcc, s24, v6
	s_cselect_b64 s[28:29], -1, 0
	s_and_b64 s[28:29], s[28:29], vcc
	s_andn2_b64 vcc, exec, s[28:29]
	s_waitcnt vmcnt(0)
	ds_write_b64 v18, v[4:5]
	s_cbranch_vccnz .LBB22_25
; %bb.14:                               ;   in Loop: Header=BB22_12 Depth=1
	s_mov_b32 s34, 0
	s_mov_b32 s35, 0
.LBB22_15:                              ;   Parent Loop BB22_12 Depth=1
                                        ; =>  This Inner Loop Header: Depth=2
	s_ashr_i32 s27, s26, 31
	s_lshl_b64 s[28:29], s[26:27], 2
	s_add_u32 s28, s18, s28
	s_addc_u32 s29, s19, s29
	s_load_dword s27, s[28:29], 0x0
	s_lshl_b32 s28, s35, 2
	v_mov_b32_e32 v4, s28
	ds_read_b32 v4, v4 offset:256
	s_mov_b64 s[28:29], -1
	s_waitcnt lgkmcnt(0)
	s_sub_i32 s39, s27, s13
                                        ; implicit-def: $sgpr27
                                        ; implicit-def: $sgpr38
                                        ; implicit-def: $sgpr37
	v_cmp_ge_i32_e32 vcc, s39, v4
	v_readfirstlane_b32 s36, v4
	s_cbranch_vccz .LBB22_21
; %bb.16:                               ;   in Loop: Header=BB22_15 Depth=2
	s_cmp_le_i32 s39, s36
                                        ; implicit-def: $sgpr27
                                        ; implicit-def: $sgpr38
                                        ; implicit-def: $sgpr37
	s_cbranch_scc0 .LBB22_18
; %bb.17:                               ;   in Loop: Header=BB22_15 Depth=2
	s_add_i32 s27, s35, s31
	s_lshl_b32 s27, s27, 2
	s_lshl_b32 s28, s34, 2
	v_mov_b32_e32 v5, s27
	s_lshl_b32 s27, s26, 2
	v_mov_b32_e32 v4, s28
	v_mov_b32_e32 v6, s27
	ds_write2_b32 v4, v6, v5 offset1:32
	s_add_i32 s37, s35, 1
	s_add_i32 s38, s26, 1
	s_add_i32 s27, s34, 1
	s_mov_b64 s[28:29], 0
.LBB22_18:                              ;   in Loop: Header=BB22_15 Depth=2
	s_andn2_b64 vcc, exec, s[28:29]
	s_cbranch_vccnz .LBB22_20
; %bb.19:                               ;   in Loop: Header=BB22_15 Depth=2
	s_add_i32 s37, s35, 1
	s_mov_b32 s27, s34
	s_mov_b32 s38, s26
.LBB22_20:                              ;   in Loop: Header=BB22_15 Depth=2
	s_mov_b64 s[28:29], 0
.LBB22_21:                              ;   in Loop: Header=BB22_15 Depth=2
	s_andn2_b64 vcc, exec, s[28:29]
	s_cbranch_vccnz .LBB22_23
; %bb.22:                               ;   in Loop: Header=BB22_15 Depth=2
	s_add_i32 s38, s26, 1
	s_mov_b32 s37, s35
	s_mov_b32 s27, s34
.LBB22_23:                              ;   in Loop: Header=BB22_15 Depth=2
	s_cmp_le_i32 s38, s25
	s_cselect_b64 s[28:29], -1, 0
	s_cmp_le_i32 s36, s24
	s_cselect_b64 s[34:35], -1, 0
	s_and_b64 s[28:29], s[28:29], s[34:35]
	s_and_b64 vcc, exec, s[28:29]
	s_cbranch_vccz .LBB22_25
; %bb.24:                               ;   in Loop: Header=BB22_15 Depth=2
	s_mov_b32 s34, s27
	s_mov_b32 s26, s38
	;; [unrolled: 1-line block ×3, first 2 shown]
	s_branch .LBB22_15
.LBB22_25:                              ;   in Loop: Header=BB22_12 Depth=1
	s_add_u32 s22, s10, s22
	s_addc_u32 s23, s11, s23
	s_waitcnt lgkmcnt(0)
.LBB22_26:                              ;   Parent Loop BB22_12 Depth=1
                                        ; =>  This Inner Loop Header: Depth=2
	global_load_dword v4, v26, s[22:23] glc
	s_waitcnt vmcnt(0)
	v_cmp_eq_u32_e32 vcc, 0, v4
	s_cbranch_vccnz .LBB22_26
; %bb.27:                               ;   in Loop: Header=BB22_12 Depth=1
	v_lshl_add_u32 v4, s25, 2, v25
	v_ashrrev_i32_e32 v5, 31, v4
	v_lshlrev_b64 v[4:5], 3, v[4:5]
	v_mov_b32_e32 v6, s3
	v_add_co_u32_e32 v4, vcc, s2, v4
	v_addc_co_u32_e32 v5, vcc, v6, v5, vcc
	buffer_wbinvl1_vol
	global_load_dwordx2 v[6:7], v[4:5], off
	v_mov_b32_e32 v4, 0
	v_mov_b32_e32 v5, 0
	s_cmp_lt_i32 s27, 2
	s_waitcnt vmcnt(0)
	ds_write_b64 v19, v[6:7]
	s_waitcnt lgkmcnt(0)
	s_cbranch_scc1 .LBB22_47
; %bb.28:                               ;   in Loop: Header=BB22_12 Depth=1
	s_add_i32 s24, s27, -1
	s_cmp_eq_u32 s27, 2
	s_cbranch_scc1 .LBB22_40
; %bb.29:                               ;   in Loop: Header=BB22_12 Depth=1
	v_mov_b32_e32 v4, 0
	s_and_b32 s25, s24, -2
	s_mov_b32 s26, 0
	v_mov_b32_e32 v5, 0
	s_mov_b32 s27, 0
	s_branch .LBB22_31
.LBB22_30:                              ;   in Loop: Header=BB22_31 Depth=2
	s_add_i32 s27, s27, 2
	s_add_i32 s26, s26, 8
	s_cmp_eq_u32 s25, s27
	s_cbranch_scc1 .LBB22_41
.LBB22_31:                              ;   Parent Loop BB22_12 Depth=1
                                        ; =>  This Inner Loop Header: Depth=2
	v_mov_b32_e32 v6, s26
	s_waitcnt lgkmcnt(0)
	ds_read2_b32 v[8:9], v6 offset1:32
	s_mov_b64 s[22:23], -1
	s_and_b64 vcc, exec, s[4:5]
                                        ; implicit-def: $vgpr6_vgpr7
	s_cbranch_vccz .LBB22_33
; %bb.32:                               ;   in Loop: Header=BB22_31 Depth=2
	s_waitcnt lgkmcnt(0)
	v_add_u32_e32 v6, v8, v0
	v_ashrrev_i32_e32 v7, 31, v6
	v_lshlrev_b64 v[6:7], 3, v[6:7]
	v_mov_b32_e32 v28, s3
	v_add_co_u32_e32 v6, vcc, s2, v6
	v_addc_co_u32_e32 v7, vcc, v28, v7, vcc
	v_add_u32_e32 v28, v9, v1
	v_ashrrev_i32_e32 v29, 31, v28
	v_lshlrev_b64 v[28:29], 3, v[28:29]
	v_mov_b32_e32 v30, s3
	v_add_co_u32_e32 v28, vcc, s2, v28
	v_addc_co_u32_e32 v29, vcc, v30, v29, vcc
	global_load_dwordx2 v[30:31], v[6:7], off
	global_load_dwordx2 v[32:33], v[28:29], off
	v_add_u32_e32 v6, v20, v8
	v_ashrrev_i32_e32 v7, 31, v6
	v_lshlrev_b64 v[6:7], 3, v[6:7]
	v_mov_b32_e32 v28, s3
	v_add_co_u32_e32 v6, vcc, s2, v6
	v_addc_co_u32_e32 v7, vcc, v28, v7, vcc
	v_add_u32_e32 v28, v21, v9
	v_ashrrev_i32_e32 v29, 31, v28
	v_lshlrev_b64 v[28:29], 3, v[28:29]
	v_mov_b32_e32 v34, s3
	v_add_co_u32_e32 v28, vcc, s2, v28
	v_addc_co_u32_e32 v29, vcc, v34, v29, vcc
	global_load_dwordx2 v[34:35], v[6:7], off
	global_load_dwordx2 v[36:37], v[28:29], off
	s_mov_b64 s[22:23], 0
	s_waitcnt vmcnt(2)
	v_fma_f64 v[6:7], v[30:31], v[32:33], v[4:5]
	s_waitcnt vmcnt(0)
	v_fma_f64 v[6:7], v[34:35], v[36:37], v[6:7]
.LBB22_33:                              ;   in Loop: Header=BB22_31 Depth=2
	s_andn2_b64 vcc, exec, s[22:23]
	s_cbranch_vccnz .LBB22_35
; %bb.34:                               ;   in Loop: Header=BB22_31 Depth=2
	s_waitcnt lgkmcnt(0)
	v_add_u32_e32 v6, v8, v16
	v_ashrrev_i32_e32 v7, 31, v6
	v_lshlrev_b64 v[6:7], 3, v[6:7]
	v_mov_b32_e32 v8, s3
	v_add_co_u32_e32 v32, vcc, s2, v6
	v_add_u32_e32 v6, v9, v14
	v_addc_co_u32_e32 v33, vcc, v8, v7, vcc
	v_ashrrev_i32_e32 v7, 31, v6
	v_lshlrev_b64 v[6:7], 3, v[6:7]
	v_add_co_u32_e32 v34, vcc, s2, v6
	v_addc_co_u32_e32 v35, vcc, v8, v7, vcc
	global_load_dwordx4 v[6:9], v[32:33], off
	global_load_dwordx4 v[28:31], v[34:35], off
	s_waitcnt vmcnt(0)
	v_fma_f64 v[4:5], v[6:7], v[28:29], v[4:5]
	v_fma_f64 v[6:7], v[8:9], v[30:31], v[4:5]
.LBB22_35:                              ;   in Loop: Header=BB22_31 Depth=2
	v_mov_b32_e32 v4, s26
	s_waitcnt lgkmcnt(0)
	ds_read2_b32 v[8:9], v4 offset0:1 offset1:33
	s_andn2_b64 vcc, exec, s[4:5]
	s_mov_b64 s[22:23], -1
                                        ; implicit-def: $vgpr4_vgpr5
	s_cbranch_vccnz .LBB22_37
; %bb.36:                               ;   in Loop: Header=BB22_31 Depth=2
	s_waitcnt lgkmcnt(0)
	v_add_u32_e32 v4, v8, v0
	v_ashrrev_i32_e32 v5, 31, v4
	v_lshlrev_b64 v[4:5], 3, v[4:5]
	v_mov_b32_e32 v28, s3
	v_add_co_u32_e32 v4, vcc, s2, v4
	v_addc_co_u32_e32 v5, vcc, v28, v5, vcc
	v_add_u32_e32 v28, v9, v1
	v_ashrrev_i32_e32 v29, 31, v28
	v_lshlrev_b64 v[28:29], 3, v[28:29]
	v_mov_b32_e32 v30, s3
	v_add_co_u32_e32 v28, vcc, s2, v28
	v_addc_co_u32_e32 v29, vcc, v30, v29, vcc
	global_load_dwordx2 v[30:31], v[4:5], off
	global_load_dwordx2 v[32:33], v[28:29], off
	v_add_u32_e32 v4, v20, v8
	v_ashrrev_i32_e32 v5, 31, v4
	v_lshlrev_b64 v[4:5], 3, v[4:5]
	v_mov_b32_e32 v28, s3
	v_add_co_u32_e32 v4, vcc, s2, v4
	v_addc_co_u32_e32 v5, vcc, v28, v5, vcc
	v_add_u32_e32 v28, v21, v9
	v_ashrrev_i32_e32 v29, 31, v28
	v_lshlrev_b64 v[28:29], 3, v[28:29]
	v_mov_b32_e32 v34, s3
	v_add_co_u32_e32 v28, vcc, s2, v28
	v_addc_co_u32_e32 v29, vcc, v34, v29, vcc
	global_load_dwordx2 v[34:35], v[4:5], off
	global_load_dwordx2 v[36:37], v[28:29], off
	s_mov_b64 s[22:23], 0
	s_waitcnt vmcnt(2)
	v_fma_f64 v[4:5], v[30:31], v[32:33], v[6:7]
	s_waitcnt vmcnt(0)
	v_fma_f64 v[4:5], v[34:35], v[36:37], v[4:5]
.LBB22_37:                              ;   in Loop: Header=BB22_31 Depth=2
	s_andn2_b64 vcc, exec, s[22:23]
	s_cbranch_vccnz .LBB22_30
; %bb.38:                               ;   in Loop: Header=BB22_31 Depth=2
	s_waitcnt lgkmcnt(0)
	v_add_u32_e32 v4, v8, v16
	v_ashrrev_i32_e32 v5, 31, v4
	v_lshlrev_b64 v[4:5], 3, v[4:5]
	v_mov_b32_e32 v8, s3
	v_add_co_u32_e32 v4, vcc, s2, v4
	v_addc_co_u32_e32 v5, vcc, v8, v5, vcc
	v_add_u32_e32 v8, v9, v14
	v_ashrrev_i32_e32 v9, 31, v8
	v_lshlrev_b64 v[8:9], 3, v[8:9]
	v_mov_b32_e32 v28, s3
	v_add_co_u32_e32 v8, vcc, s2, v8
	v_addc_co_u32_e32 v9, vcc, v28, v9, vcc
	global_load_dwordx4 v[28:31], v[4:5], off
	global_load_dwordx4 v[32:35], v[8:9], off
	s_waitcnt vmcnt(0)
	v_fma_f64 v[4:5], v[28:29], v[32:33], v[6:7]
	v_fma_f64 v[4:5], v[30:31], v[34:35], v[4:5]
	s_branch .LBB22_30
.LBB22_39:                              ;   in Loop: Header=BB22_12 Depth=1
                                        ; implicit-def: $sgpr20
	s_cbranch_execz .LBB22_12
	s_branch .LBB22_54
.LBB22_40:                              ;   in Loop: Header=BB22_12 Depth=1
	v_mov_b32_e32 v4, 0
	v_mov_b32_e32 v5, 0
	s_mov_b32 s25, 0
.LBB22_41:                              ;   in Loop: Header=BB22_12 Depth=1
	s_bitcmp0_b32 s24, 0
	s_cbranch_scc1 .LBB22_47
; %bb.42:                               ;   in Loop: Header=BB22_12 Depth=1
	s_lshl_b32 s22, s25, 2
	v_mov_b32_e32 v6, s22
	ds_read2_b32 v[6:7], v6 offset1:32
	s_andn2_b64 vcc, exec, s[4:5]
	s_mov_b64 s[22:23], -1
                                        ; implicit-def: $vgpr8_vgpr9
	s_cbranch_vccnz .LBB22_44
; %bb.43:                               ;   in Loop: Header=BB22_12 Depth=1
	s_waitcnt lgkmcnt(0)
	v_add_u32_e32 v8, v6, v0
	v_ashrrev_i32_e32 v9, 31, v8
	v_lshlrev_b64 v[8:9], 3, v[8:9]
	v_mov_b32_e32 v28, s3
	v_add_co_u32_e32 v8, vcc, s2, v8
	v_addc_co_u32_e32 v9, vcc, v28, v9, vcc
	v_add_u32_e32 v28, v7, v1
	v_ashrrev_i32_e32 v29, 31, v28
	v_lshlrev_b64 v[28:29], 3, v[28:29]
	v_mov_b32_e32 v30, s3
	v_add_co_u32_e32 v28, vcc, s2, v28
	v_addc_co_u32_e32 v29, vcc, v30, v29, vcc
	global_load_dwordx2 v[30:31], v[8:9], off
	global_load_dwordx2 v[32:33], v[28:29], off
	v_add_u32_e32 v8, v20, v6
	v_ashrrev_i32_e32 v9, 31, v8
	v_lshlrev_b64 v[8:9], 3, v[8:9]
	v_mov_b32_e32 v28, s3
	v_add_co_u32_e32 v8, vcc, s2, v8
	v_addc_co_u32_e32 v9, vcc, v28, v9, vcc
	v_add_u32_e32 v28, v21, v7
	v_ashrrev_i32_e32 v29, 31, v28
	v_lshlrev_b64 v[28:29], 3, v[28:29]
	v_mov_b32_e32 v34, s3
	v_add_co_u32_e32 v28, vcc, s2, v28
	v_addc_co_u32_e32 v29, vcc, v34, v29, vcc
	global_load_dwordx2 v[34:35], v[8:9], off
	global_load_dwordx2 v[36:37], v[28:29], off
	s_mov_b64 s[22:23], 0
	s_waitcnt vmcnt(2)
	v_fma_f64 v[8:9], v[30:31], v[32:33], v[4:5]
	s_waitcnt vmcnt(0)
	v_fma_f64 v[8:9], v[34:35], v[36:37], v[8:9]
.LBB22_44:                              ;   in Loop: Header=BB22_12 Depth=1
	s_andn2_b64 vcc, exec, s[22:23]
	s_cbranch_vccnz .LBB22_46
; %bb.45:                               ;   in Loop: Header=BB22_12 Depth=1
	s_waitcnt lgkmcnt(0)
	v_add_u32_e32 v8, v6, v16
	v_ashrrev_i32_e32 v9, 31, v8
	v_lshlrev_b64 v[8:9], 3, v[8:9]
	v_mov_b32_e32 v6, s3
	v_add_co_u32_e32 v32, vcc, s2, v8
	v_addc_co_u32_e32 v33, vcc, v6, v9, vcc
	v_add_u32_e32 v6, v7, v14
	v_ashrrev_i32_e32 v7, 31, v6
	v_lshlrev_b64 v[6:7], 3, v[6:7]
	v_mov_b32_e32 v8, s3
	v_add_co_u32_e32 v34, vcc, s2, v6
	v_addc_co_u32_e32 v35, vcc, v8, v7, vcc
	global_load_dwordx4 v[6:9], v[32:33], off
	global_load_dwordx4 v[28:31], v[34:35], off
	s_waitcnt vmcnt(0)
	v_fma_f64 v[4:5], v[6:7], v[28:29], v[4:5]
	v_fma_f64 v[8:9], v[8:9], v[30:31], v[4:5]
.LBB22_46:                              ;   in Loop: Header=BB22_12 Depth=1
	s_waitcnt lgkmcnt(1)
	v_mov_b32_e32 v4, v8
	v_mov_b32_e32 v5, v9
.LBB22_47:                              ;   in Loop: Header=BB22_12 Depth=1
	ds_write_b64 v23, v[4:5]
	s_waitcnt lgkmcnt(0)
	ds_read_b64 v[6:7], v26 offset:384
	ds_read_b64 v[4:5], v17
	s_waitcnt lgkmcnt(1)
	v_cmp_neq_f64_e32 vcc, 0, v[6:7]
	v_cndmask_b32_e32 v7, v27, v7, vcc
	s_nor_b64 s[24:25], vcc, s[0:1]
	v_cndmask_b32_e32 v6, 0, v6, vcc
	s_and_saveexec_b64 s[22:23], s[24:25]
	s_cbranch_execz .LBB22_51
; %bb.48:                               ;   in Loop: Header=BB22_12 Depth=1
	v_mbcnt_lo_u32_b32 v6, exec_lo, 0
	v_mbcnt_hi_u32_b32 v6, exec_hi, v6
	v_cmp_eq_u32_e32 vcc, 0, v6
	s_and_saveexec_b64 s[24:25], vcc
	s_cbranch_execz .LBB22_50
; %bb.49:                               ;   in Loop: Header=BB22_12 Depth=1
	v_mov_b32_e32 v6, s21
	global_atomic_smin v26, v6, s[14:15]
.LBB22_50:                              ;   in Loop: Header=BB22_12 Depth=1
	s_or_b64 exec, exec, s[24:25]
	v_mov_b32_e32 v6, 0
	v_mov_b32_e32 v7, 0x3ff00000
.LBB22_51:                              ;   in Loop: Header=BB22_12 Depth=1
	s_or_b64 exec, exec, s[22:23]
	ds_read_b64 v[8:9], v22
	s_waitcnt lgkmcnt(0)
	v_add_f64 v[4:5], v[4:5], -v[8:9]
	v_div_scale_f64 v[8:9], s[22:23], v[6:7], v[6:7], v[4:5]
	v_rcp_f64_e32 v[28:29], v[8:9]
	v_fma_f64 v[30:31], -v[8:9], v[28:29], 1.0
	v_fma_f64 v[28:29], v[28:29], v[30:31], v[28:29]
	v_div_scale_f64 v[30:31], vcc, v[4:5], v[6:7], v[4:5]
	v_fma_f64 v[32:33], -v[8:9], v[28:29], 1.0
	v_fma_f64 v[28:29], v[28:29], v[32:33], v[28:29]
	v_mul_f64 v[32:33], v[30:31], v[28:29]
	v_fma_f64 v[8:9], -v[8:9], v[32:33], v[30:31]
	v_div_fmas_f64 v[8:9], v[8:9], v[28:29], v[32:33]
	v_div_fixup_f64 v[4:5], v[8:9], v[6:7], v[4:5]
	ds_write_b64 v17, v[4:5]
	s_waitcnt lgkmcnt(0)
	ds_read_b64 v[6:7], v24
	ds_read_b64 v[8:9], v10
	s_waitcnt lgkmcnt(0)
	v_fma_f64 v[4:5], v[4:5], v[6:7], v[8:9]
	ds_write_b64 v10, v[4:5]
	s_waitcnt lgkmcnt(0)
	ds_read_b64 v[6:7], v26 offset:416
	ds_read_b64 v[4:5], v17 offset:8
	s_waitcnt lgkmcnt(1)
	v_cmp_neq_f64_e32 vcc, 0, v[6:7]
	v_cndmask_b32_e32 v7, v27, v7, vcc
	s_nor_b64 s[24:25], vcc, s[0:1]
	v_cndmask_b32_e32 v6, 0, v6, vcc
	s_and_saveexec_b64 s[22:23], s[24:25]
	s_cbranch_execz .LBB22_11
; %bb.52:                               ;   in Loop: Header=BB22_12 Depth=1
	v_mbcnt_lo_u32_b32 v6, exec_lo, 0
	v_mbcnt_hi_u32_b32 v6, exec_hi, v6
	v_cmp_eq_u32_e32 vcc, 0, v6
	s_and_saveexec_b64 s[24:25], vcc
	s_cbranch_execz .LBB22_10
; %bb.53:                               ;   in Loop: Header=BB22_12 Depth=1
	v_mov_b32_e32 v6, s21
	global_atomic_smin v26, v6, s[14:15]
	s_branch .LBB22_10
.LBB22_54:
	s_waitcnt lgkmcnt(0)
	s_cmp_eq_u32 s33, 0
	s_cselect_b64 vcc, -1, 0
	v_cndmask_b32_e32 v2, v15, v13, vcc
	v_lshl_add_u32 v2, s30, 2, v2
	v_ashrrev_i32_e32 v3, 31, v2
	v_lshlrev_b64 v[2:3], 3, v[2:3]
	v_mov_b32_e32 v4, s3
	v_add_co_u32_e32 v2, vcc, s2, v2
	v_addc_co_u32_e32 v3, vcc, v4, v3, vcc
	global_load_dwordx2 v[4:5], v[2:3], off
	v_mov_b32_e32 v6, 0x1e0
	v_mad_u32_u24 v7, v1, 24, v6
	v_cmp_ne_u32_e32 vcc, 0, v1
	v_lshl_add_u32 v6, v0, 3, v7
	v_cmp_eq_u32_e64 s[0:1], 0, v1
	s_waitcnt vmcnt(0)
	ds_write_b64 v6, v[4:5]
	s_waitcnt lgkmcnt(0)
	s_and_saveexec_b64 s[2:3], s[0:1]
	s_cbranch_execz .LBB22_56
; %bb.55:
	v_mov_b32_e32 v17, 0
	ds_read2_b64 v[13:16], v17 offset0:60 offset1:66
	s_mov_b32 s4, 0
	s_brev_b32 s5, 8
	s_waitcnt lgkmcnt(0)
	v_add_f64 v[4:5], v[13:14], -v[15:16]
	v_cmp_gt_f64_e64 s[0:1], 0, v[4:5]
	v_xor_b32_e32 v8, 0x80000000, v5
	v_cndmask_b32_e64 v5, v5, v8, s[0:1]
	v_cmp_gt_f64_e64 s[0:1], s[4:5], v[4:5]
	s_and_b64 s[0:1], s[0:1], exec
	s_cselect_b32 s0, 0x100, 0
	v_ldexp_f64 v[4:5], v[4:5], s0
	s_cselect_b32 s0, 0xffffff80, 0
	v_rsq_f64_e32 v[8:9], v[4:5]
	v_mul_f64 v[13:14], v[4:5], v[8:9]
	v_mul_f64 v[8:9], v[8:9], 0.5
	v_fma_f64 v[15:16], -v[8:9], v[13:14], 0.5
	v_fma_f64 v[13:14], v[13:14], v[15:16], v[13:14]
	v_fma_f64 v[8:9], v[8:9], v[15:16], v[8:9]
	v_fma_f64 v[15:16], -v[13:14], v[13:14], v[4:5]
	v_fma_f64 v[13:14], v[15:16], v[8:9], v[13:14]
	v_fma_f64 v[15:16], -v[13:14], v[13:14], v[4:5]
	v_fma_f64 v[8:9], v[15:16], v[8:9], v[13:14]
	v_mov_b32_e32 v13, 0x260
	v_ldexp_f64 v[8:9], v[8:9], s0
	v_cmp_class_f64_e64 s[0:1], v[4:5], v13
	v_cndmask_b32_e64 v5, v9, v5, s[0:1]
	v_cndmask_b32_e64 v4, v8, v4, s[0:1]
	ds_write_b64 v17, v[4:5] offset:480
.LBB22_56:
	s_or_b64 exec, exec, s[2:3]
	v_mov_b32_e32 v4, 0
	s_waitcnt lgkmcnt(0)
	ds_read_b64 v[4:5], v4 offset:480
	v_mov_b32_e32 v8, 0x3ff00000
	v_cmp_ne_u32_e64 s[0:1], 0, v12
	s_add_i32 s16, s12, s13
	s_waitcnt lgkmcnt(0)
	v_cmp_neq_f64_e64 s[2:3], 0, v[4:5]
	v_cndmask_b32_e64 v5, v8, v5, s[2:3]
	s_nor_b64 s[8:9], s[2:3], s[0:1]
	v_cndmask_b32_e64 v4, 0, v4, s[2:3]
	s_and_saveexec_b64 s[4:5], s[8:9]
	s_cbranch_execz .LBB22_60
; %bb.57:
	v_mbcnt_lo_u32_b32 v4, exec_lo, 0
	v_mbcnt_hi_u32_b32 v4, exec_hi, v4
	v_cmp_eq_u32_e64 s[2:3], 0, v4
	s_and_saveexec_b64 s[8:9], s[2:3]
	s_cbranch_execz .LBB22_59
; %bb.58:
	v_mov_b32_e32 v4, 0
	v_mov_b32_e32 v5, s16
	global_atomic_smin v4, v5, s[14:15]
.LBB22_59:
	s_or_b64 exec, exec, s[8:9]
	v_mov_b32_e32 v4, 0
	v_mov_b32_e32 v5, 0x3ff00000
.LBB22_60:
	s_or_b64 exec, exec, s[4:5]
	v_mov_b32_e32 v8, 0x1e0
	v_mad_u32_u24 v8, v0, 24, v8
	s_and_saveexec_b64 s[2:3], vcc
	s_cbranch_execz .LBB22_62
; %bb.61:
	ds_read_b64 v[13:14], v7
	ds_read_b64 v[15:16], v11
	s_waitcnt lgkmcnt(0)
	v_add_f64 v[13:14], v[13:14], -v[15:16]
	v_div_scale_f64 v[15:16], s[4:5], v[4:5], v[4:5], v[13:14]
	v_rcp_f64_e32 v[17:18], v[15:16]
	v_fma_f64 v[19:20], -v[15:16], v[17:18], 1.0
	v_fma_f64 v[17:18], v[17:18], v[19:20], v[17:18]
	v_div_scale_f64 v[19:20], vcc, v[13:14], v[4:5], v[13:14]
	v_fma_f64 v[21:22], -v[15:16], v[17:18], 1.0
	v_fma_f64 v[17:18], v[17:18], v[21:22], v[17:18]
	v_mul_f64 v[21:22], v[19:20], v[17:18]
	v_fma_f64 v[15:16], -v[15:16], v[21:22], v[19:20]
	v_div_fmas_f64 v[15:16], v[15:16], v[17:18], v[21:22]
	v_div_fixup_f64 v[4:5], v[15:16], v[4:5], v[13:14]
	ds_write_b64 v7, v[4:5]
	s_waitcnt lgkmcnt(0)
	ds_read_b64 v[13:14], v8
	ds_read_b64 v[15:16], v10
	s_waitcnt lgkmcnt(0)
	v_fma_f64 v[4:5], v[4:5], v[13:14], v[15:16]
	ds_write_b64 v10, v[4:5]
.LBB22_62:
	s_or_b64 exec, exec, s[2:3]
	v_cmp_eq_u32_e32 vcc, 1, v1
	s_waitcnt lgkmcnt(0)
	s_and_saveexec_b64 s[2:3], vcc
	s_cbranch_execz .LBB22_64
; %bb.63:
	v_mov_b32_e32 v9, 0
	ds_read2_b64 v[13:16], v9 offset0:64 offset1:70
	s_mov_b32 s4, 0
	s_brev_b32 s5, 8
	s_waitcnt lgkmcnt(0)
	v_add_f64 v[4:5], v[13:14], -v[15:16]
	v_cmp_gt_f64_e32 vcc, 0, v[4:5]
	v_xor_b32_e32 v13, 0x80000000, v5
	v_cndmask_b32_e32 v5, v5, v13, vcc
	v_cmp_gt_f64_e32 vcc, s[4:5], v[4:5]
	s_and_b64 s[4:5], vcc, exec
	s_cselect_b32 s4, 0x100, 0
	v_ldexp_f64 v[4:5], v[4:5], s4
	s_cselect_b32 s4, 0xffffff80, 0
	v_rsq_f64_e32 v[13:14], v[4:5]
	v_mul_f64 v[15:16], v[4:5], v[13:14]
	v_mul_f64 v[13:14], v[13:14], 0.5
	v_fma_f64 v[17:18], -v[13:14], v[15:16], 0.5
	v_fma_f64 v[15:16], v[15:16], v[17:18], v[15:16]
	v_fma_f64 v[13:14], v[13:14], v[17:18], v[13:14]
	v_fma_f64 v[17:18], -v[15:16], v[15:16], v[4:5]
	v_fma_f64 v[15:16], v[17:18], v[13:14], v[15:16]
	v_fma_f64 v[17:18], -v[15:16], v[15:16], v[4:5]
	v_fma_f64 v[13:14], v[17:18], v[13:14], v[15:16]
	v_mov_b32_e32 v15, 0x260
	v_cmp_class_f64_e32 vcc, v[4:5], v15
	v_ldexp_f64 v[13:14], v[13:14], s4
	v_cndmask_b32_e32 v5, v14, v5, vcc
	v_cndmask_b32_e32 v4, v13, v4, vcc
	ds_write_b64 v9, v[4:5] offset:512
.LBB22_64:
	s_or_b64 exec, exec, s[2:3]
	v_mov_b32_e32 v4, 0
	s_waitcnt lgkmcnt(0)
	ds_read_b64 v[4:5], v4 offset:512
	v_mov_b32_e32 v9, 0x3ff00000
	s_waitcnt lgkmcnt(0)
	v_cmp_neq_f64_e32 vcc, 0, v[4:5]
	v_cndmask_b32_e32 v5, v9, v5, vcc
	s_nor_b64 s[2:3], vcc, s[0:1]
	v_cndmask_b32_e32 v4, 0, v4, vcc
	s_and_saveexec_b64 s[0:1], s[2:3]
	s_cbranch_execz .LBB22_68
; %bb.65:
	v_mbcnt_lo_u32_b32 v4, exec_lo, 0
	v_mbcnt_hi_u32_b32 v4, exec_hi, v4
	v_cmp_eq_u32_e32 vcc, 0, v4
	s_and_saveexec_b64 s[2:3], vcc
	s_cbranch_execz .LBB22_67
; %bb.66:
	v_mov_b32_e32 v4, 0
	v_mov_b32_e32 v5, s16
	global_atomic_smin v4, v5, s[14:15]
.LBB22_67:
	s_or_b64 exec, exec, s[2:3]
	v_mov_b32_e32 v4, 0
	v_mov_b32_e32 v5, 0x3ff00000
.LBB22_68:
	s_or_b64 exec, exec, s[0:1]
	v_cmp_lt_u32_e32 vcc, 1, v1
	s_and_saveexec_b64 s[0:1], vcc
	s_cbranch_execz .LBB22_70
; %bb.69:
	ds_read_b64 v[13:14], v7 offset:8
	ds_read_b64 v[15:16], v11 offset:8
	s_waitcnt lgkmcnt(0)
	v_add_f64 v[13:14], v[13:14], -v[15:16]
	v_div_scale_f64 v[15:16], s[2:3], v[4:5], v[4:5], v[13:14]
	v_rcp_f64_e32 v[17:18], v[15:16]
	v_fma_f64 v[19:20], -v[15:16], v[17:18], 1.0
	v_fma_f64 v[17:18], v[17:18], v[19:20], v[17:18]
	v_div_scale_f64 v[19:20], vcc, v[13:14], v[4:5], v[13:14]
	v_fma_f64 v[21:22], -v[15:16], v[17:18], 1.0
	v_fma_f64 v[17:18], v[17:18], v[21:22], v[17:18]
	v_mul_f64 v[21:22], v[19:20], v[17:18]
	v_fma_f64 v[15:16], -v[15:16], v[21:22], v[19:20]
	v_div_fmas_f64 v[15:16], v[15:16], v[17:18], v[21:22]
	v_div_fixup_f64 v[4:5], v[15:16], v[4:5], v[13:14]
	ds_write_b64 v7, v[4:5] offset:8
	s_waitcnt lgkmcnt(0)
	ds_read_b64 v[7:8], v8 offset:8
	ds_read_b64 v[13:14], v10
	s_waitcnt lgkmcnt(0)
	v_fma_f64 v[4:5], v[4:5], v[7:8], v[13:14]
	ds_write_b64 v10, v[4:5]
.LBB22_70:
	s_or_b64 exec, exec, s[0:1]
	s_waitcnt lgkmcnt(0)
	ds_read_b64 v[4:5], v6
	v_cmp_eq_u32_e32 vcc, 0, v12
	s_waitcnt lgkmcnt(0)
	global_store_dwordx2 v[2:3], v[4:5], off
	s_and_saveexec_b64 s[0:1], vcc
	s_cbranch_execz .LBB22_72
; %bb.71:
	s_add_u32 s2, s10, s6
	s_addc_u32 s3, s11, s7
	v_mov_b32_e32 v2, 0
	v_mov_b32_e32 v3, 1
	s_waitcnt vmcnt(0)
	global_store_dword v2, v3, s[2:3]
.LBB22_72:
	s_or_b64 exec, exec, s[0:1]
	s_branch .LBB22_7
.LBB22_73:
	v_or_b32_e32 v0, v0, v1
	v_cmp_eq_u32_e32 vcc, 0, v0
	s_and_saveexec_b64 s[0:1], vcc
	s_cbranch_execz .LBB22_7
; %bb.74:
	v_mbcnt_lo_u32_b32 v0, exec_lo, 0
	v_mbcnt_hi_u32_b32 v0, exec_hi, v0
	v_cmp_eq_u32_e32 vcc, 0, v0
	s_and_saveexec_b64 s[0:1], vcc
	s_cbranch_execz .LBB22_76
; %bb.75:
	s_add_i32 s2, s12, s13
	v_mov_b32_e32 v0, 0
	v_mov_b32_e32 v1, s2
	global_atomic_smin v0, v1, s[14:15]
.LBB22_76:
	s_or_b64 exec, exec, s[0:1]
	s_add_u32 s0, s10, s6
	s_addc_u32 s1, s11, s7
	v_mov_b32_e32 v0, 0
	v_mov_b32_e32 v1, 1
	s_waitcnt vmcnt(0)
	global_store_dword v0, v1, s[0:1]
	s_endpgm
	.section	.rodata,"a",@progbits
	.p2align	6, 0x0
	.amdhsa_kernel _ZN9rocsparseL26bsric0_2_8_unrolled_kernelILi4ELi32ELi2EdEEv20rocsparse_direction_iiPKiS3_PT2_S3_PiS3_S6_21rocsparse_index_base_
		.amdhsa_group_segment_fixed_size 576
		.amdhsa_private_segment_fixed_size 0
		.amdhsa_kernarg_size 76
		.amdhsa_user_sgpr_count 6
		.amdhsa_user_sgpr_private_segment_buffer 1
		.amdhsa_user_sgpr_dispatch_ptr 0
		.amdhsa_user_sgpr_queue_ptr 0
		.amdhsa_user_sgpr_kernarg_segment_ptr 1
		.amdhsa_user_sgpr_dispatch_id 0
		.amdhsa_user_sgpr_flat_scratch_init 0
		.amdhsa_user_sgpr_private_segment_size 0
		.amdhsa_uses_dynamic_stack 0
		.amdhsa_system_sgpr_private_segment_wavefront_offset 0
		.amdhsa_system_sgpr_workgroup_id_x 1
		.amdhsa_system_sgpr_workgroup_id_y 0
		.amdhsa_system_sgpr_workgroup_id_z 0
		.amdhsa_system_sgpr_workgroup_info 0
		.amdhsa_system_vgpr_workitem_id 1
		.amdhsa_next_free_vgpr 38
		.amdhsa_next_free_sgpr 40
		.amdhsa_reserve_vcc 1
		.amdhsa_reserve_flat_scratch 0
		.amdhsa_float_round_mode_32 0
		.amdhsa_float_round_mode_16_64 0
		.amdhsa_float_denorm_mode_32 3
		.amdhsa_float_denorm_mode_16_64 3
		.amdhsa_dx10_clamp 1
		.amdhsa_ieee_mode 1
		.amdhsa_fp16_overflow 0
		.amdhsa_exception_fp_ieee_invalid_op 0
		.amdhsa_exception_fp_denorm_src 0
		.amdhsa_exception_fp_ieee_div_zero 0
		.amdhsa_exception_fp_ieee_overflow 0
		.amdhsa_exception_fp_ieee_underflow 0
		.amdhsa_exception_fp_ieee_inexact 0
		.amdhsa_exception_int_div_zero 0
	.end_amdhsa_kernel
	.section	.text._ZN9rocsparseL26bsric0_2_8_unrolled_kernelILi4ELi32ELi2EdEEv20rocsparse_direction_iiPKiS3_PT2_S3_PiS3_S6_21rocsparse_index_base_,"axG",@progbits,_ZN9rocsparseL26bsric0_2_8_unrolled_kernelILi4ELi32ELi2EdEEv20rocsparse_direction_iiPKiS3_PT2_S3_PiS3_S6_21rocsparse_index_base_,comdat
.Lfunc_end22:
	.size	_ZN9rocsparseL26bsric0_2_8_unrolled_kernelILi4ELi32ELi2EdEEv20rocsparse_direction_iiPKiS3_PT2_S3_PiS3_S6_21rocsparse_index_base_, .Lfunc_end22-_ZN9rocsparseL26bsric0_2_8_unrolled_kernelILi4ELi32ELi2EdEEv20rocsparse_direction_iiPKiS3_PT2_S3_PiS3_S6_21rocsparse_index_base_
                                        ; -- End function
	.set _ZN9rocsparseL26bsric0_2_8_unrolled_kernelILi4ELi32ELi2EdEEv20rocsparse_direction_iiPKiS3_PT2_S3_PiS3_S6_21rocsparse_index_base_.num_vgpr, 38
	.set _ZN9rocsparseL26bsric0_2_8_unrolled_kernelILi4ELi32ELi2EdEEv20rocsparse_direction_iiPKiS3_PT2_S3_PiS3_S6_21rocsparse_index_base_.num_agpr, 0
	.set _ZN9rocsparseL26bsric0_2_8_unrolled_kernelILi4ELi32ELi2EdEEv20rocsparse_direction_iiPKiS3_PT2_S3_PiS3_S6_21rocsparse_index_base_.numbered_sgpr, 40
	.set _ZN9rocsparseL26bsric0_2_8_unrolled_kernelILi4ELi32ELi2EdEEv20rocsparse_direction_iiPKiS3_PT2_S3_PiS3_S6_21rocsparse_index_base_.num_named_barrier, 0
	.set _ZN9rocsparseL26bsric0_2_8_unrolled_kernelILi4ELi32ELi2EdEEv20rocsparse_direction_iiPKiS3_PT2_S3_PiS3_S6_21rocsparse_index_base_.private_seg_size, 0
	.set _ZN9rocsparseL26bsric0_2_8_unrolled_kernelILi4ELi32ELi2EdEEv20rocsparse_direction_iiPKiS3_PT2_S3_PiS3_S6_21rocsparse_index_base_.uses_vcc, 1
	.set _ZN9rocsparseL26bsric0_2_8_unrolled_kernelILi4ELi32ELi2EdEEv20rocsparse_direction_iiPKiS3_PT2_S3_PiS3_S6_21rocsparse_index_base_.uses_flat_scratch, 0
	.set _ZN9rocsparseL26bsric0_2_8_unrolled_kernelILi4ELi32ELi2EdEEv20rocsparse_direction_iiPKiS3_PT2_S3_PiS3_S6_21rocsparse_index_base_.has_dyn_sized_stack, 0
	.set _ZN9rocsparseL26bsric0_2_8_unrolled_kernelILi4ELi32ELi2EdEEv20rocsparse_direction_iiPKiS3_PT2_S3_PiS3_S6_21rocsparse_index_base_.has_recursion, 0
	.set _ZN9rocsparseL26bsric0_2_8_unrolled_kernelILi4ELi32ELi2EdEEv20rocsparse_direction_iiPKiS3_PT2_S3_PiS3_S6_21rocsparse_index_base_.has_indirect_call, 0
	.section	.AMDGPU.csdata,"",@progbits
; Kernel info:
; codeLenInByte = 3980
; TotalNumSgprs: 44
; NumVgprs: 38
; ScratchSize: 0
; MemoryBound: 1
; FloatMode: 240
; IeeeMode: 1
; LDSByteSize: 576 bytes/workgroup (compile time only)
; SGPRBlocks: 5
; VGPRBlocks: 9
; NumSGPRsForWavesPerEU: 44
; NumVGPRsForWavesPerEU: 38
; Occupancy: 6
; WaveLimiterHint : 1
; COMPUTE_PGM_RSRC2:SCRATCH_EN: 0
; COMPUTE_PGM_RSRC2:USER_SGPR: 6
; COMPUTE_PGM_RSRC2:TRAP_HANDLER: 0
; COMPUTE_PGM_RSRC2:TGID_X_EN: 1
; COMPUTE_PGM_RSRC2:TGID_Y_EN: 0
; COMPUTE_PGM_RSRC2:TGID_Z_EN: 0
; COMPUTE_PGM_RSRC2:TIDIG_COMP_CNT: 1
	.section	.text._ZN9rocsparseL26bsric0_2_8_unrolled_kernelILi9ELi32ELi3EdEEv20rocsparse_direction_iiPKiS3_PT2_S3_PiS3_S6_21rocsparse_index_base_,"axG",@progbits,_ZN9rocsparseL26bsric0_2_8_unrolled_kernelILi9ELi32ELi3EdEEv20rocsparse_direction_iiPKiS3_PT2_S3_PiS3_S6_21rocsparse_index_base_,comdat
	.globl	_ZN9rocsparseL26bsric0_2_8_unrolled_kernelILi9ELi32ELi3EdEEv20rocsparse_direction_iiPKiS3_PT2_S3_PiS3_S6_21rocsparse_index_base_ ; -- Begin function _ZN9rocsparseL26bsric0_2_8_unrolled_kernelILi9ELi32ELi3EdEEv20rocsparse_direction_iiPKiS3_PT2_S3_PiS3_S6_21rocsparse_index_base_
	.p2align	8
	.type	_ZN9rocsparseL26bsric0_2_8_unrolled_kernelILi9ELi32ELi3EdEEv20rocsparse_direction_iiPKiS3_PT2_S3_PiS3_S6_21rocsparse_index_base_,@function
_ZN9rocsparseL26bsric0_2_8_unrolled_kernelILi9ELi32ELi3EdEEv20rocsparse_direction_iiPKiS3_PT2_S3_PiS3_S6_21rocsparse_index_base_: ; @_ZN9rocsparseL26bsric0_2_8_unrolled_kernelILi9ELi32ELi3EdEEv20rocsparse_direction_iiPKiS3_PT2_S3_PiS3_S6_21rocsparse_index_base_
; %bb.0:
	s_load_dwordx8 s[8:15], s[4:5], 0x28
	s_mov_b32 s7, 0
	s_lshl_b64 s[0:1], s[6:7], 2
	s_waitcnt lgkmcnt(0)
	s_add_u32 s0, s12, s0
	s_addc_u32 s1, s13, s1
	s_load_dword s12, s[0:1], 0x0
	s_waitcnt lgkmcnt(0)
	s_ashr_i32 s13, s12, 31
	s_lshl_b64 s[6:7], s[12:13], 2
	s_add_u32 s0, s8, s6
	s_addc_u32 s1, s9, s7
	s_load_dword s30, s[0:1], 0x0
	s_load_dword s13, s[4:5], 0x48
	s_waitcnt lgkmcnt(0)
	s_cmp_lg_u32 s30, -1
	s_cbranch_scc0 .LBB23_86
; %bb.1:
	s_load_dwordx4 s[16:19], s[4:5], 0x10
	s_load_dwordx2 s[20:21], s[4:5], 0x20
	v_mad_u32_u24 v12, v1, 3, v0
	s_waitcnt lgkmcnt(0)
	s_add_u32 s0, s16, s6
	s_addc_u32 s1, s17, s7
	s_load_dword s0, s[0:1], 0x0
	s_waitcnt lgkmcnt(0)
	s_sub_i32 s31, s0, s13
	v_add_u32_e32 v2, s31, v12
	v_cmp_ge_i32_e32 vcc, s30, v2
	s_and_saveexec_b64 s[0:1], vcc
	s_cbranch_execz .LBB23_4
; %bb.2:
	v_mov_b32_e32 v3, 0x100
	v_lshl_add_u32 v5, v12, 2, v3
	v_ashrrev_i32_e32 v3, 31, v2
	v_lshlrev_b64 v[3:4], 2, v[2:3]
	v_mov_b32_e32 v6, s19
	v_add_co_u32_e32 v3, vcc, s18, v3
	v_addc_co_u32_e32 v4, vcc, v6, v4, vcc
	s_mov_b64 s[2:3], 0
.LBB23_3:                               ; =>This Inner Loop Header: Depth=1
	global_load_dword v6, v[3:4], off
	v_add_co_u32_e32 v3, vcc, 36, v3
	v_add_u32_e32 v2, 9, v2
	v_addc_co_u32_e32 v4, vcc, 0, v4, vcc
	v_cmp_lt_i32_e32 vcc, s30, v2
	s_or_b64 s[2:3], vcc, s[2:3]
	s_waitcnt vmcnt(0)
	v_subrev_u32_e32 v6, s13, v6
	ds_write_b32 v5, v6
	v_add_u32_e32 v5, 36, v5
	s_andn2_b64 exec, exec, s[2:3]
	s_cbranch_execnz .LBB23_3
.LBB23_4:
	s_or_b64 exec, exec, s[0:1]
	s_load_dword s33, s[4:5], 0x0
	v_mov_b32_e32 v2, 0x2a0
	v_lshl_add_u32 v14, v1, 5, v2
	v_mov_b32_e32 v2, 0
	v_mul_u32_u24_e32 v15, 3, v1
	v_lshl_add_u32 v13, v0, 3, v14
	v_mov_b32_e32 v3, v2
	s_cmp_ge_i32 s31, s30
	ds_write_b64 v13, v[2:3]
	s_waitcnt lgkmcnt(0)
	s_cbranch_scc1 .LBB23_54
; %bb.5:
	s_cmp_lg_u32 s33, 0
	v_lshlrev_b32_e32 v4, 5, v1
	v_lshlrev_b32_e32 v5, 3, v0
	s_movk_i32 s0, 0x180
	s_cselect_b64 s[2:3], -1, 0
	s_cmp_eq_u32 s33, 0
	v_add_u32_e32 v17, 0x240, v4
	v_add3_u32 v19, v4, v5, s0
	v_add_u32_e32 v24, 0x1e0, v4
	v_mov_b32_e32 v4, 0x240
	v_mad_u32_u24 v3, v0, 3, v1
	v_lshl_add_u32 v26, v0, 5, v4
	v_or_b32_e32 v4, v0, v1
	s_cselect_b64 vcc, -1, 0
	v_mul_u32_u24_e32 v16, 3, v0
	v_add_u32_e32 v18, v17, v5
	v_add_u32_e32 v20, 3, v0
	;; [unrolled: 1-line block ×6, first 2 shown]
	v_cmp_ne_u32_e64 s[0:1], 0, v4
	v_cndmask_b32_e32 v3, v3, v12, vcc
	v_mov_b32_e32 v27, 0x3ff00000
	s_mov_b32 s4, s31
	s_branch .LBB23_8
.LBB23_6:                               ;   in Loop: Header=BB23_8 Depth=1
	s_or_b64 exec, exec, s[24:25]
	v_mov_b32_e32 v8, 0
	v_mov_b32_e32 v9, 0x3ff00000
.LBB23_7:                               ;   in Loop: Header=BB23_8 Depth=1
	s_or_b64 exec, exec, s[22:23]
	ds_read_b128 v[28:31], v2 offset:448
	ds_read_b128 v[32:35], v17
	ds_read_b64 v[10:11], v24 offset:16
	s_add_i32 s4, s4, 1
	s_cmp_ge_i32 s4, s30
	s_waitcnt lgkmcnt(0)
	v_fma_f64 v[10:11], v[28:29], v[32:33], v[10:11]
	v_fma_f64 v[10:11], v[30:31], v[34:35], v[10:11]
	v_add_f64 v[6:7], v[6:7], -v[10:11]
	v_div_scale_f64 v[10:11], s[22:23], v[8:9], v[8:9], v[6:7]
	s_cselect_b64 s[22:23], -1, 0
	v_rcp_f64_e32 v[28:29], v[10:11]
	v_fma_f64 v[30:31], -v[10:11], v[28:29], 1.0
	v_fma_f64 v[28:29], v[28:29], v[30:31], v[28:29]
	v_div_scale_f64 v[30:31], vcc, v[6:7], v[8:9], v[6:7]
	v_fma_f64 v[32:33], -v[10:11], v[28:29], 1.0
	v_fma_f64 v[28:29], v[28:29], v[32:33], v[28:29]
	v_mul_f64 v[32:33], v[30:31], v[28:29]
	v_fma_f64 v[10:11], -v[10:11], v[32:33], v[30:31]
	v_div_fmas_f64 v[10:11], v[10:11], v[28:29], v[32:33]
	v_div_fixup_f64 v[6:7], v[10:11], v[8:9], v[6:7]
	ds_write_b64 v17, v[6:7] offset:16
	s_waitcnt lgkmcnt(0)
	ds_read_b64 v[8:9], v26 offset:16
	ds_read_b64 v[10:11], v13
	s_waitcnt lgkmcnt(0)
	v_fma_f64 v[6:7], v[6:7], v[8:9], v[10:11]
	ds_write_b64 v13, v[6:7]
	s_waitcnt lgkmcnt(0)
	ds_read_b64 v[6:7], v18
	s_waitcnt lgkmcnt(0)
	global_store_dwordx2 v[4:5], v[6:7], off
	s_waitcnt vmcnt(0)
	buffer_wbinvl1_vol
	s_and_b64 vcc, exec, s[22:23]
	s_cbranch_vccnz .LBB23_54
.LBB23_8:                               ; =>This Loop Header: Depth=1
                                        ;     Child Loop BB23_11 Depth 2
                                        ;     Child Loop BB23_22 Depth 2
	;; [unrolled: 1-line block ×3, first 2 shown]
	s_ashr_i32 s5, s4, 31
	s_lshl_b64 s[22:23], s[4:5], 2
	s_add_u32 s22, s18, s22
	s_addc_u32 s23, s19, s23
	s_load_dword s5, s[22:23], 0x0
	s_waitcnt lgkmcnt(0)
	s_sub_i32 s24, s5, s13
	s_ashr_i32 s25, s24, 31
	s_lshl_b64 s[22:23], s[24:25], 2
	s_add_u32 s26, s8, s22
	s_addc_u32 s27, s9, s23
	s_load_dword s25, s[26:27], 0x0
	s_waitcnt lgkmcnt(0)
	s_cmp_eq_u32 s25, -1
	s_cbranch_scc1 .LBB23_35
; %bb.9:                                ;   in Loop: Header=BB23_8 Depth=1
	v_mad_u64_u32 v[4:5], s[26:27], s4, 9, v[3:4]
	v_mov_b32_e32 v6, s21
	s_add_u32 s26, s16, s22
	v_ashrrev_i32_e32 v5, 31, v4
	v_lshlrev_b64 v[4:5], 3, v[4:5]
	s_addc_u32 s27, s17, s23
	v_add_co_u32_e32 v4, vcc, s20, v4
	v_addc_co_u32_e32 v5, vcc, v6, v5, vcc
	global_load_dwordx2 v[6:7], v[4:5], off
	s_load_dword s26, s[26:27], 0x0
	ds_read_b32 v8, v2 offset:256
	s_mov_b32 s27, 0
	s_waitcnt lgkmcnt(0)
	s_sub_i32 s26, s26, s13
	s_cmp_le_i32 s26, s25
	v_cmp_ge_i32_e32 vcc, s24, v8
	s_cselect_b64 s[28:29], -1, 0
	s_and_b64 s[28:29], s[28:29], vcc
	s_andn2_b64 vcc, exec, s[28:29]
	s_waitcnt vmcnt(0)
	ds_write_b64 v18, v[6:7]
	s_cbranch_vccnz .LBB23_21
; %bb.10:                               ;   in Loop: Header=BB23_8 Depth=1
	s_mov_b32 s34, 0
	s_mov_b32 s35, 0
.LBB23_11:                              ;   Parent Loop BB23_8 Depth=1
                                        ; =>  This Inner Loop Header: Depth=2
	s_ashr_i32 s27, s26, 31
	s_lshl_b64 s[28:29], s[26:27], 2
	s_add_u32 s28, s18, s28
	s_addc_u32 s29, s19, s29
	s_load_dword s27, s[28:29], 0x0
	s_lshl_b32 s28, s35, 2
	v_mov_b32_e32 v6, s28
	ds_read_b32 v6, v6 offset:256
	s_mov_b64 s[28:29], -1
	s_waitcnt lgkmcnt(0)
	s_sub_i32 s39, s27, s13
                                        ; implicit-def: $sgpr27
                                        ; implicit-def: $sgpr38
                                        ; implicit-def: $sgpr37
	v_cmp_ge_i32_e32 vcc, s39, v6
	v_readfirstlane_b32 s36, v6
	s_cbranch_vccz .LBB23_17
; %bb.12:                               ;   in Loop: Header=BB23_11 Depth=2
	s_cmp_le_i32 s39, s36
                                        ; implicit-def: $sgpr27
                                        ; implicit-def: $sgpr38
                                        ; implicit-def: $sgpr37
	s_cbranch_scc0 .LBB23_14
; %bb.13:                               ;   in Loop: Header=BB23_11 Depth=2
	s_add_i32 s27, s35, s31
	s_mul_i32 s27, s27, 9
	s_lshl_b32 s28, s34, 2
	v_mov_b32_e32 v7, s27
	s_mul_i32 s27, s26, 9
	v_mov_b32_e32 v6, s28
	v_mov_b32_e32 v8, s27
	ds_write2_b32 v6, v8, v7 offset1:32
	s_add_i32 s37, s35, 1
	s_add_i32 s38, s26, 1
	;; [unrolled: 1-line block ×3, first 2 shown]
	s_mov_b64 s[28:29], 0
.LBB23_14:                              ;   in Loop: Header=BB23_11 Depth=2
	s_andn2_b64 vcc, exec, s[28:29]
	s_cbranch_vccnz .LBB23_16
; %bb.15:                               ;   in Loop: Header=BB23_11 Depth=2
	s_add_i32 s37, s35, 1
	s_mov_b32 s27, s34
	s_mov_b32 s38, s26
.LBB23_16:                              ;   in Loop: Header=BB23_11 Depth=2
	s_mov_b64 s[28:29], 0
.LBB23_17:                              ;   in Loop: Header=BB23_11 Depth=2
	s_andn2_b64 vcc, exec, s[28:29]
	s_cbranch_vccnz .LBB23_19
; %bb.18:                               ;   in Loop: Header=BB23_11 Depth=2
	s_add_i32 s38, s26, 1
	s_mov_b32 s37, s35
	s_mov_b32 s27, s34
.LBB23_19:                              ;   in Loop: Header=BB23_11 Depth=2
	s_cmp_le_i32 s38, s25
	s_cselect_b64 s[28:29], -1, 0
	s_cmp_le_i32 s36, s24
	s_cselect_b64 s[34:35], -1, 0
	s_and_b64 s[28:29], s[28:29], s[34:35]
	s_and_b64 vcc, exec, s[28:29]
	s_cbranch_vccz .LBB23_21
; %bb.20:                               ;   in Loop: Header=BB23_11 Depth=2
	s_mov_b32 s34, s27
	s_mov_b32 s26, s38
	;; [unrolled: 1-line block ×3, first 2 shown]
	s_branch .LBB23_11
.LBB23_21:                              ;   in Loop: Header=BB23_8 Depth=1
	s_add_u32 s22, s10, s22
	s_addc_u32 s23, s11, s23
	s_waitcnt lgkmcnt(0)
.LBB23_22:                              ;   Parent Loop BB23_8 Depth=1
                                        ; =>  This Inner Loop Header: Depth=2
	global_load_dword v6, v2, s[22:23] glc
	s_waitcnt vmcnt(0)
	v_cmp_eq_u32_e32 vcc, 0, v6
	s_cbranch_vccnz .LBB23_22
; %bb.23:                               ;   in Loop: Header=BB23_8 Depth=1
	v_mad_u64_u32 v[6:7], s[22:23], s25, 9, v[3:4]
	v_mov_b32_e32 v8, s21
	buffer_wbinvl1_vol
	v_ashrrev_i32_e32 v7, 31, v6
	v_lshlrev_b64 v[6:7], 3, v[6:7]
	s_cmp_lt_i32 s27, 2
	v_add_co_u32_e32 v6, vcc, s20, v6
	v_addc_co_u32_e32 v7, vcc, v8, v7, vcc
	global_load_dwordx2 v[8:9], v[6:7], off
	v_mov_b32_e32 v6, 0
	v_mov_b32_e32 v7, 0
	s_waitcnt vmcnt(0)
	ds_write_b64 v19, v[8:9]
	s_waitcnt lgkmcnt(0)
	s_cbranch_scc1 .LBB23_43
; %bb.24:                               ;   in Loop: Header=BB23_8 Depth=1
	s_add_i32 s24, s27, -1
	s_cmp_eq_u32 s27, 2
	s_cbranch_scc1 .LBB23_36
; %bb.25:                               ;   in Loop: Header=BB23_8 Depth=1
	v_mov_b32_e32 v6, 0
	s_and_b32 s25, s24, -2
	s_mov_b32 s26, 0
	v_mov_b32_e32 v7, 0
	s_mov_b32 s27, 0
	s_branch .LBB23_27
.LBB23_26:                              ;   in Loop: Header=BB23_27 Depth=2
	s_add_i32 s27, s27, 2
	s_add_i32 s26, s26, 8
	s_cmp_eq_u32 s25, s27
	s_cbranch_scc1 .LBB23_37
.LBB23_27:                              ;   Parent Loop BB23_8 Depth=1
                                        ; =>  This Inner Loop Header: Depth=2
	v_mov_b32_e32 v8, s26
	s_waitcnt lgkmcnt(0)
	ds_read2_b32 v[10:11], v8 offset1:32
	s_mov_b64 s[22:23], -1
	s_and_b64 vcc, exec, s[2:3]
                                        ; implicit-def: $vgpr8_vgpr9
	s_cbranch_vccz .LBB23_29
; %bb.28:                               ;   in Loop: Header=BB23_27 Depth=2
	s_waitcnt lgkmcnt(0)
	v_add_u32_e32 v8, v10, v0
	v_ashrrev_i32_e32 v9, 31, v8
	v_lshlrev_b64 v[8:9], 3, v[8:9]
	v_mov_b32_e32 v28, s21
	v_add_co_u32_e32 v8, vcc, s20, v8
	v_addc_co_u32_e32 v9, vcc, v28, v9, vcc
	v_add_u32_e32 v28, v11, v1
	v_ashrrev_i32_e32 v29, 31, v28
	v_lshlrev_b64 v[28:29], 3, v[28:29]
	v_mov_b32_e32 v30, s21
	v_add_co_u32_e32 v28, vcc, s20, v28
	v_addc_co_u32_e32 v29, vcc, v30, v29, vcc
	;; [unrolled: 6-line block ×4, first 2 shown]
	global_load_dwordx2 v[34:35], v[8:9], off
	global_load_dwordx2 v[36:37], v[28:29], off
	global_load_dwordx2 v[38:39], v[30:31], off
	global_load_dwordx2 v[40:41], v[32:33], off
	v_add_u32_e32 v8, v22, v10
	v_ashrrev_i32_e32 v9, 31, v8
	v_lshlrev_b64 v[8:9], 3, v[8:9]
	v_mov_b32_e32 v28, s21
	v_add_co_u32_e32 v8, vcc, s20, v8
	v_addc_co_u32_e32 v9, vcc, v28, v9, vcc
	v_add_u32_e32 v28, v23, v11
	v_ashrrev_i32_e32 v29, 31, v28
	v_lshlrev_b64 v[28:29], 3, v[28:29]
	v_mov_b32_e32 v30, s21
	v_add_co_u32_e32 v28, vcc, s20, v28
	v_addc_co_u32_e32 v29, vcc, v30, v29, vcc
	global_load_dwordx2 v[30:31], v[8:9], off
	global_load_dwordx2 v[32:33], v[28:29], off
	s_mov_b64 s[22:23], 0
	s_waitcnt vmcnt(4)
	v_fma_f64 v[8:9], v[34:35], v[36:37], v[6:7]
	s_waitcnt vmcnt(2)
	v_fma_f64 v[8:9], v[38:39], v[40:41], v[8:9]
	;; [unrolled: 2-line block ×3, first 2 shown]
.LBB23_29:                              ;   in Loop: Header=BB23_27 Depth=2
	s_andn2_b64 vcc, exec, s[22:23]
	s_cbranch_vccnz .LBB23_31
; %bb.30:                               ;   in Loop: Header=BB23_27 Depth=2
	s_waitcnt lgkmcnt(0)
	v_add_u32_e32 v8, v10, v16
	v_ashrrev_i32_e32 v9, 31, v8
	v_lshlrev_b64 v[8:9], 3, v[8:9]
	v_mov_b32_e32 v10, s21
	v_add_co_u32_e32 v32, vcc, s20, v8
	v_add_u32_e32 v8, v11, v15
	v_addc_co_u32_e32 v33, vcc, v10, v9, vcc
	v_ashrrev_i32_e32 v9, 31, v8
	v_lshlrev_b64 v[8:9], 3, v[8:9]
	v_add_co_u32_e32 v34, vcc, s20, v8
	v_addc_co_u32_e32 v35, vcc, v10, v9, vcc
	global_load_dwordx4 v[8:11], v[34:35], off
	global_load_dwordx4 v[28:31], v[32:33], off
	global_load_dwordx2 v[36:37], v[32:33], off offset:16
	global_load_dwordx2 v[38:39], v[34:35], off offset:16
	s_waitcnt vmcnt(2)
	v_fma_f64 v[6:7], v[28:29], v[8:9], v[6:7]
	v_fma_f64 v[6:7], v[30:31], v[10:11], v[6:7]
	s_waitcnt vmcnt(0)
	v_fma_f64 v[8:9], v[36:37], v[38:39], v[6:7]
.LBB23_31:                              ;   in Loop: Header=BB23_27 Depth=2
	v_mov_b32_e32 v6, s26
	s_waitcnt lgkmcnt(0)
	ds_read2_b32 v[10:11], v6 offset0:1 offset1:33
	s_andn2_b64 vcc, exec, s[2:3]
	s_mov_b64 s[22:23], -1
                                        ; implicit-def: $vgpr6_vgpr7
	s_cbranch_vccnz .LBB23_33
; %bb.32:                               ;   in Loop: Header=BB23_27 Depth=2
	s_waitcnt lgkmcnt(0)
	v_add_u32_e32 v6, v10, v0
	v_ashrrev_i32_e32 v7, 31, v6
	v_lshlrev_b64 v[6:7], 3, v[6:7]
	v_mov_b32_e32 v28, s21
	v_add_co_u32_e32 v6, vcc, s20, v6
	v_addc_co_u32_e32 v7, vcc, v28, v7, vcc
	v_add_u32_e32 v28, v11, v1
	v_ashrrev_i32_e32 v29, 31, v28
	v_lshlrev_b64 v[28:29], 3, v[28:29]
	v_mov_b32_e32 v30, s21
	v_add_co_u32_e32 v28, vcc, s20, v28
	v_addc_co_u32_e32 v29, vcc, v30, v29, vcc
	;; [unrolled: 6-line block ×4, first 2 shown]
	global_load_dwordx2 v[34:35], v[6:7], off
	global_load_dwordx2 v[36:37], v[28:29], off
	;; [unrolled: 1-line block ×4, first 2 shown]
	v_add_u32_e32 v6, v22, v10
	v_ashrrev_i32_e32 v7, 31, v6
	v_lshlrev_b64 v[6:7], 3, v[6:7]
	v_mov_b32_e32 v28, s21
	v_add_co_u32_e32 v6, vcc, s20, v6
	v_addc_co_u32_e32 v7, vcc, v28, v7, vcc
	v_add_u32_e32 v28, v23, v11
	v_ashrrev_i32_e32 v29, 31, v28
	v_lshlrev_b64 v[28:29], 3, v[28:29]
	v_mov_b32_e32 v30, s21
	v_add_co_u32_e32 v28, vcc, s20, v28
	v_addc_co_u32_e32 v29, vcc, v30, v29, vcc
	global_load_dwordx2 v[30:31], v[6:7], off
	global_load_dwordx2 v[32:33], v[28:29], off
	s_mov_b64 s[22:23], 0
	s_waitcnt vmcnt(4)
	v_fma_f64 v[6:7], v[34:35], v[36:37], v[8:9]
	s_waitcnt vmcnt(2)
	v_fma_f64 v[6:7], v[38:39], v[40:41], v[6:7]
	;; [unrolled: 2-line block ×3, first 2 shown]
.LBB23_33:                              ;   in Loop: Header=BB23_27 Depth=2
	s_andn2_b64 vcc, exec, s[22:23]
	s_cbranch_vccnz .LBB23_26
; %bb.34:                               ;   in Loop: Header=BB23_27 Depth=2
	s_waitcnt lgkmcnt(0)
	v_add_u32_e32 v6, v10, v16
	v_ashrrev_i32_e32 v7, 31, v6
	v_lshlrev_b64 v[6:7], 3, v[6:7]
	v_mov_b32_e32 v10, s21
	v_add_co_u32_e32 v6, vcc, s20, v6
	v_addc_co_u32_e32 v7, vcc, v10, v7, vcc
	v_add_u32_e32 v10, v11, v15
	v_ashrrev_i32_e32 v11, 31, v10
	v_lshlrev_b64 v[10:11], 3, v[10:11]
	v_mov_b32_e32 v28, s21
	v_add_co_u32_e32 v10, vcc, s20, v10
	v_addc_co_u32_e32 v11, vcc, v28, v11, vcc
	global_load_dwordx4 v[28:31], v[10:11], off
	global_load_dwordx4 v[32:35], v[6:7], off
	global_load_dwordx2 v[36:37], v[6:7], off offset:16
	global_load_dwordx2 v[38:39], v[10:11], off offset:16
	s_waitcnt vmcnt(2)
	v_fma_f64 v[6:7], v[32:33], v[28:29], v[8:9]
	v_fma_f64 v[6:7], v[34:35], v[30:31], v[6:7]
	s_waitcnt vmcnt(0)
	v_fma_f64 v[6:7], v[36:37], v[38:39], v[6:7]
	s_branch .LBB23_26
.LBB23_35:                              ;   in Loop: Header=BB23_8 Depth=1
                                        ; implicit-def: $sgpr4
	s_cbranch_execz .LBB23_8
	s_branch .LBB23_54
.LBB23_36:                              ;   in Loop: Header=BB23_8 Depth=1
	v_mov_b32_e32 v6, 0
	v_mov_b32_e32 v7, 0
	s_mov_b32 s25, 0
.LBB23_37:                              ;   in Loop: Header=BB23_8 Depth=1
	s_bitcmp0_b32 s24, 0
	s_cbranch_scc1 .LBB23_43
; %bb.38:                               ;   in Loop: Header=BB23_8 Depth=1
	s_lshl_b32 s22, s25, 2
	v_mov_b32_e32 v8, s22
	ds_read2_b32 v[8:9], v8 offset1:32
	s_andn2_b64 vcc, exec, s[2:3]
	s_mov_b64 s[22:23], -1
                                        ; implicit-def: $vgpr10_vgpr11
	s_cbranch_vccnz .LBB23_40
; %bb.39:                               ;   in Loop: Header=BB23_8 Depth=1
	s_waitcnt lgkmcnt(0)
	v_add_u32_e32 v10, v8, v0
	v_ashrrev_i32_e32 v11, 31, v10
	v_lshlrev_b64 v[10:11], 3, v[10:11]
	v_mov_b32_e32 v28, s21
	v_add_co_u32_e32 v10, vcc, s20, v10
	v_addc_co_u32_e32 v11, vcc, v28, v11, vcc
	v_add_u32_e32 v28, v9, v1
	v_ashrrev_i32_e32 v29, 31, v28
	v_lshlrev_b64 v[28:29], 3, v[28:29]
	v_mov_b32_e32 v30, s21
	v_add_co_u32_e32 v28, vcc, s20, v28
	v_addc_co_u32_e32 v29, vcc, v30, v29, vcc
	;; [unrolled: 6-line block ×6, first 2 shown]
	global_load_dwordx2 v[38:39], v[10:11], off
	global_load_dwordx2 v[40:41], v[28:29], off
	;; [unrolled: 1-line block ×6, first 2 shown]
	s_mov_b64 s[22:23], 0
	s_waitcnt vmcnt(4)
	v_fma_f64 v[10:11], v[38:39], v[40:41], v[6:7]
	s_waitcnt vmcnt(2)
	v_fma_f64 v[10:11], v[42:43], v[44:45], v[10:11]
	;; [unrolled: 2-line block ×3, first 2 shown]
.LBB23_40:                              ;   in Loop: Header=BB23_8 Depth=1
	s_andn2_b64 vcc, exec, s[22:23]
	s_cbranch_vccnz .LBB23_42
; %bb.41:                               ;   in Loop: Header=BB23_8 Depth=1
	s_waitcnt lgkmcnt(0)
	v_add_u32_e32 v10, v8, v16
	v_ashrrev_i32_e32 v11, 31, v10
	v_lshlrev_b64 v[10:11], 3, v[10:11]
	v_mov_b32_e32 v8, s21
	v_add_co_u32_e32 v32, vcc, s20, v10
	v_addc_co_u32_e32 v33, vcc, v8, v11, vcc
	v_add_u32_e32 v8, v9, v15
	v_ashrrev_i32_e32 v9, 31, v8
	v_lshlrev_b64 v[8:9], 3, v[8:9]
	v_mov_b32_e32 v10, s21
	v_add_co_u32_e32 v34, vcc, s20, v8
	v_addc_co_u32_e32 v35, vcc, v10, v9, vcc
	global_load_dwordx4 v[8:11], v[34:35], off
	global_load_dwordx4 v[28:31], v[32:33], off
	global_load_dwordx2 v[36:37], v[32:33], off offset:16
	global_load_dwordx2 v[38:39], v[34:35], off offset:16
	s_waitcnt vmcnt(2)
	v_fma_f64 v[6:7], v[28:29], v[8:9], v[6:7]
	v_fma_f64 v[6:7], v[30:31], v[10:11], v[6:7]
	s_waitcnt vmcnt(0)
	v_fma_f64 v[10:11], v[36:37], v[38:39], v[6:7]
.LBB23_42:                              ;   in Loop: Header=BB23_8 Depth=1
	s_waitcnt lgkmcnt(1)
	v_mov_b32_e32 v6, v10
	v_mov_b32_e32 v7, v11
.LBB23_43:                              ;   in Loop: Header=BB23_8 Depth=1
	ds_write_b64 v25, v[6:7]
	s_waitcnt lgkmcnt(0)
	ds_read_b64 v[8:9], v2 offset:384
	ds_read_b64 v[6:7], v17
	s_waitcnt lgkmcnt(1)
	v_cmp_neq_f64_e32 vcc, 0, v[8:9]
	v_cndmask_b32_e32 v9, v27, v9, vcc
	s_nor_b64 s[24:25], vcc, s[0:1]
	v_cndmask_b32_e32 v8, 0, v8, vcc
	s_and_saveexec_b64 s[22:23], s[24:25]
	s_cbranch_execz .LBB23_47
; %bb.44:                               ;   in Loop: Header=BB23_8 Depth=1
	v_mbcnt_lo_u32_b32 v8, exec_lo, 0
	v_mbcnt_hi_u32_b32 v8, exec_hi, v8
	v_cmp_eq_u32_e32 vcc, 0, v8
	s_and_saveexec_b64 s[24:25], vcc
	s_cbranch_execz .LBB23_46
; %bb.45:                               ;   in Loop: Header=BB23_8 Depth=1
	v_mov_b32_e32 v8, s5
	global_atomic_smin v2, v8, s[14:15]
.LBB23_46:                              ;   in Loop: Header=BB23_8 Depth=1
	s_or_b64 exec, exec, s[24:25]
	v_mov_b32_e32 v8, 0
	v_mov_b32_e32 v9, 0x3ff00000
.LBB23_47:                              ;   in Loop: Header=BB23_8 Depth=1
	s_or_b64 exec, exec, s[22:23]
	ds_read_b64 v[10:11], v24
	s_waitcnt lgkmcnt(0)
	v_add_f64 v[6:7], v[6:7], -v[10:11]
	v_div_scale_f64 v[10:11], s[22:23], v[8:9], v[8:9], v[6:7]
	v_rcp_f64_e32 v[28:29], v[10:11]
	v_fma_f64 v[30:31], -v[10:11], v[28:29], 1.0
	v_fma_f64 v[28:29], v[28:29], v[30:31], v[28:29]
	v_div_scale_f64 v[30:31], vcc, v[6:7], v[8:9], v[6:7]
	v_fma_f64 v[32:33], -v[10:11], v[28:29], 1.0
	v_fma_f64 v[28:29], v[28:29], v[32:33], v[28:29]
	v_mul_f64 v[32:33], v[30:31], v[28:29]
	v_fma_f64 v[10:11], -v[10:11], v[32:33], v[30:31]
	v_div_fmas_f64 v[10:11], v[10:11], v[28:29], v[32:33]
	v_div_fixup_f64 v[6:7], v[10:11], v[8:9], v[6:7]
	ds_write_b64 v17, v[6:7]
	s_waitcnt lgkmcnt(0)
	ds_read_b64 v[8:9], v26
	ds_read_b64 v[10:11], v13
	s_waitcnt lgkmcnt(0)
	v_fma_f64 v[6:7], v[6:7], v[8:9], v[10:11]
	ds_write_b64 v13, v[6:7]
	s_waitcnt lgkmcnt(0)
	ds_read_b64 v[8:9], v2 offset:424
	ds_read_b64 v[6:7], v17 offset:8
	s_waitcnt lgkmcnt(1)
	v_cmp_neq_f64_e32 vcc, 0, v[8:9]
	v_cndmask_b32_e32 v9, v27, v9, vcc
	s_nor_b64 s[24:25], vcc, s[0:1]
	v_cndmask_b32_e32 v8, 0, v8, vcc
	s_and_saveexec_b64 s[22:23], s[24:25]
	s_cbranch_execz .LBB23_51
; %bb.48:                               ;   in Loop: Header=BB23_8 Depth=1
	v_mbcnt_lo_u32_b32 v8, exec_lo, 0
	v_mbcnt_hi_u32_b32 v8, exec_hi, v8
	v_cmp_eq_u32_e32 vcc, 0, v8
	s_and_saveexec_b64 s[24:25], vcc
	s_cbranch_execz .LBB23_50
; %bb.49:                               ;   in Loop: Header=BB23_8 Depth=1
	v_mov_b32_e32 v8, s5
	global_atomic_smin v2, v8, s[14:15]
.LBB23_50:                              ;   in Loop: Header=BB23_8 Depth=1
	s_or_b64 exec, exec, s[24:25]
	v_mov_b32_e32 v8, 0
	v_mov_b32_e32 v9, 0x3ff00000
.LBB23_51:                              ;   in Loop: Header=BB23_8 Depth=1
	s_or_b64 exec, exec, s[22:23]
	ds_read_b64 v[10:11], v2 offset:416
	ds_read_b64 v[28:29], v17
	ds_read_b64 v[30:31], v24 offset:8
	s_waitcnt lgkmcnt(0)
	v_fma_f64 v[10:11], v[10:11], v[28:29], v[30:31]
	v_add_f64 v[6:7], v[6:7], -v[10:11]
	v_div_scale_f64 v[10:11], s[22:23], v[8:9], v[8:9], v[6:7]
	v_rcp_f64_e32 v[28:29], v[10:11]
	v_fma_f64 v[30:31], -v[10:11], v[28:29], 1.0
	v_fma_f64 v[28:29], v[28:29], v[30:31], v[28:29]
	v_div_scale_f64 v[30:31], vcc, v[6:7], v[8:9], v[6:7]
	v_fma_f64 v[32:33], -v[10:11], v[28:29], 1.0
	v_fma_f64 v[28:29], v[28:29], v[32:33], v[28:29]
	v_mul_f64 v[32:33], v[30:31], v[28:29]
	v_fma_f64 v[10:11], -v[10:11], v[32:33], v[30:31]
	v_div_fmas_f64 v[10:11], v[10:11], v[28:29], v[32:33]
	v_div_fixup_f64 v[6:7], v[10:11], v[8:9], v[6:7]
	ds_write_b64 v17, v[6:7] offset:8
	s_waitcnt lgkmcnt(0)
	ds_read_b64 v[8:9], v26 offset:8
	ds_read_b64 v[10:11], v13
	s_waitcnt lgkmcnt(0)
	v_fma_f64 v[6:7], v[6:7], v[8:9], v[10:11]
	ds_write_b64 v13, v[6:7]
	s_waitcnt lgkmcnt(0)
	ds_read_b64 v[8:9], v2 offset:464
	ds_read_b64 v[6:7], v17 offset:16
	s_waitcnt lgkmcnt(1)
	v_cmp_neq_f64_e32 vcc, 0, v[8:9]
	v_cndmask_b32_e32 v9, v27, v9, vcc
	s_nor_b64 s[24:25], vcc, s[0:1]
	v_cndmask_b32_e32 v8, 0, v8, vcc
	s_and_saveexec_b64 s[22:23], s[24:25]
	s_cbranch_execz .LBB23_7
; %bb.52:                               ;   in Loop: Header=BB23_8 Depth=1
	v_mbcnt_lo_u32_b32 v8, exec_lo, 0
	v_mbcnt_hi_u32_b32 v8, exec_hi, v8
	v_cmp_eq_u32_e32 vcc, 0, v8
	s_and_saveexec_b64 s[24:25], vcc
	s_cbranch_execz .LBB23_6
; %bb.53:                               ;   in Loop: Header=BB23_8 Depth=1
	v_mov_b32_e32 v8, s5
	global_atomic_smin v2, v8, s[14:15]
	s_branch .LBB23_6
.LBB23_54:
	s_cmp_lg_u32 s33, 0
	s_cselect_b64 s[4:5], -1, 0
	s_cmp_eq_u32 s33, 0
	v_mov_b32_e32 v2, v12
	s_cbranch_scc1 .LBB23_56
; %bb.55:
	v_mad_u32_u24 v2, v0, 3, v1
.LBB23_56:
	s_mul_i32 s30, s30, 9
	v_add_u32_e32 v2, s30, v2
	v_ashrrev_i32_e32 v3, 31, v2
	v_lshlrev_b64 v[2:3], 3, v[2:3]
	v_mov_b32_e32 v4, s21
	v_add_co_u32_e32 v2, vcc, s20, v2
	v_addc_co_u32_e32 v3, vcc, v4, v3, vcc
	global_load_dwordx2 v[2:3], v[2:3], off
	v_mov_b32_e32 v4, 0x240
	v_lshl_add_u32 v5, v1, 5, v4
	v_cmp_ne_u32_e32 vcc, 0, v1
	v_lshl_add_u32 v4, v0, 3, v5
	v_cmp_eq_u32_e64 s[0:1], 0, v1
	s_waitcnt vmcnt(0)
	ds_write_b64 v4, v[2:3]
	s_waitcnt lgkmcnt(0)
	s_and_saveexec_b64 s[2:3], s[0:1]
	s_cbranch_execz .LBB23_58
; %bb.57:
	v_mov_b32_e32 v15, 0
	ds_read2_b64 v[6:9], v15 offset0:72 offset1:84
	s_mov_b32 s8, 0
	s_brev_b32 s9, 8
	s_waitcnt lgkmcnt(0)
	v_add_f64 v[2:3], v[6:7], -v[8:9]
	v_cmp_gt_f64_e64 s[0:1], 0, v[2:3]
	v_xor_b32_e32 v6, 0x80000000, v3
	v_cndmask_b32_e64 v3, v3, v6, s[0:1]
	v_cmp_gt_f64_e64 s[0:1], s[8:9], v[2:3]
	s_and_b64 s[0:1], s[0:1], exec
	s_cselect_b32 s0, 0x100, 0
	v_ldexp_f64 v[2:3], v[2:3], s0
	s_cselect_b32 s0, 0xffffff80, 0
	v_rsq_f64_e32 v[6:7], v[2:3]
	v_mul_f64 v[8:9], v[2:3], v[6:7]
	v_mul_f64 v[6:7], v[6:7], 0.5
	v_fma_f64 v[10:11], -v[6:7], v[8:9], 0.5
	v_fma_f64 v[8:9], v[8:9], v[10:11], v[8:9]
	v_fma_f64 v[6:7], v[6:7], v[10:11], v[6:7]
	v_fma_f64 v[10:11], -v[8:9], v[8:9], v[2:3]
	v_fma_f64 v[8:9], v[10:11], v[6:7], v[8:9]
	v_fma_f64 v[10:11], -v[8:9], v[8:9], v[2:3]
	v_fma_f64 v[6:7], v[10:11], v[6:7], v[8:9]
	v_mov_b32_e32 v8, 0x260
	v_ldexp_f64 v[6:7], v[6:7], s0
	v_cmp_class_f64_e64 s[0:1], v[2:3], v8
	v_cndmask_b32_e64 v3, v7, v3, s[0:1]
	v_cndmask_b32_e64 v2, v6, v2, s[0:1]
	ds_write_b64 v15, v[2:3] offset:576
.LBB23_58:
	s_or_b64 exec, exec, s[2:3]
	v_mov_b32_e32 v2, 0
	s_waitcnt lgkmcnt(0)
	ds_read_b64 v[2:3], v2 offset:576
	v_or_b32_e32 v6, v0, v1
	v_mov_b32_e32 v7, 0x3ff00000
	v_cmp_ne_u32_e64 s[0:1], 0, v6
	s_add_i32 s18, s12, s13
	s_waitcnt lgkmcnt(0)
	v_cmp_neq_f64_e64 s[2:3], 0, v[2:3]
	v_cndmask_b32_e64 v3, v7, v3, s[2:3]
	s_nor_b64 s[16:17], s[2:3], s[0:1]
	v_cndmask_b32_e64 v2, 0, v2, s[2:3]
	s_and_saveexec_b64 s[8:9], s[16:17]
	s_cbranch_execz .LBB23_62
; %bb.59:
	v_mbcnt_lo_u32_b32 v2, exec_lo, 0
	v_mbcnt_hi_u32_b32 v2, exec_hi, v2
	v_cmp_eq_u32_e64 s[2:3], 0, v2
	s_and_saveexec_b64 s[16:17], s[2:3]
	s_cbranch_execz .LBB23_61
; %bb.60:
	v_mov_b32_e32 v2, 0
	v_mov_b32_e32 v3, s18
	global_atomic_smin v2, v3, s[14:15]
.LBB23_61:
	s_or_b64 exec, exec, s[16:17]
	v_mov_b32_e32 v2, 0
	v_mov_b32_e32 v3, 0x3ff00000
.LBB23_62:
	s_or_b64 exec, exec, s[8:9]
	v_mov_b32_e32 v7, 0x240
	v_lshl_add_u32 v7, v0, 5, v7
	s_and_saveexec_b64 s[2:3], vcc
	s_cbranch_execz .LBB23_64
; %bb.63:
	ds_read_b64 v[8:9], v5
	ds_read_b64 v[10:11], v14
	s_waitcnt lgkmcnt(0)
	v_add_f64 v[8:9], v[8:9], -v[10:11]
	v_div_scale_f64 v[10:11], s[8:9], v[2:3], v[2:3], v[8:9]
	v_rcp_f64_e32 v[15:16], v[10:11]
	v_fma_f64 v[17:18], -v[10:11], v[15:16], 1.0
	v_fma_f64 v[15:16], v[15:16], v[17:18], v[15:16]
	v_div_scale_f64 v[17:18], vcc, v[8:9], v[2:3], v[8:9]
	v_fma_f64 v[19:20], -v[10:11], v[15:16], 1.0
	v_fma_f64 v[15:16], v[15:16], v[19:20], v[15:16]
	v_mul_f64 v[19:20], v[17:18], v[15:16]
	v_fma_f64 v[10:11], -v[10:11], v[19:20], v[17:18]
	v_div_fmas_f64 v[10:11], v[10:11], v[15:16], v[19:20]
	v_div_fixup_f64 v[2:3], v[10:11], v[2:3], v[8:9]
	ds_write_b64 v5, v[2:3]
	s_waitcnt lgkmcnt(0)
	ds_read_b64 v[8:9], v7
	ds_read_b64 v[10:11], v13
	s_waitcnt lgkmcnt(0)
	v_fma_f64 v[2:3], v[2:3], v[8:9], v[10:11]
	ds_write_b64 v13, v[2:3]
.LBB23_64:
	s_or_b64 exec, exec, s[2:3]
	v_cmp_eq_u32_e32 vcc, 1, v1
	s_waitcnt lgkmcnt(0)
	s_and_saveexec_b64 s[2:3], vcc
	s_cbranch_execz .LBB23_66
; %bb.65:
	v_mov_b32_e32 v17, 0
	ds_read2_b64 v[8:11], v17 offset0:77 offset1:89
	s_mov_b32 s8, 0
	s_brev_b32 s9, 8
	s_waitcnt lgkmcnt(0)
	v_add_f64 v[2:3], v[8:9], -v[10:11]
	v_cmp_gt_f64_e32 vcc, 0, v[2:3]
	v_xor_b32_e32 v8, 0x80000000, v3
	v_cndmask_b32_e32 v3, v3, v8, vcc
	v_cmp_gt_f64_e32 vcc, s[8:9], v[2:3]
	s_and_b64 s[8:9], vcc, exec
	s_cselect_b32 s8, 0x100, 0
	v_ldexp_f64 v[2:3], v[2:3], s8
	s_cselect_b32 s8, 0xffffff80, 0
	v_rsq_f64_e32 v[8:9], v[2:3]
	v_mul_f64 v[10:11], v[2:3], v[8:9]
	v_mul_f64 v[8:9], v[8:9], 0.5
	v_fma_f64 v[15:16], -v[8:9], v[10:11], 0.5
	v_fma_f64 v[10:11], v[10:11], v[15:16], v[10:11]
	v_fma_f64 v[8:9], v[8:9], v[15:16], v[8:9]
	v_fma_f64 v[15:16], -v[10:11], v[10:11], v[2:3]
	v_fma_f64 v[10:11], v[15:16], v[8:9], v[10:11]
	v_fma_f64 v[15:16], -v[10:11], v[10:11], v[2:3]
	v_fma_f64 v[8:9], v[15:16], v[8:9], v[10:11]
	v_mov_b32_e32 v10, 0x260
	v_cmp_class_f64_e32 vcc, v[2:3], v10
	v_ldexp_f64 v[8:9], v[8:9], s8
	v_cndmask_b32_e32 v3, v9, v3, vcc
	v_cndmask_b32_e32 v2, v8, v2, vcc
	ds_write_b64 v17, v[2:3] offset:616
.LBB23_66:
	s_or_b64 exec, exec, s[2:3]
	v_mov_b32_e32 v2, 0
	s_waitcnt lgkmcnt(0)
	ds_read_b64 v[2:3], v2 offset:616
	v_mov_b32_e32 v8, 0x3ff00000
	s_waitcnt lgkmcnt(0)
	v_cmp_neq_f64_e32 vcc, 0, v[2:3]
	v_cndmask_b32_e32 v3, v8, v3, vcc
	s_nor_b64 s[8:9], vcc, s[0:1]
	v_cndmask_b32_e32 v2, 0, v2, vcc
	s_and_saveexec_b64 s[2:3], s[8:9]
	s_cbranch_execz .LBB23_70
; %bb.67:
	v_mbcnt_lo_u32_b32 v2, exec_lo, 0
	v_mbcnt_hi_u32_b32 v2, exec_hi, v2
	v_cmp_eq_u32_e32 vcc, 0, v2
	s_and_saveexec_b64 s[8:9], vcc
	s_cbranch_execz .LBB23_69
; %bb.68:
	v_mov_b32_e32 v2, 0
	v_mov_b32_e32 v3, s18
	global_atomic_smin v2, v3, s[14:15]
.LBB23_69:
	s_or_b64 exec, exec, s[8:9]
	v_mov_b32_e32 v2, 0
	v_mov_b32_e32 v3, 0x3ff00000
.LBB23_70:
	s_or_b64 exec, exec, s[2:3]
	v_cmp_lt_u32_e32 vcc, 1, v1
	s_and_saveexec_b64 s[2:3], vcc
	s_cbranch_execz .LBB23_72
; %bb.71:
	ds_read_b64 v[8:9], v5 offset:8
	ds_read_b64 v[10:11], v14 offset:8
	s_waitcnt lgkmcnt(0)
	v_add_f64 v[8:9], v[8:9], -v[10:11]
	v_div_scale_f64 v[10:11], s[8:9], v[2:3], v[2:3], v[8:9]
	v_rcp_f64_e32 v[15:16], v[10:11]
	v_fma_f64 v[17:18], -v[10:11], v[15:16], 1.0
	v_fma_f64 v[15:16], v[15:16], v[17:18], v[15:16]
	v_div_scale_f64 v[17:18], vcc, v[8:9], v[2:3], v[8:9]
	v_fma_f64 v[19:20], -v[10:11], v[15:16], 1.0
	v_fma_f64 v[15:16], v[15:16], v[19:20], v[15:16]
	v_mul_f64 v[19:20], v[17:18], v[15:16]
	v_fma_f64 v[10:11], -v[10:11], v[19:20], v[17:18]
	v_div_fmas_f64 v[10:11], v[10:11], v[15:16], v[19:20]
	v_div_fixup_f64 v[2:3], v[10:11], v[2:3], v[8:9]
	ds_write_b64 v5, v[2:3] offset:8
	s_waitcnt lgkmcnt(0)
	ds_read_b64 v[8:9], v7 offset:8
	ds_read_b64 v[10:11], v13
	s_waitcnt lgkmcnt(0)
	v_fma_f64 v[2:3], v[2:3], v[8:9], v[10:11]
	ds_write_b64 v13, v[2:3]
.LBB23_72:
	s_or_b64 exec, exec, s[2:3]
	v_cmp_eq_u32_e32 vcc, 2, v1
	s_waitcnt lgkmcnt(0)
	s_and_saveexec_b64 s[2:3], vcc
	s_cbranch_execz .LBB23_74
; %bb.73:
	v_mov_b32_e32 v17, 0
	ds_read2_b64 v[8:11], v17 offset0:82 offset1:94
	s_mov_b32 s8, 0
	s_brev_b32 s9, 8
	s_waitcnt lgkmcnt(0)
	v_add_f64 v[2:3], v[8:9], -v[10:11]
	v_cmp_gt_f64_e32 vcc, 0, v[2:3]
	v_xor_b32_e32 v8, 0x80000000, v3
	v_cndmask_b32_e32 v3, v3, v8, vcc
	v_cmp_gt_f64_e32 vcc, s[8:9], v[2:3]
	s_and_b64 s[8:9], vcc, exec
	s_cselect_b32 s8, 0x100, 0
	v_ldexp_f64 v[2:3], v[2:3], s8
	s_cselect_b32 s8, 0xffffff80, 0
	v_rsq_f64_e32 v[8:9], v[2:3]
	v_mul_f64 v[10:11], v[2:3], v[8:9]
	v_mul_f64 v[8:9], v[8:9], 0.5
	v_fma_f64 v[15:16], -v[8:9], v[10:11], 0.5
	v_fma_f64 v[10:11], v[10:11], v[15:16], v[10:11]
	v_fma_f64 v[8:9], v[8:9], v[15:16], v[8:9]
	v_fma_f64 v[15:16], -v[10:11], v[10:11], v[2:3]
	v_fma_f64 v[10:11], v[15:16], v[8:9], v[10:11]
	v_fma_f64 v[15:16], -v[10:11], v[10:11], v[2:3]
	v_fma_f64 v[8:9], v[15:16], v[8:9], v[10:11]
	v_mov_b32_e32 v10, 0x260
	v_cmp_class_f64_e32 vcc, v[2:3], v10
	v_ldexp_f64 v[8:9], v[8:9], s8
	v_cndmask_b32_e32 v3, v9, v3, vcc
	v_cndmask_b32_e32 v2, v8, v2, vcc
	ds_write_b64 v17, v[2:3] offset:656
.LBB23_74:
	s_or_b64 exec, exec, s[2:3]
	v_mov_b32_e32 v2, 0
	s_waitcnt lgkmcnt(0)
	ds_read_b64 v[2:3], v2 offset:656
	v_mov_b32_e32 v8, 0x3ff00000
	s_waitcnt lgkmcnt(0)
	v_cmp_neq_f64_e32 vcc, 0, v[2:3]
	v_cndmask_b32_e32 v3, v8, v3, vcc
	s_nor_b64 s[2:3], vcc, s[0:1]
	v_cndmask_b32_e32 v2, 0, v2, vcc
	s_and_saveexec_b64 s[0:1], s[2:3]
	s_cbranch_execz .LBB23_78
; %bb.75:
	v_mbcnt_lo_u32_b32 v2, exec_lo, 0
	v_mbcnt_hi_u32_b32 v2, exec_hi, v2
	v_cmp_eq_u32_e32 vcc, 0, v2
	s_and_saveexec_b64 s[2:3], vcc
	s_cbranch_execz .LBB23_77
; %bb.76:
	v_mov_b32_e32 v2, 0
	v_mov_b32_e32 v3, s18
	global_atomic_smin v2, v3, s[14:15]
.LBB23_77:
	s_or_b64 exec, exec, s[2:3]
	v_mov_b32_e32 v2, 0
	v_mov_b32_e32 v3, 0x3ff00000
.LBB23_78:
	s_or_b64 exec, exec, s[0:1]
	v_cmp_lt_u32_e32 vcc, 2, v1
	s_and_saveexec_b64 s[0:1], vcc
	s_cbranch_execz .LBB23_80
; %bb.79:
	ds_read_b64 v[8:9], v5 offset:16
	ds_read_b64 v[10:11], v14 offset:16
	s_waitcnt lgkmcnt(0)
	v_add_f64 v[8:9], v[8:9], -v[10:11]
	v_div_scale_f64 v[10:11], s[2:3], v[2:3], v[2:3], v[8:9]
	v_rcp_f64_e32 v[14:15], v[10:11]
	v_fma_f64 v[16:17], -v[10:11], v[14:15], 1.0
	v_fma_f64 v[14:15], v[14:15], v[16:17], v[14:15]
	v_div_scale_f64 v[16:17], vcc, v[8:9], v[2:3], v[8:9]
	v_fma_f64 v[18:19], -v[10:11], v[14:15], 1.0
	v_fma_f64 v[14:15], v[14:15], v[18:19], v[14:15]
	v_mul_f64 v[18:19], v[16:17], v[14:15]
	v_fma_f64 v[10:11], -v[10:11], v[18:19], v[16:17]
	v_div_fmas_f64 v[10:11], v[10:11], v[14:15], v[18:19]
	v_div_fixup_f64 v[2:3], v[10:11], v[2:3], v[8:9]
	ds_write_b64 v5, v[2:3] offset:16
	s_waitcnt lgkmcnt(0)
	ds_read_b64 v[7:8], v7 offset:16
	ds_read_b64 v[9:10], v13
	s_waitcnt lgkmcnt(0)
	v_fma_f64 v[2:3], v[2:3], v[7:8], v[9:10]
	ds_write_b64 v13, v[2:3]
.LBB23_80:
	s_or_b64 exec, exec, s[0:1]
	s_waitcnt lgkmcnt(0)
	ds_read_b64 v[2:3], v4
	s_andn2_b64 vcc, exec, s[4:5]
	s_cbranch_vccnz .LBB23_82
; %bb.81:
	v_mad_u32_u24 v12, v0, 3, v1
.LBB23_82:
	v_add_u32_e32 v4, s30, v12
	v_ashrrev_i32_e32 v5, 31, v4
	v_lshlrev_b64 v[4:5], 3, v[4:5]
	v_mov_b32_e32 v7, s21
	v_add_co_u32_e32 v4, vcc, s20, v4
	v_addc_co_u32_e32 v5, vcc, v7, v5, vcc
	v_cmp_eq_u32_e32 vcc, 0, v6
	s_waitcnt lgkmcnt(0)
	global_store_dwordx2 v[4:5], v[2:3], off
	s_and_saveexec_b64 s[0:1], vcc
	s_cbranch_execz .LBB23_84
; %bb.83:
	s_add_u32 s2, s10, s6
	s_addc_u32 s3, s11, s7
	v_mov_b32_e32 v2, 0
	v_mov_b32_e32 v3, 1
	s_waitcnt vmcnt(0)
	global_store_dword v2, v3, s[2:3]
.LBB23_84:
	s_or_b64 exec, exec, s[0:1]
.LBB23_85:
	s_endpgm
.LBB23_86:
	s_cbranch_execz .LBB23_85
; %bb.87:
	v_or_b32_e32 v0, v0, v1
	v_cmp_eq_u32_e32 vcc, 0, v0
	s_and_saveexec_b64 s[0:1], vcc
	s_cbranch_execz .LBB23_85
; %bb.88:
	v_mbcnt_lo_u32_b32 v0, exec_lo, 0
	v_mbcnt_hi_u32_b32 v0, exec_hi, v0
	v_cmp_eq_u32_e32 vcc, 0, v0
	s_and_saveexec_b64 s[0:1], vcc
	s_cbranch_execz .LBB23_90
; %bb.89:
	s_add_i32 s2, s12, s13
	v_mov_b32_e32 v0, 0
	v_mov_b32_e32 v1, s2
	global_atomic_smin v0, v1, s[14:15]
.LBB23_90:
	s_or_b64 exec, exec, s[0:1]
	s_add_u32 s0, s10, s6
	s_addc_u32 s1, s11, s7
	v_mov_b32_e32 v0, 0
	v_mov_b32_e32 v1, 1
	s_waitcnt vmcnt(0)
	global_store_dword v0, v1, s[0:1]
	s_endpgm
	.section	.rodata,"a",@progbits
	.p2align	6, 0x0
	.amdhsa_kernel _ZN9rocsparseL26bsric0_2_8_unrolled_kernelILi9ELi32ELi3EdEEv20rocsparse_direction_iiPKiS3_PT2_S3_PiS3_S6_21rocsparse_index_base_
		.amdhsa_group_segment_fixed_size 768
		.amdhsa_private_segment_fixed_size 0
		.amdhsa_kernarg_size 76
		.amdhsa_user_sgpr_count 6
		.amdhsa_user_sgpr_private_segment_buffer 1
		.amdhsa_user_sgpr_dispatch_ptr 0
		.amdhsa_user_sgpr_queue_ptr 0
		.amdhsa_user_sgpr_kernarg_segment_ptr 1
		.amdhsa_user_sgpr_dispatch_id 0
		.amdhsa_user_sgpr_flat_scratch_init 0
		.amdhsa_user_sgpr_private_segment_size 0
		.amdhsa_uses_dynamic_stack 0
		.amdhsa_system_sgpr_private_segment_wavefront_offset 0
		.amdhsa_system_sgpr_workgroup_id_x 1
		.amdhsa_system_sgpr_workgroup_id_y 0
		.amdhsa_system_sgpr_workgroup_id_z 0
		.amdhsa_system_sgpr_workgroup_info 0
		.amdhsa_system_vgpr_workitem_id 1
		.amdhsa_next_free_vgpr 50
		.amdhsa_next_free_sgpr 40
		.amdhsa_reserve_vcc 1
		.amdhsa_reserve_flat_scratch 0
		.amdhsa_float_round_mode_32 0
		.amdhsa_float_round_mode_16_64 0
		.amdhsa_float_denorm_mode_32 3
		.amdhsa_float_denorm_mode_16_64 3
		.amdhsa_dx10_clamp 1
		.amdhsa_ieee_mode 1
		.amdhsa_fp16_overflow 0
		.amdhsa_exception_fp_ieee_invalid_op 0
		.amdhsa_exception_fp_denorm_src 0
		.amdhsa_exception_fp_ieee_div_zero 0
		.amdhsa_exception_fp_ieee_overflow 0
		.amdhsa_exception_fp_ieee_underflow 0
		.amdhsa_exception_fp_ieee_inexact 0
		.amdhsa_exception_int_div_zero 0
	.end_amdhsa_kernel
	.section	.text._ZN9rocsparseL26bsric0_2_8_unrolled_kernelILi9ELi32ELi3EdEEv20rocsparse_direction_iiPKiS3_PT2_S3_PiS3_S6_21rocsparse_index_base_,"axG",@progbits,_ZN9rocsparseL26bsric0_2_8_unrolled_kernelILi9ELi32ELi3EdEEv20rocsparse_direction_iiPKiS3_PT2_S3_PiS3_S6_21rocsparse_index_base_,comdat
.Lfunc_end23:
	.size	_ZN9rocsparseL26bsric0_2_8_unrolled_kernelILi9ELi32ELi3EdEEv20rocsparse_direction_iiPKiS3_PT2_S3_PiS3_S6_21rocsparse_index_base_, .Lfunc_end23-_ZN9rocsparseL26bsric0_2_8_unrolled_kernelILi9ELi32ELi3EdEEv20rocsparse_direction_iiPKiS3_PT2_S3_PiS3_S6_21rocsparse_index_base_
                                        ; -- End function
	.set _ZN9rocsparseL26bsric0_2_8_unrolled_kernelILi9ELi32ELi3EdEEv20rocsparse_direction_iiPKiS3_PT2_S3_PiS3_S6_21rocsparse_index_base_.num_vgpr, 50
	.set _ZN9rocsparseL26bsric0_2_8_unrolled_kernelILi9ELi32ELi3EdEEv20rocsparse_direction_iiPKiS3_PT2_S3_PiS3_S6_21rocsparse_index_base_.num_agpr, 0
	.set _ZN9rocsparseL26bsric0_2_8_unrolled_kernelILi9ELi32ELi3EdEEv20rocsparse_direction_iiPKiS3_PT2_S3_PiS3_S6_21rocsparse_index_base_.numbered_sgpr, 40
	.set _ZN9rocsparseL26bsric0_2_8_unrolled_kernelILi9ELi32ELi3EdEEv20rocsparse_direction_iiPKiS3_PT2_S3_PiS3_S6_21rocsparse_index_base_.num_named_barrier, 0
	.set _ZN9rocsparseL26bsric0_2_8_unrolled_kernelILi9ELi32ELi3EdEEv20rocsparse_direction_iiPKiS3_PT2_S3_PiS3_S6_21rocsparse_index_base_.private_seg_size, 0
	.set _ZN9rocsparseL26bsric0_2_8_unrolled_kernelILi9ELi32ELi3EdEEv20rocsparse_direction_iiPKiS3_PT2_S3_PiS3_S6_21rocsparse_index_base_.uses_vcc, 1
	.set _ZN9rocsparseL26bsric0_2_8_unrolled_kernelILi9ELi32ELi3EdEEv20rocsparse_direction_iiPKiS3_PT2_S3_PiS3_S6_21rocsparse_index_base_.uses_flat_scratch, 0
	.set _ZN9rocsparseL26bsric0_2_8_unrolled_kernelILi9ELi32ELi3EdEEv20rocsparse_direction_iiPKiS3_PT2_S3_PiS3_S6_21rocsparse_index_base_.has_dyn_sized_stack, 0
	.set _ZN9rocsparseL26bsric0_2_8_unrolled_kernelILi9ELi32ELi3EdEEv20rocsparse_direction_iiPKiS3_PT2_S3_PiS3_S6_21rocsparse_index_base_.has_recursion, 0
	.set _ZN9rocsparseL26bsric0_2_8_unrolled_kernelILi9ELi32ELi3EdEEv20rocsparse_direction_iiPKiS3_PT2_S3_PiS3_S6_21rocsparse_index_base_.has_indirect_call, 0
	.section	.AMDGPU.csdata,"",@progbits
; Kernel info:
; codeLenInByte = 5136
; TotalNumSgprs: 44
; NumVgprs: 50
; ScratchSize: 0
; MemoryBound: 1
; FloatMode: 240
; IeeeMode: 1
; LDSByteSize: 768 bytes/workgroup (compile time only)
; SGPRBlocks: 5
; VGPRBlocks: 12
; NumSGPRsForWavesPerEU: 44
; NumVGPRsForWavesPerEU: 50
; Occupancy: 4
; WaveLimiterHint : 1
; COMPUTE_PGM_RSRC2:SCRATCH_EN: 0
; COMPUTE_PGM_RSRC2:USER_SGPR: 6
; COMPUTE_PGM_RSRC2:TRAP_HANDLER: 0
; COMPUTE_PGM_RSRC2:TGID_X_EN: 1
; COMPUTE_PGM_RSRC2:TGID_Y_EN: 0
; COMPUTE_PGM_RSRC2:TGID_Z_EN: 0
; COMPUTE_PGM_RSRC2:TIDIG_COMP_CNT: 1
	.section	.text._ZN9rocsparseL26bsric0_2_8_unrolled_kernelILi16ELi32ELi4EdEEv20rocsparse_direction_iiPKiS3_PT2_S3_PiS3_S6_21rocsparse_index_base_,"axG",@progbits,_ZN9rocsparseL26bsric0_2_8_unrolled_kernelILi16ELi32ELi4EdEEv20rocsparse_direction_iiPKiS3_PT2_S3_PiS3_S6_21rocsparse_index_base_,comdat
	.globl	_ZN9rocsparseL26bsric0_2_8_unrolled_kernelILi16ELi32ELi4EdEEv20rocsparse_direction_iiPKiS3_PT2_S3_PiS3_S6_21rocsparse_index_base_ ; -- Begin function _ZN9rocsparseL26bsric0_2_8_unrolled_kernelILi16ELi32ELi4EdEEv20rocsparse_direction_iiPKiS3_PT2_S3_PiS3_S6_21rocsparse_index_base_
	.p2align	8
	.type	_ZN9rocsparseL26bsric0_2_8_unrolled_kernelILi16ELi32ELi4EdEEv20rocsparse_direction_iiPKiS3_PT2_S3_PiS3_S6_21rocsparse_index_base_,@function
_ZN9rocsparseL26bsric0_2_8_unrolled_kernelILi16ELi32ELi4EdEEv20rocsparse_direction_iiPKiS3_PT2_S3_PiS3_S6_21rocsparse_index_base_: ; @_ZN9rocsparseL26bsric0_2_8_unrolled_kernelILi16ELi32ELi4EdEEv20rocsparse_direction_iiPKiS3_PT2_S3_PiS3_S6_21rocsparse_index_base_
; %bb.0:
	s_load_dwordx8 s[8:15], s[4:5], 0x28
	s_mov_b32 s7, 0
	s_lshl_b64 s[0:1], s[6:7], 2
	s_waitcnt lgkmcnt(0)
	s_add_u32 s0, s12, s0
	s_addc_u32 s1, s13, s1
	s_load_dword s12, s[0:1], 0x0
	s_waitcnt lgkmcnt(0)
	s_ashr_i32 s13, s12, 31
	s_lshl_b64 s[6:7], s[12:13], 2
	s_add_u32 s0, s8, s6
	s_addc_u32 s1, s9, s7
	s_load_dword s30, s[0:1], 0x0
	s_load_dword s13, s[4:5], 0x48
	s_waitcnt lgkmcnt(0)
	s_cmp_lg_u32 s30, -1
	s_cbranch_scc0 .LBB24_6
; %bb.1:
	s_load_dwordx4 s[16:19], s[4:5], 0x10
	s_load_dwordx2 s[2:3], s[4:5], 0x20
	v_lshlrev_b32_e32 v14, 2, v1
	v_add_u32_e32 v13, v14, v0
	s_waitcnt lgkmcnt(0)
	s_add_u32 s0, s16, s6
	s_addc_u32 s1, s17, s7
	s_load_dword s0, s[0:1], 0x0
	s_waitcnt lgkmcnt(0)
	s_sub_i32 s31, s0, s13
	v_add_u32_e32 v2, s31, v13
	v_cmp_ge_i32_e32 vcc, s30, v2
	s_and_saveexec_b64 s[0:1], vcc
	s_cbranch_execz .LBB24_4
; %bb.2:
	v_lshlrev_b32_e32 v3, 4, v1
	v_lshlrev_b32_e32 v4, 2, v0
	s_movk_i32 s20, 0x380
	v_add3_u32 v5, v3, v4, s20
	v_ashrrev_i32_e32 v3, 31, v2
	v_lshlrev_b64 v[3:4], 2, v[2:3]
	v_mov_b32_e32 v6, s19
	v_add_co_u32_e32 v3, vcc, s18, v3
	v_addc_co_u32_e32 v4, vcc, v6, v4, vcc
	s_mov_b64 s[20:21], 0
.LBB24_3:                               ; =>This Inner Loop Header: Depth=1
	global_load_dword v6, v[3:4], off
	v_add_co_u32_e32 v3, vcc, 64, v3
	v_add_u32_e32 v2, 16, v2
	v_addc_co_u32_e32 v4, vcc, 0, v4, vcc
	v_cmp_lt_i32_e32 vcc, s30, v2
	s_or_b64 s[20:21], vcc, s[20:21]
	s_waitcnt vmcnt(0)
	v_subrev_u32_e32 v6, s13, v6
	ds_write_b32 v5, v6
	v_add_u32_e32 v5, 64, v5
	s_andn2_b64 exec, exec, s[20:21]
	s_cbranch_execnz .LBB24_3
.LBB24_4:
	s_or_b64 exec, exec, s[0:1]
	v_mov_b32_e32 v2, 0x1e0
	v_mad_u32_u24 v11, v1, 40, v2
	v_mov_b32_e32 v2, 0
	v_lshl_add_u32 v10, v0, 3, v11
	v_mov_b32_e32 v3, v2
	s_cmp_lt_i32 s31, s30
	ds_write_b64 v10, v[2:3]
	s_waitcnt lgkmcnt(0)
	s_cbranch_scc1 .LBB24_8
; %bb.5:
	v_lshl_add_u32 v15, v0, 2, v1
	v_or_b32_e32 v12, v0, v1
	s_load_dword s33, s[4:5], 0x0
	s_cbranch_execz .LBB24_9
	s_branch .LBB24_51
.LBB24_6:
	s_cbranch_execnz .LBB24_86
.LBB24_7:
	s_endpgm
.LBB24_8:
                                        ; implicit-def: $vgpr15
                                        ; implicit-def: $vgpr12
	s_load_dword s33, s[4:5], 0x0
.LBB24_9:
	s_waitcnt lgkmcnt(0)
	s_cmp_lg_u32 s33, 0
	s_cselect_b64 s[4:5], -1, 0
	s_cmp_eq_u32 s33, 0
	v_lshlrev_b32_e32 v16, 2, v0
	v_mov_b32_e32 v2, 0x140
	v_mov_b32_e32 v4, 0xa0
	v_add_u32_e32 v15, v16, v1
	v_mad_u32_u24 v17, v1, 40, v2
	v_lshlrev_b32_e32 v3, 3, v0
	v_mad_u32_u24 v20, v1, 40, v4
	v_or_b32_e32 v12, v0, v1
	s_cselect_b64 vcc, -1, 0
	v_add_u32_e32 v18, v17, v3
	v_mad_u32_u24 v19, v1, 40, v3
	v_add_u32_e32 v21, v20, v3
	v_mad_u32_u24 v22, v0, 40, v2
	v_cmp_ne_u32_e64 s[0:1], 0, v12
	v_cndmask_b32_e32 v23, v15, v13, vcc
	v_mov_b32_e32 v24, 0
	v_mov_b32_e32 v25, 0x3ff00000
	s_mov_b32 s20, s31
	s_branch .LBB24_12
.LBB24_10:                              ;   in Loop: Header=BB24_12 Depth=1
	s_or_b64 exec, exec, s[24:25]
	v_mov_b32_e32 v6, 0
	v_mov_b32_e32 v7, 0x3ff00000
.LBB24_11:                              ;   in Loop: Header=BB24_12 Depth=1
	s_or_b64 exec, exec, s[22:23]
	ds_read2_b64 v[26:29], v17 offset1:1
	ds_read2_b64 v[30:33], v24 offset0:15 offset1:16
	ds_read_b64 v[8:9], v20 offset:24
	s_add_i32 s20, s20, 1
	s_cmp_ge_i32 s20, s30
	s_waitcnt lgkmcnt(0)
	v_fma_f64 v[8:9], v[30:31], v[26:27], v[8:9]
	v_fma_f64 v[8:9], v[32:33], v[28:29], v[8:9]
	ds_read_b64 v[26:27], v17 offset:16
	ds_read_b64 v[28:29], v24 offset:136
	s_waitcnt lgkmcnt(0)
	v_fma_f64 v[8:9], v[28:29], v[26:27], v[8:9]
	v_add_f64 v[4:5], v[4:5], -v[8:9]
	v_div_scale_f64 v[8:9], s[22:23], v[6:7], v[6:7], v[4:5]
	s_cselect_b64 s[22:23], -1, 0
	v_rcp_f64_e32 v[26:27], v[8:9]
	v_fma_f64 v[28:29], -v[8:9], v[26:27], 1.0
	v_fma_f64 v[26:27], v[26:27], v[28:29], v[26:27]
	v_div_scale_f64 v[28:29], vcc, v[4:5], v[6:7], v[4:5]
	v_fma_f64 v[30:31], -v[8:9], v[26:27], 1.0
	v_fma_f64 v[26:27], v[26:27], v[30:31], v[26:27]
	v_mul_f64 v[30:31], v[28:29], v[26:27]
	v_fma_f64 v[8:9], -v[8:9], v[30:31], v[28:29]
	v_div_fmas_f64 v[8:9], v[8:9], v[26:27], v[30:31]
	v_div_fixup_f64 v[4:5], v[8:9], v[6:7], v[4:5]
	ds_write_b64 v17, v[4:5] offset:24
	s_waitcnt lgkmcnt(0)
	ds_read_b64 v[6:7], v22 offset:24
	ds_read_b64 v[8:9], v10
	s_waitcnt lgkmcnt(0)
	v_fma_f64 v[4:5], v[4:5], v[6:7], v[8:9]
	ds_write_b64 v10, v[4:5]
	s_waitcnt lgkmcnt(0)
	ds_read_b64 v[4:5], v18
	s_waitcnt lgkmcnt(0)
	global_store_dwordx2 v[2:3], v[4:5], off
	s_waitcnt vmcnt(0)
	buffer_wbinvl1_vol
	s_and_b64 vcc, exec, s[22:23]
	s_cbranch_vccnz .LBB24_51
.LBB24_12:                              ; =>This Loop Header: Depth=1
                                        ;     Child Loop BB24_15 Depth 2
                                        ;     Child Loop BB24_26 Depth 2
	;; [unrolled: 1-line block ×3, first 2 shown]
	s_ashr_i32 s21, s20, 31
	s_lshl_b64 s[22:23], s[20:21], 2
	s_add_u32 s22, s18, s22
	s_addc_u32 s23, s19, s23
	s_load_dword s21, s[22:23], 0x0
	s_waitcnt lgkmcnt(0)
	s_sub_i32 s24, s21, s13
	s_ashr_i32 s25, s24, 31
	s_lshl_b64 s[22:23], s[24:25], 2
	s_add_u32 s26, s8, s22
	s_addc_u32 s27, s9, s23
	s_load_dword s25, s[26:27], 0x0
	s_waitcnt lgkmcnt(0)
	s_cmp_eq_u32 s25, -1
	s_cbranch_scc1 .LBB24_50
; %bb.13:                               ;   in Loop: Header=BB24_12 Depth=1
	v_lshl_add_u32 v2, s20, 4, v23
	v_ashrrev_i32_e32 v3, 31, v2
	v_lshlrev_b64 v[2:3], 3, v[2:3]
	v_mov_b32_e32 v4, s3
	v_add_co_u32_e32 v2, vcc, s2, v2
	v_addc_co_u32_e32 v3, vcc, v4, v3, vcc
	global_load_dwordx2 v[4:5], v[2:3], off
	s_add_u32 s26, s16, s22
	s_addc_u32 s27, s17, s23
	s_load_dword s26, s[26:27], 0x0
	ds_read_b32 v6, v24 offset:896
	s_mov_b32 s27, 0
	s_waitcnt lgkmcnt(0)
	s_sub_i32 s26, s26, s13
	s_cmp_le_i32 s26, s25
	v_cmp_ge_i32_e32 vcc, s24, v6
	s_cselect_b64 s[28:29], -1, 0
	s_and_b64 s[28:29], s[28:29], vcc
	s_andn2_b64 vcc, exec, s[28:29]
	s_waitcnt vmcnt(0)
	ds_write_b64 v18, v[4:5]
	s_cbranch_vccnz .LBB24_25
; %bb.14:                               ;   in Loop: Header=BB24_12 Depth=1
	s_mov_b32 s34, 0
	s_mov_b32 s35, 0
.LBB24_15:                              ;   Parent Loop BB24_12 Depth=1
                                        ; =>  This Inner Loop Header: Depth=2
	s_ashr_i32 s27, s26, 31
	s_lshl_b64 s[28:29], s[26:27], 2
	s_add_u32 s28, s18, s28
	s_addc_u32 s29, s19, s29
	s_load_dword s27, s[28:29], 0x0
	s_lshl_b32 s28, s35, 2
	v_mov_b32_e32 v4, s28
	ds_read_b32 v4, v4 offset:896
	s_mov_b64 s[28:29], -1
	s_waitcnt lgkmcnt(0)
	s_sub_i32 s39, s27, s13
                                        ; implicit-def: $sgpr27
                                        ; implicit-def: $sgpr38
                                        ; implicit-def: $sgpr37
	v_cmp_ge_i32_e32 vcc, s39, v4
	v_readfirstlane_b32 s36, v4
	s_cbranch_vccz .LBB24_21
; %bb.16:                               ;   in Loop: Header=BB24_15 Depth=2
	s_cmp_le_i32 s39, s36
                                        ; implicit-def: $sgpr27
                                        ; implicit-def: $sgpr38
                                        ; implicit-def: $sgpr37
	s_cbranch_scc0 .LBB24_18
; %bb.17:                               ;   in Loop: Header=BB24_15 Depth=2
	s_add_i32 s27, s35, s31
	s_lshl_b32 s27, s27, 4
	s_lshl_b32 s28, s34, 2
	v_mov_b32_e32 v5, s27
	s_lshl_b32 s27, s26, 4
	v_mov_b32_e32 v4, s28
	v_mov_b32_e32 v6, s27
	ds_write2_b32 v4, v6, v5 offset0:160 offset1:192
	s_add_i32 s37, s35, 1
	s_add_i32 s38, s26, 1
	;; [unrolled: 1-line block ×3, first 2 shown]
	s_mov_b64 s[28:29], 0
.LBB24_18:                              ;   in Loop: Header=BB24_15 Depth=2
	s_andn2_b64 vcc, exec, s[28:29]
	s_cbranch_vccnz .LBB24_20
; %bb.19:                               ;   in Loop: Header=BB24_15 Depth=2
	s_add_i32 s37, s35, 1
	s_mov_b32 s27, s34
	s_mov_b32 s38, s26
.LBB24_20:                              ;   in Loop: Header=BB24_15 Depth=2
	s_mov_b64 s[28:29], 0
.LBB24_21:                              ;   in Loop: Header=BB24_15 Depth=2
	s_andn2_b64 vcc, exec, s[28:29]
	s_cbranch_vccnz .LBB24_23
; %bb.22:                               ;   in Loop: Header=BB24_15 Depth=2
	s_add_i32 s38, s26, 1
	s_mov_b32 s37, s35
	s_mov_b32 s27, s34
.LBB24_23:                              ;   in Loop: Header=BB24_15 Depth=2
	s_cmp_le_i32 s38, s25
	s_cselect_b64 s[28:29], -1, 0
	s_cmp_le_i32 s36, s24
	s_cselect_b64 s[34:35], -1, 0
	s_and_b64 s[28:29], s[28:29], s[34:35]
	s_and_b64 vcc, exec, s[28:29]
	s_cbranch_vccz .LBB24_25
; %bb.24:                               ;   in Loop: Header=BB24_15 Depth=2
	s_mov_b32 s34, s27
	s_mov_b32 s26, s38
	;; [unrolled: 1-line block ×3, first 2 shown]
	s_branch .LBB24_15
.LBB24_25:                              ;   in Loop: Header=BB24_12 Depth=1
	s_add_u32 s22, s10, s22
	s_addc_u32 s23, s11, s23
	s_waitcnt lgkmcnt(0)
.LBB24_26:                              ;   Parent Loop BB24_12 Depth=1
                                        ; =>  This Inner Loop Header: Depth=2
	global_load_dword v4, v24, s[22:23] glc
	s_waitcnt vmcnt(0)
	v_cmp_eq_u32_e32 vcc, 0, v4
	s_cbranch_vccnz .LBB24_26
; %bb.27:                               ;   in Loop: Header=BB24_12 Depth=1
	v_lshl_add_u32 v4, s25, 4, v23
	v_ashrrev_i32_e32 v5, 31, v4
	v_lshlrev_b64 v[4:5], 3, v[4:5]
	v_mov_b32_e32 v6, s3
	v_add_co_u32_e32 v4, vcc, s2, v4
	v_addc_co_u32_e32 v5, vcc, v6, v5, vcc
	buffer_wbinvl1_vol
	global_load_dwordx2 v[4:5], v[4:5], off
	v_mov_b32_e32 v8, 0
	v_mov_b32_e32 v9, 0
	s_cmp_lt_i32 s27, 2
	s_waitcnt vmcnt(0)
	ds_write_b64 v19, v[4:5]
	s_waitcnt lgkmcnt(0)
	s_cbranch_scc1 .LBB24_35
; %bb.28:                               ;   in Loop: Header=BB24_12 Depth=1
	v_mov_b32_e32 v4, 0
	s_add_i32 s24, s27, -1
	v_mov_b32_e32 v5, 0
	s_movk_i32 s25, 0x280
.LBB24_29:                              ;   Parent Loop BB24_12 Depth=1
                                        ; =>  This Inner Loop Header: Depth=2
	s_waitcnt lgkmcnt(0)
	v_mov_b32_e32 v6, s25
	ds_read2_b32 v[6:7], v6 offset1:32
	s_mov_b64 s[22:23], -1
	s_and_b64 vcc, exec, s[4:5]
                                        ; implicit-def: $vgpr8_vgpr9
	s_cbranch_vccz .LBB24_32
; %bb.30:                               ;   in Loop: Header=BB24_29 Depth=2
	s_waitcnt lgkmcnt(0)
	v_add_u32_e32 v8, v6, v0
	v_ashrrev_i32_e32 v9, 31, v8
	v_lshlrev_b64 v[26:27], 3, v[8:9]
	v_add_u32_e32 v28, v7, v1
	v_ashrrev_i32_e32 v29, 31, v28
	v_mov_b32_e32 v9, s3
	v_add_co_u32_e32 v26, vcc, s2, v26
	v_lshlrev_b64 v[29:30], 3, v[28:29]
	v_add_u32_e32 v31, 4, v8
	v_addc_co_u32_e32 v27, vcc, v9, v27, vcc
	v_ashrrev_i32_e32 v32, 31, v31
	v_add_co_u32_e32 v29, vcc, s2, v29
	v_lshlrev_b64 v[31:32], 3, v[31:32]
	v_add_u32_e32 v33, 4, v28
	v_addc_co_u32_e32 v30, vcc, v9, v30, vcc
	v_ashrrev_i32_e32 v34, 31, v33
	v_add_co_u32_e32 v31, vcc, s2, v31
	v_lshlrev_b64 v[33:34], 3, v[33:34]
	v_addc_co_u32_e32 v32, vcc, v9, v32, vcc
	v_add_co_u32_e32 v33, vcc, s2, v33
	v_addc_co_u32_e32 v34, vcc, v9, v34, vcc
	global_load_dwordx2 v[35:36], v[26:27], off
	global_load_dwordx2 v[37:38], v[29:30], off
	global_load_dwordx2 v[39:40], v[31:32], off
	global_load_dwordx2 v[41:42], v[33:34], off
	v_add_u32_e32 v26, 8, v8
	v_ashrrev_i32_e32 v27, 31, v26
	v_lshlrev_b64 v[26:27], 3, v[26:27]
	v_add_u32_e32 v29, 8, v28
	v_ashrrev_i32_e32 v30, 31, v29
	v_add_co_u32_e32 v26, vcc, s2, v26
	v_lshlrev_b64 v[29:30], 3, v[29:30]
	v_addc_co_u32_e32 v27, vcc, v9, v27, vcc
	v_add_co_u32_e32 v29, vcc, s2, v29
	v_add_u32_e32 v8, 12, v8
	v_addc_co_u32_e32 v30, vcc, v9, v30, vcc
	v_ashrrev_i32_e32 v9, 31, v8
	global_load_dwordx2 v[31:32], v[26:27], off
	global_load_dwordx2 v[33:34], v[29:30], off
	v_lshlrev_b64 v[8:9], 3, v[8:9]
	v_mov_b32_e32 v26, s3
	v_add_co_u32_e32 v8, vcc, s2, v8
	v_addc_co_u32_e32 v9, vcc, v26, v9, vcc
	v_add_u32_e32 v26, 12, v28
	v_ashrrev_i32_e32 v27, 31, v26
	v_lshlrev_b64 v[26:27], 3, v[26:27]
	v_mov_b32_e32 v28, s3
	v_add_co_u32_e32 v26, vcc, s2, v26
	v_addc_co_u32_e32 v27, vcc, v28, v27, vcc
	global_load_dwordx2 v[28:29], v[8:9], off
	global_load_dwordx2 v[43:44], v[26:27], off
	s_waitcnt vmcnt(6)
	v_fma_f64 v[8:9], v[35:36], v[37:38], v[4:5]
	s_waitcnt vmcnt(4)
	v_fma_f64 v[8:9], v[39:40], v[41:42], v[8:9]
	;; [unrolled: 2-line block ×4, first 2 shown]
	s_cbranch_execz .LBB24_33
.LBB24_31:                              ;   in Loop: Header=BB24_29 Depth=2
	s_add_i32 s24, s24, -1
	s_add_i32 s25, s25, 4
	s_cmp_eq_u32 s24, 0
	s_cbranch_scc0 .LBB24_34
	s_branch .LBB24_35
.LBB24_32:                              ;   in Loop: Header=BB24_29 Depth=2
	s_andn2_b64 vcc, exec, s[22:23]
	s_cbranch_vccnz .LBB24_31
.LBB24_33:                              ;   in Loop: Header=BB24_29 Depth=2
	s_waitcnt lgkmcnt(0)
	v_add_u32_e32 v8, v6, v16
	v_ashrrev_i32_e32 v9, 31, v8
	v_lshlrev_b64 v[8:9], 3, v[8:9]
	v_mov_b32_e32 v6, s3
	v_add_co_u32_e32 v38, vcc, s2, v8
	v_addc_co_u32_e32 v39, vcc, v6, v9, vcc
	v_add_u32_e32 v6, v7, v14
	v_ashrrev_i32_e32 v7, 31, v6
	v_lshlrev_b64 v[6:7], 3, v[6:7]
	v_mov_b32_e32 v8, s3
	v_add_co_u32_e32 v40, vcc, s2, v6
	v_addc_co_u32_e32 v41, vcc, v8, v7, vcc
	global_load_dwordx4 v[6:9], v[40:41], off
	global_load_dwordx4 v[26:29], v[38:39], off
	global_load_dwordx4 v[30:33], v[38:39], off offset:16
	global_load_dwordx4 v[34:37], v[40:41], off offset:16
	s_waitcnt vmcnt(2)
	v_fma_f64 v[4:5], v[26:27], v[6:7], v[4:5]
	v_fma_f64 v[4:5], v[28:29], v[8:9], v[4:5]
	s_waitcnt vmcnt(0)
	v_fma_f64 v[4:5], v[30:31], v[34:35], v[4:5]
	v_fma_f64 v[8:9], v[32:33], v[36:37], v[4:5]
	s_add_i32 s24, s24, -1
	s_add_i32 s25, s25, 4
	s_cmp_eq_u32 s24, 0
	s_cbranch_scc1 .LBB24_35
.LBB24_34:                              ;   in Loop: Header=BB24_29 Depth=2
	v_mov_b32_e32 v4, v8
	v_mov_b32_e32 v5, v9
	s_branch .LBB24_29
.LBB24_35:                              ;   in Loop: Header=BB24_12 Depth=1
	ds_write_b64 v21, v[8:9]
	s_waitcnt lgkmcnt(0)
	ds_read_b64 v[6:7], v24
	ds_read_b64 v[4:5], v17
	s_waitcnt lgkmcnt(1)
	v_cmp_neq_f64_e32 vcc, 0, v[6:7]
	v_cndmask_b32_e32 v7, v25, v7, vcc
	s_nor_b64 s[24:25], vcc, s[0:1]
	v_cndmask_b32_e32 v6, 0, v6, vcc
	s_and_saveexec_b64 s[22:23], s[24:25]
	s_cbranch_execz .LBB24_39
; %bb.36:                               ;   in Loop: Header=BB24_12 Depth=1
	v_mbcnt_lo_u32_b32 v6, exec_lo, 0
	v_mbcnt_hi_u32_b32 v6, exec_hi, v6
	v_cmp_eq_u32_e32 vcc, 0, v6
	s_and_saveexec_b64 s[24:25], vcc
	s_cbranch_execz .LBB24_38
; %bb.37:                               ;   in Loop: Header=BB24_12 Depth=1
	v_mov_b32_e32 v6, s21
	global_atomic_smin v24, v6, s[14:15]
.LBB24_38:                              ;   in Loop: Header=BB24_12 Depth=1
	s_or_b64 exec, exec, s[24:25]
	v_mov_b32_e32 v6, 0
	v_mov_b32_e32 v7, 0x3ff00000
.LBB24_39:                              ;   in Loop: Header=BB24_12 Depth=1
	s_or_b64 exec, exec, s[22:23]
	ds_read_b64 v[8:9], v20
	s_waitcnt lgkmcnt(0)
	v_add_f64 v[4:5], v[4:5], -v[8:9]
	v_div_scale_f64 v[8:9], s[22:23], v[6:7], v[6:7], v[4:5]
	v_rcp_f64_e32 v[26:27], v[8:9]
	v_fma_f64 v[28:29], -v[8:9], v[26:27], 1.0
	v_fma_f64 v[26:27], v[26:27], v[28:29], v[26:27]
	v_div_scale_f64 v[28:29], vcc, v[4:5], v[6:7], v[4:5]
	v_fma_f64 v[30:31], -v[8:9], v[26:27], 1.0
	v_fma_f64 v[26:27], v[26:27], v[30:31], v[26:27]
	v_mul_f64 v[30:31], v[28:29], v[26:27]
	v_fma_f64 v[8:9], -v[8:9], v[30:31], v[28:29]
	v_div_fmas_f64 v[8:9], v[8:9], v[26:27], v[30:31]
	v_div_fixup_f64 v[4:5], v[8:9], v[6:7], v[4:5]
	ds_write_b64 v17, v[4:5]
	s_waitcnt lgkmcnt(0)
	ds_read_b64 v[6:7], v22
	ds_read_b64 v[8:9], v10
	s_waitcnt lgkmcnt(0)
	v_fma_f64 v[4:5], v[4:5], v[6:7], v[8:9]
	ds_write_b64 v10, v[4:5]
	s_waitcnt lgkmcnt(0)
	ds_read_b64 v[6:7], v24 offset:48
	ds_read_b64 v[4:5], v17 offset:8
	s_waitcnt lgkmcnt(1)
	v_cmp_neq_f64_e32 vcc, 0, v[6:7]
	v_cndmask_b32_e32 v7, v25, v7, vcc
	s_nor_b64 s[24:25], vcc, s[0:1]
	v_cndmask_b32_e32 v6, 0, v6, vcc
	s_and_saveexec_b64 s[22:23], s[24:25]
	s_cbranch_execz .LBB24_43
; %bb.40:                               ;   in Loop: Header=BB24_12 Depth=1
	v_mbcnt_lo_u32_b32 v6, exec_lo, 0
	v_mbcnt_hi_u32_b32 v6, exec_hi, v6
	v_cmp_eq_u32_e32 vcc, 0, v6
	s_and_saveexec_b64 s[24:25], vcc
	s_cbranch_execz .LBB24_42
; %bb.41:                               ;   in Loop: Header=BB24_12 Depth=1
	v_mov_b32_e32 v6, s21
	global_atomic_smin v24, v6, s[14:15]
.LBB24_42:                              ;   in Loop: Header=BB24_12 Depth=1
	s_or_b64 exec, exec, s[24:25]
	v_mov_b32_e32 v6, 0
	v_mov_b32_e32 v7, 0x3ff00000
.LBB24_43:                              ;   in Loop: Header=BB24_12 Depth=1
	s_or_b64 exec, exec, s[22:23]
	ds_read_b64 v[8:9], v24 offset:40
	ds_read_b64 v[26:27], v17
	ds_read_b64 v[28:29], v20 offset:8
	s_waitcnt lgkmcnt(0)
	v_fma_f64 v[8:9], v[8:9], v[26:27], v[28:29]
	v_add_f64 v[4:5], v[4:5], -v[8:9]
	v_div_scale_f64 v[8:9], s[22:23], v[6:7], v[6:7], v[4:5]
	v_rcp_f64_e32 v[26:27], v[8:9]
	v_fma_f64 v[28:29], -v[8:9], v[26:27], 1.0
	v_fma_f64 v[26:27], v[26:27], v[28:29], v[26:27]
	v_div_scale_f64 v[28:29], vcc, v[4:5], v[6:7], v[4:5]
	v_fma_f64 v[30:31], -v[8:9], v[26:27], 1.0
	v_fma_f64 v[26:27], v[26:27], v[30:31], v[26:27]
	v_mul_f64 v[30:31], v[28:29], v[26:27]
	v_fma_f64 v[8:9], -v[8:9], v[30:31], v[28:29]
	v_div_fmas_f64 v[8:9], v[8:9], v[26:27], v[30:31]
	v_div_fixup_f64 v[4:5], v[8:9], v[6:7], v[4:5]
	ds_write_b64 v17, v[4:5] offset:8
	s_waitcnt lgkmcnt(0)
	ds_read_b64 v[6:7], v22 offset:8
	ds_read_b64 v[8:9], v10
	s_waitcnt lgkmcnt(0)
	v_fma_f64 v[4:5], v[4:5], v[6:7], v[8:9]
	ds_write_b64 v10, v[4:5]
	s_waitcnt lgkmcnt(0)
	ds_read_b64 v[6:7], v24 offset:96
	ds_read_b64 v[4:5], v17 offset:16
	s_waitcnt lgkmcnt(1)
	v_cmp_neq_f64_e32 vcc, 0, v[6:7]
	v_cndmask_b32_e32 v7, v25, v7, vcc
	s_nor_b64 s[24:25], vcc, s[0:1]
	v_cndmask_b32_e32 v6, 0, v6, vcc
	s_and_saveexec_b64 s[22:23], s[24:25]
	s_cbranch_execz .LBB24_47
; %bb.44:                               ;   in Loop: Header=BB24_12 Depth=1
	v_mbcnt_lo_u32_b32 v6, exec_lo, 0
	v_mbcnt_hi_u32_b32 v6, exec_hi, v6
	v_cmp_eq_u32_e32 vcc, 0, v6
	s_and_saveexec_b64 s[24:25], vcc
	s_cbranch_execz .LBB24_46
; %bb.45:                               ;   in Loop: Header=BB24_12 Depth=1
	v_mov_b32_e32 v6, s21
	global_atomic_smin v24, v6, s[14:15]
.LBB24_46:                              ;   in Loop: Header=BB24_12 Depth=1
	s_or_b64 exec, exec, s[24:25]
	v_mov_b32_e32 v6, 0
	v_mov_b32_e32 v7, 0x3ff00000
.LBB24_47:                              ;   in Loop: Header=BB24_12 Depth=1
	s_or_b64 exec, exec, s[22:23]
	ds_read_b128 v[26:29], v24 offset:80
	ds_read2_b64 v[30:33], v17 offset1:1
	ds_read_b64 v[8:9], v20 offset:16
	s_waitcnt lgkmcnt(0)
	v_fma_f64 v[8:9], v[26:27], v[30:31], v[8:9]
	v_fma_f64 v[8:9], v[28:29], v[32:33], v[8:9]
	v_add_f64 v[4:5], v[4:5], -v[8:9]
	v_div_scale_f64 v[8:9], s[22:23], v[6:7], v[6:7], v[4:5]
	v_rcp_f64_e32 v[26:27], v[8:9]
	v_fma_f64 v[28:29], -v[8:9], v[26:27], 1.0
	v_fma_f64 v[26:27], v[26:27], v[28:29], v[26:27]
	v_div_scale_f64 v[28:29], vcc, v[4:5], v[6:7], v[4:5]
	v_fma_f64 v[30:31], -v[8:9], v[26:27], 1.0
	v_fma_f64 v[26:27], v[26:27], v[30:31], v[26:27]
	v_mul_f64 v[30:31], v[28:29], v[26:27]
	v_fma_f64 v[8:9], -v[8:9], v[30:31], v[28:29]
	v_div_fmas_f64 v[8:9], v[8:9], v[26:27], v[30:31]
	v_div_fixup_f64 v[4:5], v[8:9], v[6:7], v[4:5]
	ds_write_b64 v17, v[4:5] offset:16
	s_waitcnt lgkmcnt(0)
	ds_read_b64 v[6:7], v22 offset:16
	ds_read_b64 v[8:9], v10
	s_waitcnt lgkmcnt(0)
	v_fma_f64 v[4:5], v[4:5], v[6:7], v[8:9]
	ds_write_b64 v10, v[4:5]
	s_waitcnt lgkmcnt(0)
	ds_read_b64 v[6:7], v24 offset:144
	ds_read_b64 v[4:5], v17 offset:24
	s_waitcnt lgkmcnt(1)
	v_cmp_neq_f64_e32 vcc, 0, v[6:7]
	v_cndmask_b32_e32 v7, v25, v7, vcc
	s_nor_b64 s[24:25], vcc, s[0:1]
	v_cndmask_b32_e32 v6, 0, v6, vcc
	s_and_saveexec_b64 s[22:23], s[24:25]
	s_cbranch_execz .LBB24_11
; %bb.48:                               ;   in Loop: Header=BB24_12 Depth=1
	v_mbcnt_lo_u32_b32 v6, exec_lo, 0
	v_mbcnt_hi_u32_b32 v6, exec_hi, v6
	v_cmp_eq_u32_e32 vcc, 0, v6
	s_and_saveexec_b64 s[24:25], vcc
	s_cbranch_execz .LBB24_10
; %bb.49:                               ;   in Loop: Header=BB24_12 Depth=1
	v_mov_b32_e32 v6, s21
	global_atomic_smin v24, v6, s[14:15]
	s_branch .LBB24_10
.LBB24_50:                              ;   in Loop: Header=BB24_12 Depth=1
                                        ; implicit-def: $sgpr20
	s_cbranch_execz .LBB24_12
.LBB24_51:
	s_waitcnt lgkmcnt(0)
	s_cmp_eq_u32 s33, 0
	s_cselect_b64 vcc, -1, 0
	v_cndmask_b32_e32 v2, v15, v13, vcc
	v_lshl_add_u32 v2, s30, 4, v2
	v_ashrrev_i32_e32 v3, 31, v2
	v_lshlrev_b64 v[2:3], 3, v[2:3]
	v_mov_b32_e32 v4, s3
	v_add_co_u32_e32 v2, vcc, s2, v2
	v_addc_co_u32_e32 v3, vcc, v4, v3, vcc
	global_load_dwordx2 v[4:5], v[2:3], off
	v_mov_b32_e32 v6, 0x140
	v_mad_u32_u24 v7, v1, 40, v6
	v_cmp_ne_u32_e32 vcc, 0, v1
	v_lshl_add_u32 v6, v0, 3, v7
	v_cmp_eq_u32_e64 s[0:1], 0, v1
	s_waitcnt vmcnt(0)
	ds_write_b64 v6, v[4:5]
	s_waitcnt lgkmcnt(0)
	s_and_saveexec_b64 s[2:3], s[0:1]
	s_cbranch_execz .LBB24_53
; %bb.52:
	v_mov_b32_e32 v17, 0
	ds_read2_b64 v[13:16], v17 offset0:40 offset1:60
	s_mov_b32 s4, 0
	s_brev_b32 s5, 8
	s_waitcnt lgkmcnt(0)
	v_add_f64 v[4:5], v[13:14], -v[15:16]
	v_cmp_gt_f64_e64 s[0:1], 0, v[4:5]
	v_xor_b32_e32 v8, 0x80000000, v5
	v_cndmask_b32_e64 v5, v5, v8, s[0:1]
	v_cmp_gt_f64_e64 s[0:1], s[4:5], v[4:5]
	s_and_b64 s[0:1], s[0:1], exec
	s_cselect_b32 s0, 0x100, 0
	v_ldexp_f64 v[4:5], v[4:5], s0
	s_cselect_b32 s0, 0xffffff80, 0
	v_rsq_f64_e32 v[8:9], v[4:5]
	v_mul_f64 v[13:14], v[4:5], v[8:9]
	v_mul_f64 v[8:9], v[8:9], 0.5
	v_fma_f64 v[15:16], -v[8:9], v[13:14], 0.5
	v_fma_f64 v[13:14], v[13:14], v[15:16], v[13:14]
	v_fma_f64 v[8:9], v[8:9], v[15:16], v[8:9]
	v_fma_f64 v[15:16], -v[13:14], v[13:14], v[4:5]
	v_fma_f64 v[13:14], v[15:16], v[8:9], v[13:14]
	v_fma_f64 v[15:16], -v[13:14], v[13:14], v[4:5]
	v_fma_f64 v[8:9], v[15:16], v[8:9], v[13:14]
	v_mov_b32_e32 v13, 0x260
	v_ldexp_f64 v[8:9], v[8:9], s0
	v_cmp_class_f64_e64 s[0:1], v[4:5], v13
	v_cndmask_b32_e64 v5, v9, v5, s[0:1]
	v_cndmask_b32_e64 v4, v8, v4, s[0:1]
	ds_write_b64 v17, v[4:5] offset:320
.LBB24_53:
	s_or_b64 exec, exec, s[2:3]
	v_mov_b32_e32 v4, 0
	s_waitcnt lgkmcnt(0)
	ds_read_b64 v[4:5], v4 offset:320
	v_mov_b32_e32 v8, 0x3ff00000
	v_cmp_ne_u32_e64 s[0:1], 0, v12
	s_add_i32 s16, s12, s13
	s_waitcnt lgkmcnt(0)
	v_cmp_neq_f64_e64 s[2:3], 0, v[4:5]
	v_cndmask_b32_e64 v5, v8, v5, s[2:3]
	s_nor_b64 s[8:9], s[2:3], s[0:1]
	v_cndmask_b32_e64 v4, 0, v4, s[2:3]
	s_and_saveexec_b64 s[4:5], s[8:9]
	s_cbranch_execz .LBB24_57
; %bb.54:
	v_mbcnt_lo_u32_b32 v4, exec_lo, 0
	v_mbcnt_hi_u32_b32 v4, exec_hi, v4
	v_cmp_eq_u32_e64 s[2:3], 0, v4
	s_and_saveexec_b64 s[8:9], s[2:3]
	s_cbranch_execz .LBB24_56
; %bb.55:
	v_mov_b32_e32 v4, 0
	v_mov_b32_e32 v5, s16
	global_atomic_smin v4, v5, s[14:15]
.LBB24_56:
	s_or_b64 exec, exec, s[8:9]
	v_mov_b32_e32 v4, 0
	v_mov_b32_e32 v5, 0x3ff00000
.LBB24_57:
	s_or_b64 exec, exec, s[4:5]
	v_mov_b32_e32 v8, 0x140
	v_mad_u32_u24 v8, v0, 40, v8
	s_and_saveexec_b64 s[2:3], vcc
	s_cbranch_execz .LBB24_59
; %bb.58:
	ds_read_b64 v[13:14], v7
	ds_read_b64 v[15:16], v11
	s_waitcnt lgkmcnt(0)
	v_add_f64 v[13:14], v[13:14], -v[15:16]
	v_div_scale_f64 v[15:16], s[4:5], v[4:5], v[4:5], v[13:14]
	v_rcp_f64_e32 v[17:18], v[15:16]
	v_fma_f64 v[19:20], -v[15:16], v[17:18], 1.0
	v_fma_f64 v[17:18], v[17:18], v[19:20], v[17:18]
	v_div_scale_f64 v[19:20], vcc, v[13:14], v[4:5], v[13:14]
	v_fma_f64 v[21:22], -v[15:16], v[17:18], 1.0
	v_fma_f64 v[17:18], v[17:18], v[21:22], v[17:18]
	v_mul_f64 v[21:22], v[19:20], v[17:18]
	v_fma_f64 v[15:16], -v[15:16], v[21:22], v[19:20]
	v_div_fmas_f64 v[15:16], v[15:16], v[17:18], v[21:22]
	v_div_fixup_f64 v[4:5], v[15:16], v[4:5], v[13:14]
	ds_write_b64 v7, v[4:5]
	s_waitcnt lgkmcnt(0)
	ds_read_b64 v[13:14], v8
	ds_read_b64 v[15:16], v10
	s_waitcnt lgkmcnt(0)
	v_fma_f64 v[4:5], v[4:5], v[13:14], v[15:16]
	ds_write_b64 v10, v[4:5]
.LBB24_59:
	s_or_b64 exec, exec, s[2:3]
	v_cmp_eq_u32_e32 vcc, 1, v1
	s_waitcnt lgkmcnt(0)
	s_and_saveexec_b64 s[2:3], vcc
	s_cbranch_execz .LBB24_61
; %bb.60:
	v_mov_b32_e32 v9, 0
	ds_read2_b64 v[13:16], v9 offset0:46 offset1:66
	s_mov_b32 s4, 0
	s_brev_b32 s5, 8
	s_waitcnt lgkmcnt(0)
	v_add_f64 v[4:5], v[13:14], -v[15:16]
	v_cmp_gt_f64_e32 vcc, 0, v[4:5]
	v_xor_b32_e32 v13, 0x80000000, v5
	v_cndmask_b32_e32 v5, v5, v13, vcc
	v_cmp_gt_f64_e32 vcc, s[4:5], v[4:5]
	s_and_b64 s[4:5], vcc, exec
	s_cselect_b32 s4, 0x100, 0
	v_ldexp_f64 v[4:5], v[4:5], s4
	s_cselect_b32 s4, 0xffffff80, 0
	v_rsq_f64_e32 v[13:14], v[4:5]
	v_mul_f64 v[15:16], v[4:5], v[13:14]
	v_mul_f64 v[13:14], v[13:14], 0.5
	v_fma_f64 v[17:18], -v[13:14], v[15:16], 0.5
	v_fma_f64 v[15:16], v[15:16], v[17:18], v[15:16]
	v_fma_f64 v[13:14], v[13:14], v[17:18], v[13:14]
	v_fma_f64 v[17:18], -v[15:16], v[15:16], v[4:5]
	v_fma_f64 v[15:16], v[17:18], v[13:14], v[15:16]
	v_fma_f64 v[17:18], -v[15:16], v[15:16], v[4:5]
	v_fma_f64 v[13:14], v[17:18], v[13:14], v[15:16]
	v_mov_b32_e32 v15, 0x260
	v_cmp_class_f64_e32 vcc, v[4:5], v15
	v_ldexp_f64 v[13:14], v[13:14], s4
	v_cndmask_b32_e32 v5, v14, v5, vcc
	v_cndmask_b32_e32 v4, v13, v4, vcc
	ds_write_b64 v9, v[4:5] offset:368
.LBB24_61:
	s_or_b64 exec, exec, s[2:3]
	v_mov_b32_e32 v4, 0
	s_waitcnt lgkmcnt(0)
	ds_read_b64 v[4:5], v4 offset:368
	v_mov_b32_e32 v9, 0x3ff00000
	s_waitcnt lgkmcnt(0)
	v_cmp_neq_f64_e32 vcc, 0, v[4:5]
	v_cndmask_b32_e32 v5, v9, v5, vcc
	s_nor_b64 s[4:5], vcc, s[0:1]
	v_cndmask_b32_e32 v4, 0, v4, vcc
	s_and_saveexec_b64 s[2:3], s[4:5]
	s_cbranch_execz .LBB24_65
; %bb.62:
	v_mbcnt_lo_u32_b32 v4, exec_lo, 0
	v_mbcnt_hi_u32_b32 v4, exec_hi, v4
	v_cmp_eq_u32_e32 vcc, 0, v4
	s_and_saveexec_b64 s[4:5], vcc
	s_cbranch_execz .LBB24_64
; %bb.63:
	v_mov_b32_e32 v4, 0
	v_mov_b32_e32 v5, s16
	global_atomic_smin v4, v5, s[14:15]
.LBB24_64:
	s_or_b64 exec, exec, s[4:5]
	v_mov_b32_e32 v4, 0
	v_mov_b32_e32 v5, 0x3ff00000
.LBB24_65:
	s_or_b64 exec, exec, s[2:3]
	v_cmp_lt_u32_e32 vcc, 1, v1
	s_and_saveexec_b64 s[2:3], vcc
	s_cbranch_execz .LBB24_67
; %bb.66:
	ds_read_b64 v[13:14], v7 offset:8
	ds_read_b64 v[15:16], v11 offset:8
	s_waitcnt lgkmcnt(0)
	v_add_f64 v[13:14], v[13:14], -v[15:16]
	v_div_scale_f64 v[15:16], s[4:5], v[4:5], v[4:5], v[13:14]
	v_rcp_f64_e32 v[17:18], v[15:16]
	v_fma_f64 v[19:20], -v[15:16], v[17:18], 1.0
	v_fma_f64 v[17:18], v[17:18], v[19:20], v[17:18]
	v_div_scale_f64 v[19:20], vcc, v[13:14], v[4:5], v[13:14]
	v_fma_f64 v[21:22], -v[15:16], v[17:18], 1.0
	v_fma_f64 v[17:18], v[17:18], v[21:22], v[17:18]
	v_mul_f64 v[21:22], v[19:20], v[17:18]
	v_fma_f64 v[15:16], -v[15:16], v[21:22], v[19:20]
	v_div_fmas_f64 v[15:16], v[15:16], v[17:18], v[21:22]
	v_div_fixup_f64 v[4:5], v[15:16], v[4:5], v[13:14]
	ds_write_b64 v7, v[4:5] offset:8
	s_waitcnt lgkmcnt(0)
	ds_read_b64 v[13:14], v8 offset:8
	ds_read_b64 v[15:16], v10
	s_waitcnt lgkmcnt(0)
	v_fma_f64 v[4:5], v[4:5], v[13:14], v[15:16]
	ds_write_b64 v10, v[4:5]
.LBB24_67:
	s_or_b64 exec, exec, s[2:3]
	v_cmp_eq_u32_e32 vcc, 2, v1
	s_waitcnt lgkmcnt(0)
	s_and_saveexec_b64 s[2:3], vcc
	s_cbranch_execz .LBB24_69
; %bb.68:
	v_mov_b32_e32 v9, 0
	ds_read2_b64 v[13:16], v9 offset0:52 offset1:72
	s_mov_b32 s4, 0
	s_brev_b32 s5, 8
	s_waitcnt lgkmcnt(0)
	v_add_f64 v[4:5], v[13:14], -v[15:16]
	v_cmp_gt_f64_e32 vcc, 0, v[4:5]
	v_xor_b32_e32 v13, 0x80000000, v5
	v_cndmask_b32_e32 v5, v5, v13, vcc
	v_cmp_gt_f64_e32 vcc, s[4:5], v[4:5]
	s_and_b64 s[4:5], vcc, exec
	s_cselect_b32 s4, 0x100, 0
	v_ldexp_f64 v[4:5], v[4:5], s4
	s_cselect_b32 s4, 0xffffff80, 0
	v_rsq_f64_e32 v[13:14], v[4:5]
	v_mul_f64 v[15:16], v[4:5], v[13:14]
	v_mul_f64 v[13:14], v[13:14], 0.5
	v_fma_f64 v[17:18], -v[13:14], v[15:16], 0.5
	v_fma_f64 v[15:16], v[15:16], v[17:18], v[15:16]
	v_fma_f64 v[13:14], v[13:14], v[17:18], v[13:14]
	v_fma_f64 v[17:18], -v[15:16], v[15:16], v[4:5]
	v_fma_f64 v[15:16], v[17:18], v[13:14], v[15:16]
	v_fma_f64 v[17:18], -v[15:16], v[15:16], v[4:5]
	v_fma_f64 v[13:14], v[17:18], v[13:14], v[15:16]
	v_mov_b32_e32 v15, 0x260
	v_cmp_class_f64_e32 vcc, v[4:5], v15
	v_ldexp_f64 v[13:14], v[13:14], s4
	v_cndmask_b32_e32 v5, v14, v5, vcc
	v_cndmask_b32_e32 v4, v13, v4, vcc
	ds_write_b64 v9, v[4:5] offset:416
.LBB24_69:
	s_or_b64 exec, exec, s[2:3]
	v_mov_b32_e32 v4, 0
	s_waitcnt lgkmcnt(0)
	ds_read_b64 v[4:5], v4 offset:416
	v_mov_b32_e32 v9, 0x3ff00000
	s_waitcnt lgkmcnt(0)
	v_cmp_neq_f64_e32 vcc, 0, v[4:5]
	v_cndmask_b32_e32 v5, v9, v5, vcc
	s_nor_b64 s[4:5], vcc, s[0:1]
	v_cndmask_b32_e32 v4, 0, v4, vcc
	s_and_saveexec_b64 s[2:3], s[4:5]
	s_cbranch_execz .LBB24_73
; %bb.70:
	v_mbcnt_lo_u32_b32 v4, exec_lo, 0
	v_mbcnt_hi_u32_b32 v4, exec_hi, v4
	v_cmp_eq_u32_e32 vcc, 0, v4
	s_and_saveexec_b64 s[4:5], vcc
	s_cbranch_execz .LBB24_72
; %bb.71:
	v_mov_b32_e32 v4, 0
	v_mov_b32_e32 v5, s16
	global_atomic_smin v4, v5, s[14:15]
.LBB24_72:
	s_or_b64 exec, exec, s[4:5]
	v_mov_b32_e32 v4, 0
	v_mov_b32_e32 v5, 0x3ff00000
.LBB24_73:
	s_or_b64 exec, exec, s[2:3]
	v_cmp_lt_u32_e32 vcc, 2, v1
	s_and_saveexec_b64 s[2:3], vcc
	s_cbranch_execz .LBB24_75
; %bb.74:
	ds_read_b64 v[13:14], v7 offset:16
	ds_read_b64 v[15:16], v11 offset:16
	s_waitcnt lgkmcnt(0)
	v_add_f64 v[13:14], v[13:14], -v[15:16]
	v_div_scale_f64 v[15:16], s[4:5], v[4:5], v[4:5], v[13:14]
	v_rcp_f64_e32 v[17:18], v[15:16]
	v_fma_f64 v[19:20], -v[15:16], v[17:18], 1.0
	v_fma_f64 v[17:18], v[17:18], v[19:20], v[17:18]
	v_div_scale_f64 v[19:20], vcc, v[13:14], v[4:5], v[13:14]
	v_fma_f64 v[21:22], -v[15:16], v[17:18], 1.0
	v_fma_f64 v[17:18], v[17:18], v[21:22], v[17:18]
	v_mul_f64 v[21:22], v[19:20], v[17:18]
	v_fma_f64 v[15:16], -v[15:16], v[21:22], v[19:20]
	v_div_fmas_f64 v[15:16], v[15:16], v[17:18], v[21:22]
	v_div_fixup_f64 v[4:5], v[15:16], v[4:5], v[13:14]
	ds_write_b64 v7, v[4:5] offset:16
	s_waitcnt lgkmcnt(0)
	ds_read_b64 v[13:14], v8 offset:16
	ds_read_b64 v[15:16], v10
	s_waitcnt lgkmcnt(0)
	v_fma_f64 v[4:5], v[4:5], v[13:14], v[15:16]
	ds_write_b64 v10, v[4:5]
.LBB24_75:
	s_or_b64 exec, exec, s[2:3]
	v_cmp_eq_u32_e32 vcc, 3, v1
	s_waitcnt lgkmcnt(0)
	s_and_saveexec_b64 s[2:3], vcc
	s_cbranch_execz .LBB24_77
; %bb.76:
	v_mov_b32_e32 v9, 0
	ds_read2_b64 v[13:16], v9 offset0:58 offset1:78
	s_mov_b32 s4, 0
	s_brev_b32 s5, 8
	s_waitcnt lgkmcnt(0)
	v_add_f64 v[4:5], v[13:14], -v[15:16]
	v_cmp_gt_f64_e32 vcc, 0, v[4:5]
	v_xor_b32_e32 v13, 0x80000000, v5
	v_cndmask_b32_e32 v5, v5, v13, vcc
	v_cmp_gt_f64_e32 vcc, s[4:5], v[4:5]
	s_and_b64 s[4:5], vcc, exec
	s_cselect_b32 s4, 0x100, 0
	v_ldexp_f64 v[4:5], v[4:5], s4
	s_cselect_b32 s4, 0xffffff80, 0
	v_rsq_f64_e32 v[13:14], v[4:5]
	v_mul_f64 v[15:16], v[4:5], v[13:14]
	v_mul_f64 v[13:14], v[13:14], 0.5
	v_fma_f64 v[17:18], -v[13:14], v[15:16], 0.5
	v_fma_f64 v[15:16], v[15:16], v[17:18], v[15:16]
	v_fma_f64 v[13:14], v[13:14], v[17:18], v[13:14]
	v_fma_f64 v[17:18], -v[15:16], v[15:16], v[4:5]
	v_fma_f64 v[15:16], v[17:18], v[13:14], v[15:16]
	v_fma_f64 v[17:18], -v[15:16], v[15:16], v[4:5]
	v_fma_f64 v[13:14], v[17:18], v[13:14], v[15:16]
	v_mov_b32_e32 v15, 0x260
	v_cmp_class_f64_e32 vcc, v[4:5], v15
	v_ldexp_f64 v[13:14], v[13:14], s4
	v_cndmask_b32_e32 v5, v14, v5, vcc
	v_cndmask_b32_e32 v4, v13, v4, vcc
	ds_write_b64 v9, v[4:5] offset:464
.LBB24_77:
	s_or_b64 exec, exec, s[2:3]
	v_mov_b32_e32 v4, 0
	s_waitcnt lgkmcnt(0)
	ds_read_b64 v[4:5], v4 offset:464
	v_mov_b32_e32 v9, 0x3ff00000
	s_waitcnt lgkmcnt(0)
	v_cmp_neq_f64_e32 vcc, 0, v[4:5]
	v_cndmask_b32_e32 v5, v9, v5, vcc
	s_nor_b64 s[2:3], vcc, s[0:1]
	v_cndmask_b32_e32 v4, 0, v4, vcc
	s_and_saveexec_b64 s[0:1], s[2:3]
	s_cbranch_execz .LBB24_81
; %bb.78:
	v_mbcnt_lo_u32_b32 v4, exec_lo, 0
	v_mbcnt_hi_u32_b32 v4, exec_hi, v4
	v_cmp_eq_u32_e32 vcc, 0, v4
	s_and_saveexec_b64 s[2:3], vcc
	s_cbranch_execz .LBB24_80
; %bb.79:
	v_mov_b32_e32 v4, 0
	v_mov_b32_e32 v5, s16
	global_atomic_smin v4, v5, s[14:15]
.LBB24_80:
	s_or_b64 exec, exec, s[2:3]
	v_mov_b32_e32 v4, 0
	v_mov_b32_e32 v5, 0x3ff00000
.LBB24_81:
	s_or_b64 exec, exec, s[0:1]
	v_cmp_lt_u32_e32 vcc, 3, v1
	s_and_saveexec_b64 s[0:1], vcc
	s_cbranch_execz .LBB24_83
; %bb.82:
	ds_read_b64 v[13:14], v7 offset:24
	ds_read_b64 v[15:16], v11 offset:24
	s_waitcnt lgkmcnt(0)
	v_add_f64 v[13:14], v[13:14], -v[15:16]
	v_div_scale_f64 v[15:16], s[2:3], v[4:5], v[4:5], v[13:14]
	v_rcp_f64_e32 v[17:18], v[15:16]
	v_fma_f64 v[19:20], -v[15:16], v[17:18], 1.0
	v_fma_f64 v[17:18], v[17:18], v[19:20], v[17:18]
	v_div_scale_f64 v[19:20], vcc, v[13:14], v[4:5], v[13:14]
	v_fma_f64 v[21:22], -v[15:16], v[17:18], 1.0
	v_fma_f64 v[17:18], v[17:18], v[21:22], v[17:18]
	v_mul_f64 v[21:22], v[19:20], v[17:18]
	v_fma_f64 v[15:16], -v[15:16], v[21:22], v[19:20]
	v_div_fmas_f64 v[15:16], v[15:16], v[17:18], v[21:22]
	v_div_fixup_f64 v[4:5], v[15:16], v[4:5], v[13:14]
	ds_write_b64 v7, v[4:5] offset:24
	s_waitcnt lgkmcnt(0)
	ds_read_b64 v[7:8], v8 offset:24
	ds_read_b64 v[13:14], v10
	s_waitcnt lgkmcnt(0)
	v_fma_f64 v[4:5], v[4:5], v[7:8], v[13:14]
	ds_write_b64 v10, v[4:5]
.LBB24_83:
	s_or_b64 exec, exec, s[0:1]
	s_waitcnt lgkmcnt(0)
	ds_read_b64 v[4:5], v6
	v_cmp_eq_u32_e32 vcc, 0, v12
	s_waitcnt lgkmcnt(0)
	global_store_dwordx2 v[2:3], v[4:5], off
	s_and_saveexec_b64 s[0:1], vcc
	s_cbranch_execz .LBB24_85
; %bb.84:
	s_add_u32 s2, s10, s6
	s_addc_u32 s3, s11, s7
	v_mov_b32_e32 v2, 0
	v_mov_b32_e32 v3, 1
	s_waitcnt vmcnt(0)
	global_store_dword v2, v3, s[2:3]
.LBB24_85:
	s_or_b64 exec, exec, s[0:1]
	s_branch .LBB24_7
.LBB24_86:
	v_or_b32_e32 v0, v0, v1
	v_cmp_eq_u32_e32 vcc, 0, v0
	s_and_saveexec_b64 s[0:1], vcc
	s_cbranch_execz .LBB24_7
; %bb.87:
	v_mbcnt_lo_u32_b32 v0, exec_lo, 0
	v_mbcnt_hi_u32_b32 v0, exec_hi, v0
	v_cmp_eq_u32_e32 vcc, 0, v0
	s_and_saveexec_b64 s[0:1], vcc
	s_cbranch_execz .LBB24_89
; %bb.88:
	s_add_i32 s2, s12, s13
	v_mov_b32_e32 v0, 0
	v_mov_b32_e32 v1, s2
	global_atomic_smin v0, v1, s[14:15]
.LBB24_89:
	s_or_b64 exec, exec, s[0:1]
	s_add_u32 s0, s10, s6
	s_addc_u32 s1, s11, s7
	v_mov_b32_e32 v0, 0
	v_mov_b32_e32 v1, 1
	s_waitcnt vmcnt(0)
	global_store_dword v0, v1, s[0:1]
	s_endpgm
	.section	.rodata,"a",@progbits
	.p2align	6, 0x0
	.amdhsa_kernel _ZN9rocsparseL26bsric0_2_8_unrolled_kernelILi16ELi32ELi4EdEEv20rocsparse_direction_iiPKiS3_PT2_S3_PiS3_S6_21rocsparse_index_base_
		.amdhsa_group_segment_fixed_size 1024
		.amdhsa_private_segment_fixed_size 0
		.amdhsa_kernarg_size 76
		.amdhsa_user_sgpr_count 6
		.amdhsa_user_sgpr_private_segment_buffer 1
		.amdhsa_user_sgpr_dispatch_ptr 0
		.amdhsa_user_sgpr_queue_ptr 0
		.amdhsa_user_sgpr_kernarg_segment_ptr 1
		.amdhsa_user_sgpr_dispatch_id 0
		.amdhsa_user_sgpr_flat_scratch_init 0
		.amdhsa_user_sgpr_private_segment_size 0
		.amdhsa_uses_dynamic_stack 0
		.amdhsa_system_sgpr_private_segment_wavefront_offset 0
		.amdhsa_system_sgpr_workgroup_id_x 1
		.amdhsa_system_sgpr_workgroup_id_y 0
		.amdhsa_system_sgpr_workgroup_id_z 0
		.amdhsa_system_sgpr_workgroup_info 0
		.amdhsa_system_vgpr_workitem_id 1
		.amdhsa_next_free_vgpr 45
		.amdhsa_next_free_sgpr 40
		.amdhsa_reserve_vcc 1
		.amdhsa_reserve_flat_scratch 0
		.amdhsa_float_round_mode_32 0
		.amdhsa_float_round_mode_16_64 0
		.amdhsa_float_denorm_mode_32 3
		.amdhsa_float_denorm_mode_16_64 3
		.amdhsa_dx10_clamp 1
		.amdhsa_ieee_mode 1
		.amdhsa_fp16_overflow 0
		.amdhsa_exception_fp_ieee_invalid_op 0
		.amdhsa_exception_fp_denorm_src 0
		.amdhsa_exception_fp_ieee_div_zero 0
		.amdhsa_exception_fp_ieee_overflow 0
		.amdhsa_exception_fp_ieee_underflow 0
		.amdhsa_exception_fp_ieee_inexact 0
		.amdhsa_exception_int_div_zero 0
	.end_amdhsa_kernel
	.section	.text._ZN9rocsparseL26bsric0_2_8_unrolled_kernelILi16ELi32ELi4EdEEv20rocsparse_direction_iiPKiS3_PT2_S3_PiS3_S6_21rocsparse_index_base_,"axG",@progbits,_ZN9rocsparseL26bsric0_2_8_unrolled_kernelILi16ELi32ELi4EdEEv20rocsparse_direction_iiPKiS3_PT2_S3_PiS3_S6_21rocsparse_index_base_,comdat
.Lfunc_end24:
	.size	_ZN9rocsparseL26bsric0_2_8_unrolled_kernelILi16ELi32ELi4EdEEv20rocsparse_direction_iiPKiS3_PT2_S3_PiS3_S6_21rocsparse_index_base_, .Lfunc_end24-_ZN9rocsparseL26bsric0_2_8_unrolled_kernelILi16ELi32ELi4EdEEv20rocsparse_direction_iiPKiS3_PT2_S3_PiS3_S6_21rocsparse_index_base_
                                        ; -- End function
	.set _ZN9rocsparseL26bsric0_2_8_unrolled_kernelILi16ELi32ELi4EdEEv20rocsparse_direction_iiPKiS3_PT2_S3_PiS3_S6_21rocsparse_index_base_.num_vgpr, 45
	.set _ZN9rocsparseL26bsric0_2_8_unrolled_kernelILi16ELi32ELi4EdEEv20rocsparse_direction_iiPKiS3_PT2_S3_PiS3_S6_21rocsparse_index_base_.num_agpr, 0
	.set _ZN9rocsparseL26bsric0_2_8_unrolled_kernelILi16ELi32ELi4EdEEv20rocsparse_direction_iiPKiS3_PT2_S3_PiS3_S6_21rocsparse_index_base_.numbered_sgpr, 40
	.set _ZN9rocsparseL26bsric0_2_8_unrolled_kernelILi16ELi32ELi4EdEEv20rocsparse_direction_iiPKiS3_PT2_S3_PiS3_S6_21rocsparse_index_base_.num_named_barrier, 0
	.set _ZN9rocsparseL26bsric0_2_8_unrolled_kernelILi16ELi32ELi4EdEEv20rocsparse_direction_iiPKiS3_PT2_S3_PiS3_S6_21rocsparse_index_base_.private_seg_size, 0
	.set _ZN9rocsparseL26bsric0_2_8_unrolled_kernelILi16ELi32ELi4EdEEv20rocsparse_direction_iiPKiS3_PT2_S3_PiS3_S6_21rocsparse_index_base_.uses_vcc, 1
	.set _ZN9rocsparseL26bsric0_2_8_unrolled_kernelILi16ELi32ELi4EdEEv20rocsparse_direction_iiPKiS3_PT2_S3_PiS3_S6_21rocsparse_index_base_.uses_flat_scratch, 0
	.set _ZN9rocsparseL26bsric0_2_8_unrolled_kernelILi16ELi32ELi4EdEEv20rocsparse_direction_iiPKiS3_PT2_S3_PiS3_S6_21rocsparse_index_base_.has_dyn_sized_stack, 0
	.set _ZN9rocsparseL26bsric0_2_8_unrolled_kernelILi16ELi32ELi4EdEEv20rocsparse_direction_iiPKiS3_PT2_S3_PiS3_S6_21rocsparse_index_base_.has_recursion, 0
	.set _ZN9rocsparseL26bsric0_2_8_unrolled_kernelILi16ELi32ELi4EdEEv20rocsparse_direction_iiPKiS3_PT2_S3_PiS3_S6_21rocsparse_index_base_.has_indirect_call, 0
	.section	.AMDGPU.csdata,"",@progbits
; Kernel info:
; codeLenInByte = 5128
; TotalNumSgprs: 44
; NumVgprs: 45
; ScratchSize: 0
; MemoryBound: 1
; FloatMode: 240
; IeeeMode: 1
; LDSByteSize: 1024 bytes/workgroup (compile time only)
; SGPRBlocks: 5
; VGPRBlocks: 11
; NumSGPRsForWavesPerEU: 44
; NumVGPRsForWavesPerEU: 45
; Occupancy: 5
; WaveLimiterHint : 1
; COMPUTE_PGM_RSRC2:SCRATCH_EN: 0
; COMPUTE_PGM_RSRC2:USER_SGPR: 6
; COMPUTE_PGM_RSRC2:TRAP_HANDLER: 0
; COMPUTE_PGM_RSRC2:TGID_X_EN: 1
; COMPUTE_PGM_RSRC2:TGID_Y_EN: 0
; COMPUTE_PGM_RSRC2:TGID_Z_EN: 0
; COMPUTE_PGM_RSRC2:TIDIG_COMP_CNT: 1
	.section	.text._ZN9rocsparseL26bsric0_2_8_unrolled_kernelILi25ELi32ELi5EdEEv20rocsparse_direction_iiPKiS3_PT2_S3_PiS3_S6_21rocsparse_index_base_,"axG",@progbits,_ZN9rocsparseL26bsric0_2_8_unrolled_kernelILi25ELi32ELi5EdEEv20rocsparse_direction_iiPKiS3_PT2_S3_PiS3_S6_21rocsparse_index_base_,comdat
	.globl	_ZN9rocsparseL26bsric0_2_8_unrolled_kernelILi25ELi32ELi5EdEEv20rocsparse_direction_iiPKiS3_PT2_S3_PiS3_S6_21rocsparse_index_base_ ; -- Begin function _ZN9rocsparseL26bsric0_2_8_unrolled_kernelILi25ELi32ELi5EdEEv20rocsparse_direction_iiPKiS3_PT2_S3_PiS3_S6_21rocsparse_index_base_
	.p2align	8
	.type	_ZN9rocsparseL26bsric0_2_8_unrolled_kernelILi25ELi32ELi5EdEEv20rocsparse_direction_iiPKiS3_PT2_S3_PiS3_S6_21rocsparse_index_base_,@function
_ZN9rocsparseL26bsric0_2_8_unrolled_kernelILi25ELi32ELi5EdEEv20rocsparse_direction_iiPKiS3_PT2_S3_PiS3_S6_21rocsparse_index_base_: ; @_ZN9rocsparseL26bsric0_2_8_unrolled_kernelILi25ELi32ELi5EdEEv20rocsparse_direction_iiPKiS3_PT2_S3_PiS3_S6_21rocsparse_index_base_
; %bb.0:
	s_load_dwordx8 s[8:15], s[4:5], 0x28
	s_mov_b32 s7, 0
	s_lshl_b64 s[0:1], s[6:7], 2
	s_waitcnt lgkmcnt(0)
	s_add_u32 s0, s12, s0
	s_addc_u32 s1, s13, s1
	s_load_dword s12, s[0:1], 0x0
	s_waitcnt lgkmcnt(0)
	s_ashr_i32 s13, s12, 31
	s_lshl_b64 s[6:7], s[12:13], 2
	s_add_u32 s0, s8, s6
	s_addc_u32 s1, s9, s7
	s_load_dword s30, s[0:1], 0x0
	s_load_dword s13, s[4:5], 0x48
	s_waitcnt lgkmcnt(0)
	s_cmp_lg_u32 s30, -1
	s_cbranch_scc0 .LBB25_99
; %bb.1:
	s_load_dwordx4 s[16:19], s[4:5], 0x10
	s_load_dwordx2 s[20:21], s[4:5], 0x20
	v_mad_u32_u24 v12, v1, 5, v0
	s_waitcnt lgkmcnt(0)
	s_add_u32 s0, s16, s6
	s_addc_u32 s1, s17, s7
	s_load_dword s0, s[0:1], 0x0
	s_waitcnt lgkmcnt(0)
	s_sub_i32 s31, s0, s13
	v_add_u32_e32 v2, s31, v12
	v_cmp_ge_i32_e32 vcc, s30, v2
	s_and_saveexec_b64 s[0:1], vcc
	s_cbranch_execz .LBB25_4
; %bb.2:
	v_mov_b32_e32 v3, 0x4c0
	v_lshl_add_u32 v5, v12, 2, v3
	v_ashrrev_i32_e32 v3, 31, v2
	v_lshlrev_b64 v[3:4], 2, v[2:3]
	v_mov_b32_e32 v6, s19
	v_add_co_u32_e32 v3, vcc, s18, v3
	v_addc_co_u32_e32 v4, vcc, v6, v4, vcc
	s_mov_b64 s[2:3], 0
.LBB25_3:                               ; =>This Inner Loop Header: Depth=1
	global_load_dword v6, v[3:4], off
	v_add_co_u32_e32 v3, vcc, 0x64, v3
	v_add_u32_e32 v2, 25, v2
	v_addc_co_u32_e32 v4, vcc, 0, v4, vcc
	v_cmp_lt_i32_e32 vcc, s30, v2
	s_or_b64 s[2:3], vcc, s[2:3]
	s_waitcnt vmcnt(0)
	v_subrev_u32_e32 v6, s13, v6
	ds_write_b32 v5, v6
	v_add_u32_e32 v5, 0x64, v5
	s_andn2_b64 exec, exec, s[2:3]
	s_cbranch_execnz .LBB25_3
.LBB25_4:
	s_or_b64 exec, exec, s[0:1]
	s_load_dword s33, s[4:5], 0x0
	v_mov_b32_e32 v2, 0x2d0
	v_mad_u32_u24 v15, v1, 48, v2
	v_mov_b32_e32 v2, 0
	v_mul_u32_u24_e32 v16, 5, v1
	v_lshl_add_u32 v14, v0, 3, v15
	v_mov_b32_e32 v3, v2
	s_cmp_ge_i32 s31, s30
	v_mad_u32_u24 v13, v0, 5, v1
	ds_write_b64 v14, v[2:3]
	s_waitcnt lgkmcnt(0)
	s_cbranch_scc1 .LBB25_51
; %bb.5:
	s_cmp_lg_u32 s33, 0
	s_cselect_b64 s[2:3], -1, 0
	s_cmp_eq_u32 s33, 0
	v_mov_b32_e32 v4, 0x1e0
	v_mov_b32_e32 v6, 0xf0
	v_mad_u32_u24 v3, v0, 5, v1
	v_mad_u32_u24 v18, v1, 48, v4
	v_lshlrev_b32_e32 v5, 3, v0
	v_mad_u32_u24 v21, v1, 48, v6
	v_mad_u32_u24 v23, v0, 48, v4
	v_or_b32_e32 v4, v0, v1
	s_cselect_b64 vcc, -1, 0
	v_mul_u32_u24_e32 v17, 5, v0
	v_add_u32_e32 v19, v18, v5
	v_mad_u32_u24 v20, v1, 48, v5
	v_add_u32_e32 v22, v21, v5
	v_cmp_ne_u32_e64 s[0:1], 0, v4
	v_cndmask_b32_e32 v3, v3, v12, vcc
	v_mov_b32_e32 v24, 0x3ff00000
	s_mov_b32 s4, s31
	s_branch .LBB25_8
.LBB25_6:                               ;   in Loop: Header=BB25_8 Depth=1
	s_or_b64 exec, exec, s[24:25]
	v_mov_b32_e32 v8, 0
	v_mov_b32_e32 v9, 0x3ff00000
.LBB25_7:                               ;   in Loop: Header=BB25_8 Depth=1
	s_or_b64 exec, exec, s[22:23]
	ds_read_b128 v[25:28], v2 offset:192
	ds_read_b64 v[10:11], v21 offset:32
	ds_read_b128 v[29:32], v18
	ds_read_b128 v[33:36], v18 offset:16
	s_add_i32 s4, s4, 1
	s_cmp_ge_i32 s4, s30
	s_waitcnt lgkmcnt(1)
	v_fma_f64 v[10:11], v[25:26], v[29:30], v[10:11]
	v_fma_f64 v[10:11], v[27:28], v[31:32], v[10:11]
	ds_read_b128 v[25:28], v2 offset:208
	s_waitcnt lgkmcnt(0)
	v_fma_f64 v[10:11], v[25:26], v[33:34], v[10:11]
	v_fma_f64 v[10:11], v[27:28], v[35:36], v[10:11]
	v_add_f64 v[6:7], v[6:7], -v[10:11]
	v_div_scale_f64 v[10:11], s[22:23], v[8:9], v[8:9], v[6:7]
	s_cselect_b64 s[22:23], -1, 0
	v_rcp_f64_e32 v[25:26], v[10:11]
	v_fma_f64 v[27:28], -v[10:11], v[25:26], 1.0
	v_fma_f64 v[25:26], v[25:26], v[27:28], v[25:26]
	v_div_scale_f64 v[27:28], vcc, v[6:7], v[8:9], v[6:7]
	v_fma_f64 v[29:30], -v[10:11], v[25:26], 1.0
	v_fma_f64 v[25:26], v[25:26], v[29:30], v[25:26]
	v_mul_f64 v[29:30], v[27:28], v[25:26]
	v_fma_f64 v[10:11], -v[10:11], v[29:30], v[27:28]
	v_div_fmas_f64 v[10:11], v[10:11], v[25:26], v[29:30]
	v_div_fixup_f64 v[6:7], v[10:11], v[8:9], v[6:7]
	ds_write_b64 v18, v[6:7] offset:32
	s_waitcnt lgkmcnt(0)
	ds_read_b64 v[8:9], v23 offset:32
	ds_read_b64 v[10:11], v14
	s_waitcnt lgkmcnt(0)
	v_fma_f64 v[6:7], v[6:7], v[8:9], v[10:11]
	ds_write_b64 v14, v[6:7]
	s_waitcnt lgkmcnt(0)
	ds_read_b64 v[6:7], v19
	s_waitcnt lgkmcnt(0)
	global_store_dwordx2 v[4:5], v[6:7], off
	s_waitcnt vmcnt(0)
	buffer_wbinvl1_vol
	s_and_b64 vcc, exec, s[22:23]
	s_cbranch_vccnz .LBB25_51
.LBB25_8:                               ; =>This Loop Header: Depth=1
                                        ;     Child Loop BB25_11 Depth 2
                                        ;     Child Loop BB25_22 Depth 2
                                        ;     Child Loop BB25_25 Depth 2
	s_ashr_i32 s5, s4, 31
	s_lshl_b64 s[22:23], s[4:5], 2
	s_add_u32 s22, s18, s22
	s_addc_u32 s23, s19, s23
	s_load_dword s5, s[22:23], 0x0
	s_waitcnt lgkmcnt(0)
	s_sub_i32 s24, s5, s13
	s_ashr_i32 s25, s24, 31
	s_lshl_b64 s[22:23], s[24:25], 2
	s_add_u32 s26, s8, s22
	s_addc_u32 s27, s9, s23
	s_load_dword s25, s[26:27], 0x0
	s_waitcnt lgkmcnt(0)
	s_cmp_eq_u32 s25, -1
	s_cbranch_scc1 .LBB25_50
; %bb.9:                                ;   in Loop: Header=BB25_8 Depth=1
	v_mad_u64_u32 v[4:5], s[26:27], s4, 25, v[3:4]
	v_mov_b32_e32 v6, s21
	s_add_u32 s26, s16, s22
	v_ashrrev_i32_e32 v5, 31, v4
	v_lshlrev_b64 v[4:5], 3, v[4:5]
	s_addc_u32 s27, s17, s23
	v_add_co_u32_e32 v4, vcc, s20, v4
	v_addc_co_u32_e32 v5, vcc, v6, v5, vcc
	global_load_dwordx2 v[6:7], v[4:5], off
	s_load_dword s26, s[26:27], 0x0
	ds_read_b32 v8, v2 offset:1216
	s_mov_b32 s27, 0
	s_waitcnt lgkmcnt(0)
	s_sub_i32 s26, s26, s13
	s_cmp_le_i32 s26, s25
	v_cmp_ge_i32_e32 vcc, s24, v8
	s_cselect_b64 s[28:29], -1, 0
	s_and_b64 s[28:29], s[28:29], vcc
	s_andn2_b64 vcc, exec, s[28:29]
	s_waitcnt vmcnt(0)
	ds_write_b64 v19, v[6:7]
	s_cbranch_vccnz .LBB25_21
; %bb.10:                               ;   in Loop: Header=BB25_8 Depth=1
	s_mov_b32 s34, 0
	s_mov_b32 s35, 0
.LBB25_11:                              ;   Parent Loop BB25_8 Depth=1
                                        ; =>  This Inner Loop Header: Depth=2
	s_ashr_i32 s27, s26, 31
	s_lshl_b64 s[28:29], s[26:27], 2
	s_add_u32 s28, s18, s28
	s_addc_u32 s29, s19, s29
	s_load_dword s27, s[28:29], 0x0
	s_lshl_b32 s28, s35, 2
	v_mov_b32_e32 v6, s28
	ds_read_b32 v6, v6 offset:1216
	s_mov_b64 s[28:29], -1
	s_waitcnt lgkmcnt(0)
	s_sub_i32 s39, s27, s13
                                        ; implicit-def: $sgpr27
                                        ; implicit-def: $sgpr38
                                        ; implicit-def: $sgpr37
	v_cmp_ge_i32_e32 vcc, s39, v6
	v_readfirstlane_b32 s36, v6
	s_cbranch_vccz .LBB25_17
; %bb.12:                               ;   in Loop: Header=BB25_11 Depth=2
	s_cmp_le_i32 s39, s36
                                        ; implicit-def: $sgpr27
                                        ; implicit-def: $sgpr38
                                        ; implicit-def: $sgpr37
	s_cbranch_scc0 .LBB25_14
; %bb.13:                               ;   in Loop: Header=BB25_11 Depth=2
	s_add_i32 s27, s35, s31
	s_mul_i32 s27, s27, 25
	s_lshl_b32 s28, s34, 2
	v_mov_b32_e32 v6, s28
	v_mov_b32_e32 v7, s27
	s_mul_i32 s27, s26, 25
	v_mov_b32_e32 v8, s27
	v_add_u32_e32 v6, 0x200, v6
	ds_write2_b32 v6, v8, v7 offset0:112 offset1:144
	s_add_i32 s37, s35, 1
	s_add_i32 s38, s26, 1
	;; [unrolled: 1-line block ×3, first 2 shown]
	s_mov_b64 s[28:29], 0
.LBB25_14:                              ;   in Loop: Header=BB25_11 Depth=2
	s_andn2_b64 vcc, exec, s[28:29]
	s_cbranch_vccnz .LBB25_16
; %bb.15:                               ;   in Loop: Header=BB25_11 Depth=2
	s_add_i32 s37, s35, 1
	s_mov_b32 s27, s34
	s_mov_b32 s38, s26
.LBB25_16:                              ;   in Loop: Header=BB25_11 Depth=2
	s_mov_b64 s[28:29], 0
.LBB25_17:                              ;   in Loop: Header=BB25_11 Depth=2
	s_andn2_b64 vcc, exec, s[28:29]
	s_cbranch_vccnz .LBB25_19
; %bb.18:                               ;   in Loop: Header=BB25_11 Depth=2
	s_add_i32 s38, s26, 1
	s_mov_b32 s37, s35
	s_mov_b32 s27, s34
.LBB25_19:                              ;   in Loop: Header=BB25_11 Depth=2
	s_cmp_le_i32 s38, s25
	s_cselect_b64 s[28:29], -1, 0
	s_cmp_le_i32 s36, s24
	s_cselect_b64 s[34:35], -1, 0
	s_and_b64 s[28:29], s[28:29], s[34:35]
	s_and_b64 vcc, exec, s[28:29]
	s_cbranch_vccz .LBB25_21
; %bb.20:                               ;   in Loop: Header=BB25_11 Depth=2
	s_mov_b32 s34, s27
	s_mov_b32 s26, s38
	;; [unrolled: 1-line block ×3, first 2 shown]
	s_branch .LBB25_11
.LBB25_21:                              ;   in Loop: Header=BB25_8 Depth=1
	s_add_u32 s22, s10, s22
	s_addc_u32 s23, s11, s23
	s_waitcnt lgkmcnt(0)
.LBB25_22:                              ;   Parent Loop BB25_8 Depth=1
                                        ; =>  This Inner Loop Header: Depth=2
	global_load_dword v6, v2, s[22:23] glc
	s_waitcnt vmcnt(0)
	v_cmp_eq_u32_e32 vcc, 0, v6
	s_cbranch_vccnz .LBB25_22
; %bb.23:                               ;   in Loop: Header=BB25_8 Depth=1
	v_mad_u64_u32 v[6:7], s[22:23], s25, 25, v[3:4]
	v_mov_b32_e32 v8, s21
	buffer_wbinvl1_vol
	v_ashrrev_i32_e32 v7, 31, v6
	v_lshlrev_b64 v[6:7], 3, v[6:7]
	v_mov_b32_e32 v10, 0
	v_add_co_u32_e32 v6, vcc, s20, v6
	v_addc_co_u32_e32 v7, vcc, v8, v7, vcc
	global_load_dwordx2 v[6:7], v[6:7], off
	v_mov_b32_e32 v11, 0
	s_cmp_lt_i32 s27, 2
	s_waitcnt vmcnt(0)
	ds_write_b64 v20, v[6:7]
	s_waitcnt lgkmcnt(0)
	s_cbranch_scc1 .LBB25_31
; %bb.24:                               ;   in Loop: Header=BB25_8 Depth=1
	v_mov_b32_e32 v6, 0
	s_add_i32 s24, s27, -1
	v_mov_b32_e32 v7, 0
	s_movk_i32 s25, 0x3c0
.LBB25_25:                              ;   Parent Loop BB25_8 Depth=1
                                        ; =>  This Inner Loop Header: Depth=2
	s_waitcnt lgkmcnt(0)
	v_mov_b32_e32 v8, s25
	ds_read2_b32 v[8:9], v8 offset1:32
	s_mov_b64 s[22:23], -1
	s_and_b64 vcc, exec, s[2:3]
                                        ; implicit-def: $vgpr10_vgpr11
	s_cbranch_vccz .LBB25_28
; %bb.26:                               ;   in Loop: Header=BB25_25 Depth=2
	s_waitcnt lgkmcnt(0)
	v_add_u32_e32 v10, v8, v0
	v_ashrrev_i32_e32 v11, 31, v10
	v_lshlrev_b64 v[25:26], 3, v[10:11]
	v_add_u32_e32 v27, v9, v1
	v_ashrrev_i32_e32 v28, 31, v27
	v_mov_b32_e32 v11, s21
	v_add_co_u32_e32 v25, vcc, s20, v25
	v_lshlrev_b64 v[28:29], 3, v[27:28]
	v_add_u32_e32 v30, 5, v10
	v_addc_co_u32_e32 v26, vcc, v11, v26, vcc
	v_ashrrev_i32_e32 v31, 31, v30
	v_add_co_u32_e32 v28, vcc, s20, v28
	v_lshlrev_b64 v[30:31], 3, v[30:31]
	v_add_u32_e32 v32, 5, v27
	v_addc_co_u32_e32 v29, vcc, v11, v29, vcc
	v_ashrrev_i32_e32 v33, 31, v32
	v_add_co_u32_e32 v30, vcc, s20, v30
	v_lshlrev_b64 v[32:33], 3, v[32:33]
	v_addc_co_u32_e32 v31, vcc, v11, v31, vcc
	v_add_co_u32_e32 v32, vcc, s20, v32
	v_addc_co_u32_e32 v33, vcc, v11, v33, vcc
	global_load_dwordx2 v[34:35], v[25:26], off
	global_load_dwordx2 v[36:37], v[28:29], off
	;; [unrolled: 1-line block ×4, first 2 shown]
	v_add_u32_e32 v25, 10, v10
	v_ashrrev_i32_e32 v26, 31, v25
	v_lshlrev_b64 v[25:26], 3, v[25:26]
	v_add_u32_e32 v28, 10, v27
	v_ashrrev_i32_e32 v29, 31, v28
	v_add_co_u32_e32 v25, vcc, s20, v25
	v_lshlrev_b64 v[28:29], 3, v[28:29]
	v_add_u32_e32 v30, 15, v10
	v_addc_co_u32_e32 v26, vcc, v11, v26, vcc
	v_ashrrev_i32_e32 v31, 31, v30
	v_add_co_u32_e32 v28, vcc, s20, v28
	v_lshlrev_b64 v[30:31], 3, v[30:31]
	v_add_u32_e32 v32, 15, v27
	v_addc_co_u32_e32 v29, vcc, v11, v29, vcc
	v_ashrrev_i32_e32 v33, 31, v32
	v_add_co_u32_e32 v30, vcc, s20, v30
	v_lshlrev_b64 v[32:33], 3, v[32:33]
	v_addc_co_u32_e32 v31, vcc, v11, v31, vcc
	v_add_co_u32_e32 v32, vcc, s20, v32
	v_addc_co_u32_e32 v33, vcc, v11, v33, vcc
	global_load_dwordx2 v[42:43], v[25:26], off
	global_load_dwordx2 v[44:45], v[28:29], off
	global_load_dwordx2 v[46:47], v[30:31], off
	global_load_dwordx2 v[48:49], v[32:33], off
	v_add_u32_e32 v10, 20, v10
	v_ashrrev_i32_e32 v11, 31, v10
	v_lshlrev_b64 v[10:11], 3, v[10:11]
	v_mov_b32_e32 v25, s21
	v_add_co_u32_e32 v10, vcc, s20, v10
	v_addc_co_u32_e32 v11, vcc, v25, v11, vcc
	v_add_u32_e32 v25, 20, v27
	v_ashrrev_i32_e32 v26, 31, v25
	v_lshlrev_b64 v[25:26], 3, v[25:26]
	v_mov_b32_e32 v27, s21
	v_add_co_u32_e32 v25, vcc, s20, v25
	v_addc_co_u32_e32 v26, vcc, v27, v26, vcc
	global_load_dwordx2 v[27:28], v[10:11], off
	global_load_dwordx2 v[29:30], v[25:26], off
	s_waitcnt vmcnt(8)
	v_fma_f64 v[10:11], v[34:35], v[36:37], v[6:7]
	s_waitcnt vmcnt(6)
	v_fma_f64 v[10:11], v[38:39], v[40:41], v[10:11]
	;; [unrolled: 2-line block ×5, first 2 shown]
	s_cbranch_execz .LBB25_29
.LBB25_27:                              ;   in Loop: Header=BB25_25 Depth=2
	s_add_i32 s24, s24, -1
	s_add_i32 s25, s25, 4
	s_cmp_eq_u32 s24, 0
	s_cbranch_scc0 .LBB25_30
	s_branch .LBB25_31
.LBB25_28:                              ;   in Loop: Header=BB25_25 Depth=2
	s_andn2_b64 vcc, exec, s[22:23]
	s_cbranch_vccnz .LBB25_27
.LBB25_29:                              ;   in Loop: Header=BB25_25 Depth=2
	s_waitcnt lgkmcnt(0)
	v_add_u32_e32 v10, v8, v17
	v_ashrrev_i32_e32 v11, 31, v10
	v_lshlrev_b64 v[10:11], 3, v[10:11]
	v_mov_b32_e32 v8, s21
	v_add_co_u32_e32 v37, vcc, s20, v10
	v_addc_co_u32_e32 v38, vcc, v8, v11, vcc
	v_add_u32_e32 v8, v9, v16
	v_ashrrev_i32_e32 v9, 31, v8
	v_lshlrev_b64 v[8:9], 3, v[8:9]
	v_mov_b32_e32 v10, s21
	v_add_co_u32_e32 v39, vcc, s20, v8
	v_addc_co_u32_e32 v40, vcc, v10, v9, vcc
	global_load_dwordx4 v[8:11], v[39:40], off
	global_load_dwordx4 v[25:28], v[37:38], off
	global_load_dwordx4 v[29:32], v[37:38], off offset:16
	global_load_dwordx4 v[33:36], v[39:40], off offset:16
	global_load_dwordx2 v[41:42], v[37:38], off offset:32
	global_load_dwordx2 v[43:44], v[39:40], off offset:32
	s_waitcnt vmcnt(4)
	v_fma_f64 v[6:7], v[25:26], v[8:9], v[6:7]
	v_fma_f64 v[6:7], v[27:28], v[10:11], v[6:7]
	s_waitcnt vmcnt(2)
	v_fma_f64 v[6:7], v[29:30], v[33:34], v[6:7]
	v_fma_f64 v[6:7], v[31:32], v[35:36], v[6:7]
	s_waitcnt vmcnt(0)
	v_fma_f64 v[10:11], v[41:42], v[43:44], v[6:7]
	s_add_i32 s24, s24, -1
	s_add_i32 s25, s25, 4
	s_cmp_eq_u32 s24, 0
	s_cbranch_scc1 .LBB25_31
.LBB25_30:                              ;   in Loop: Header=BB25_25 Depth=2
	v_mov_b32_e32 v6, v10
	v_mov_b32_e32 v7, v11
	s_branch .LBB25_25
.LBB25_31:                              ;   in Loop: Header=BB25_8 Depth=1
	ds_write_b64 v22, v[10:11]
	s_waitcnt lgkmcnt(0)
	ds_read_b64 v[8:9], v2
	ds_read_b64 v[6:7], v18
	s_waitcnt lgkmcnt(1)
	v_cmp_neq_f64_e32 vcc, 0, v[8:9]
	v_cndmask_b32_e32 v9, v24, v9, vcc
	s_nor_b64 s[24:25], vcc, s[0:1]
	v_cndmask_b32_e32 v8, 0, v8, vcc
	s_and_saveexec_b64 s[22:23], s[24:25]
	s_cbranch_execz .LBB25_35
; %bb.32:                               ;   in Loop: Header=BB25_8 Depth=1
	v_mbcnt_lo_u32_b32 v8, exec_lo, 0
	v_mbcnt_hi_u32_b32 v8, exec_hi, v8
	v_cmp_eq_u32_e32 vcc, 0, v8
	s_and_saveexec_b64 s[24:25], vcc
	s_cbranch_execz .LBB25_34
; %bb.33:                               ;   in Loop: Header=BB25_8 Depth=1
	v_mov_b32_e32 v8, s5
	global_atomic_smin v2, v8, s[14:15]
.LBB25_34:                              ;   in Loop: Header=BB25_8 Depth=1
	s_or_b64 exec, exec, s[24:25]
	v_mov_b32_e32 v8, 0
	v_mov_b32_e32 v9, 0x3ff00000
.LBB25_35:                              ;   in Loop: Header=BB25_8 Depth=1
	s_or_b64 exec, exec, s[22:23]
	ds_read_b64 v[10:11], v21
	s_waitcnt lgkmcnt(0)
	v_add_f64 v[6:7], v[6:7], -v[10:11]
	v_div_scale_f64 v[10:11], s[22:23], v[8:9], v[8:9], v[6:7]
	v_rcp_f64_e32 v[25:26], v[10:11]
	v_fma_f64 v[27:28], -v[10:11], v[25:26], 1.0
	v_fma_f64 v[25:26], v[25:26], v[27:28], v[25:26]
	v_div_scale_f64 v[27:28], vcc, v[6:7], v[8:9], v[6:7]
	v_fma_f64 v[29:30], -v[10:11], v[25:26], 1.0
	v_fma_f64 v[25:26], v[25:26], v[29:30], v[25:26]
	v_mul_f64 v[29:30], v[27:28], v[25:26]
	v_fma_f64 v[10:11], -v[10:11], v[29:30], v[27:28]
	v_div_fmas_f64 v[10:11], v[10:11], v[25:26], v[29:30]
	v_div_fixup_f64 v[6:7], v[10:11], v[8:9], v[6:7]
	ds_write_b64 v18, v[6:7]
	s_waitcnt lgkmcnt(0)
	ds_read_b64 v[8:9], v23
	ds_read_b64 v[10:11], v14
	s_waitcnt lgkmcnt(0)
	v_fma_f64 v[6:7], v[6:7], v[8:9], v[10:11]
	ds_write_b64 v14, v[6:7]
	s_waitcnt lgkmcnt(0)
	ds_read_b64 v[8:9], v2 offset:56
	ds_read_b64 v[6:7], v18 offset:8
	s_waitcnt lgkmcnt(1)
	v_cmp_neq_f64_e32 vcc, 0, v[8:9]
	v_cndmask_b32_e32 v9, v24, v9, vcc
	s_nor_b64 s[24:25], vcc, s[0:1]
	v_cndmask_b32_e32 v8, 0, v8, vcc
	s_and_saveexec_b64 s[22:23], s[24:25]
	s_cbranch_execz .LBB25_39
; %bb.36:                               ;   in Loop: Header=BB25_8 Depth=1
	v_mbcnt_lo_u32_b32 v8, exec_lo, 0
	v_mbcnt_hi_u32_b32 v8, exec_hi, v8
	v_cmp_eq_u32_e32 vcc, 0, v8
	s_and_saveexec_b64 s[24:25], vcc
	s_cbranch_execz .LBB25_38
; %bb.37:                               ;   in Loop: Header=BB25_8 Depth=1
	v_mov_b32_e32 v8, s5
	global_atomic_smin v2, v8, s[14:15]
.LBB25_38:                              ;   in Loop: Header=BB25_8 Depth=1
	s_or_b64 exec, exec, s[24:25]
	v_mov_b32_e32 v8, 0
	v_mov_b32_e32 v9, 0x3ff00000
.LBB25_39:                              ;   in Loop: Header=BB25_8 Depth=1
	s_or_b64 exec, exec, s[22:23]
	ds_read_b64 v[10:11], v2 offset:48
	ds_read_b64 v[25:26], v18
	ds_read_b64 v[27:28], v21 offset:8
	s_waitcnt lgkmcnt(0)
	v_fma_f64 v[10:11], v[10:11], v[25:26], v[27:28]
	v_add_f64 v[6:7], v[6:7], -v[10:11]
	v_div_scale_f64 v[10:11], s[22:23], v[8:9], v[8:9], v[6:7]
	v_rcp_f64_e32 v[25:26], v[10:11]
	v_fma_f64 v[27:28], -v[10:11], v[25:26], 1.0
	v_fma_f64 v[25:26], v[25:26], v[27:28], v[25:26]
	v_div_scale_f64 v[27:28], vcc, v[6:7], v[8:9], v[6:7]
	v_fma_f64 v[29:30], -v[10:11], v[25:26], 1.0
	v_fma_f64 v[25:26], v[25:26], v[29:30], v[25:26]
	v_mul_f64 v[29:30], v[27:28], v[25:26]
	v_fma_f64 v[10:11], -v[10:11], v[29:30], v[27:28]
	v_div_fmas_f64 v[10:11], v[10:11], v[25:26], v[29:30]
	v_div_fixup_f64 v[6:7], v[10:11], v[8:9], v[6:7]
	ds_write_b64 v18, v[6:7] offset:8
	s_waitcnt lgkmcnt(0)
	ds_read_b64 v[8:9], v23 offset:8
	ds_read_b64 v[10:11], v14
	s_waitcnt lgkmcnt(0)
	v_fma_f64 v[6:7], v[6:7], v[8:9], v[10:11]
	ds_write_b64 v14, v[6:7]
	s_waitcnt lgkmcnt(0)
	ds_read_b64 v[8:9], v2 offset:112
	ds_read_b64 v[6:7], v18 offset:16
	s_waitcnt lgkmcnt(1)
	v_cmp_neq_f64_e32 vcc, 0, v[8:9]
	v_cndmask_b32_e32 v9, v24, v9, vcc
	s_nor_b64 s[24:25], vcc, s[0:1]
	v_cndmask_b32_e32 v8, 0, v8, vcc
	s_and_saveexec_b64 s[22:23], s[24:25]
	s_cbranch_execz .LBB25_43
; %bb.40:                               ;   in Loop: Header=BB25_8 Depth=1
	v_mbcnt_lo_u32_b32 v8, exec_lo, 0
	v_mbcnt_hi_u32_b32 v8, exec_hi, v8
	v_cmp_eq_u32_e32 vcc, 0, v8
	s_and_saveexec_b64 s[24:25], vcc
	s_cbranch_execz .LBB25_42
; %bb.41:                               ;   in Loop: Header=BB25_8 Depth=1
	v_mov_b32_e32 v8, s5
	global_atomic_smin v2, v8, s[14:15]
.LBB25_42:                              ;   in Loop: Header=BB25_8 Depth=1
	s_or_b64 exec, exec, s[24:25]
	v_mov_b32_e32 v8, 0
	v_mov_b32_e32 v9, 0x3ff00000
.LBB25_43:                              ;   in Loop: Header=BB25_8 Depth=1
	s_or_b64 exec, exec, s[22:23]
	ds_read_b128 v[25:28], v2 offset:96
	ds_read_b128 v[29:32], v18
	ds_read_b64 v[10:11], v21 offset:16
	s_waitcnt lgkmcnt(0)
	v_fma_f64 v[10:11], v[25:26], v[29:30], v[10:11]
	v_fma_f64 v[10:11], v[27:28], v[31:32], v[10:11]
	v_add_f64 v[6:7], v[6:7], -v[10:11]
	v_div_scale_f64 v[10:11], s[22:23], v[8:9], v[8:9], v[6:7]
	v_rcp_f64_e32 v[25:26], v[10:11]
	v_fma_f64 v[27:28], -v[10:11], v[25:26], 1.0
	v_fma_f64 v[25:26], v[25:26], v[27:28], v[25:26]
	v_div_scale_f64 v[27:28], vcc, v[6:7], v[8:9], v[6:7]
	v_fma_f64 v[29:30], -v[10:11], v[25:26], 1.0
	v_fma_f64 v[25:26], v[25:26], v[29:30], v[25:26]
	v_mul_f64 v[29:30], v[27:28], v[25:26]
	v_fma_f64 v[10:11], -v[10:11], v[29:30], v[27:28]
	v_div_fmas_f64 v[10:11], v[10:11], v[25:26], v[29:30]
	v_div_fixup_f64 v[6:7], v[10:11], v[8:9], v[6:7]
	ds_write_b64 v18, v[6:7] offset:16
	s_waitcnt lgkmcnt(0)
	ds_read_b64 v[8:9], v23 offset:16
	ds_read_b64 v[10:11], v14
	s_waitcnt lgkmcnt(0)
	v_fma_f64 v[6:7], v[6:7], v[8:9], v[10:11]
	ds_write_b64 v14, v[6:7]
	s_waitcnt lgkmcnt(0)
	ds_read_b64 v[8:9], v2 offset:168
	ds_read_b64 v[6:7], v18 offset:24
	s_waitcnt lgkmcnt(1)
	v_cmp_neq_f64_e32 vcc, 0, v[8:9]
	v_cndmask_b32_e32 v9, v24, v9, vcc
	s_nor_b64 s[24:25], vcc, s[0:1]
	v_cndmask_b32_e32 v8, 0, v8, vcc
	s_and_saveexec_b64 s[22:23], s[24:25]
	s_cbranch_execz .LBB25_47
; %bb.44:                               ;   in Loop: Header=BB25_8 Depth=1
	v_mbcnt_lo_u32_b32 v8, exec_lo, 0
	v_mbcnt_hi_u32_b32 v8, exec_hi, v8
	v_cmp_eq_u32_e32 vcc, 0, v8
	s_and_saveexec_b64 s[24:25], vcc
	s_cbranch_execz .LBB25_46
; %bb.45:                               ;   in Loop: Header=BB25_8 Depth=1
	v_mov_b32_e32 v8, s5
	global_atomic_smin v2, v8, s[14:15]
.LBB25_46:                              ;   in Loop: Header=BB25_8 Depth=1
	s_or_b64 exec, exec, s[24:25]
	v_mov_b32_e32 v8, 0
	v_mov_b32_e32 v9, 0x3ff00000
.LBB25_47:                              ;   in Loop: Header=BB25_8 Depth=1
	s_or_b64 exec, exec, s[22:23]
	ds_read_b128 v[25:28], v2 offset:144
	ds_read_b64 v[10:11], v21 offset:24
	ds_read_b128 v[29:32], v18
	ds_read_b64 v[33:34], v18 offset:16
	s_waitcnt lgkmcnt(1)
	v_fma_f64 v[10:11], v[25:26], v[29:30], v[10:11]
	ds_read_b64 v[25:26], v2 offset:160
	v_fma_f64 v[10:11], v[27:28], v[31:32], v[10:11]
	s_waitcnt lgkmcnt(0)
	v_fma_f64 v[10:11], v[25:26], v[33:34], v[10:11]
	v_add_f64 v[6:7], v[6:7], -v[10:11]
	v_div_scale_f64 v[10:11], s[22:23], v[8:9], v[8:9], v[6:7]
	v_rcp_f64_e32 v[25:26], v[10:11]
	v_fma_f64 v[27:28], -v[10:11], v[25:26], 1.0
	v_fma_f64 v[25:26], v[25:26], v[27:28], v[25:26]
	v_div_scale_f64 v[27:28], vcc, v[6:7], v[8:9], v[6:7]
	v_fma_f64 v[29:30], -v[10:11], v[25:26], 1.0
	v_fma_f64 v[25:26], v[25:26], v[29:30], v[25:26]
	v_mul_f64 v[29:30], v[27:28], v[25:26]
	v_fma_f64 v[10:11], -v[10:11], v[29:30], v[27:28]
	v_div_fmas_f64 v[10:11], v[10:11], v[25:26], v[29:30]
	v_div_fixup_f64 v[6:7], v[10:11], v[8:9], v[6:7]
	ds_write_b64 v18, v[6:7] offset:24
	s_waitcnt lgkmcnt(0)
	ds_read_b64 v[8:9], v23 offset:24
	ds_read_b64 v[10:11], v14
	s_waitcnt lgkmcnt(0)
	v_fma_f64 v[6:7], v[6:7], v[8:9], v[10:11]
	ds_write_b64 v14, v[6:7]
	s_waitcnt lgkmcnt(0)
	ds_read_b64 v[8:9], v2 offset:224
	ds_read_b64 v[6:7], v18 offset:32
	s_waitcnt lgkmcnt(1)
	v_cmp_neq_f64_e32 vcc, 0, v[8:9]
	v_cndmask_b32_e32 v9, v24, v9, vcc
	s_nor_b64 s[24:25], vcc, s[0:1]
	v_cndmask_b32_e32 v8, 0, v8, vcc
	s_and_saveexec_b64 s[22:23], s[24:25]
	s_cbranch_execz .LBB25_7
; %bb.48:                               ;   in Loop: Header=BB25_8 Depth=1
	v_mbcnt_lo_u32_b32 v8, exec_lo, 0
	v_mbcnt_hi_u32_b32 v8, exec_hi, v8
	v_cmp_eq_u32_e32 vcc, 0, v8
	s_and_saveexec_b64 s[24:25], vcc
	s_cbranch_execz .LBB25_6
; %bb.49:                               ;   in Loop: Header=BB25_8 Depth=1
	v_mov_b32_e32 v8, s5
	global_atomic_smin v2, v8, s[14:15]
	s_branch .LBB25_6
.LBB25_50:                              ;   in Loop: Header=BB25_8 Depth=1
                                        ; implicit-def: $sgpr4
	s_cbranch_execz .LBB25_8
.LBB25_51:
	s_cmp_lg_u32 s33, 0
	s_cselect_b64 s[4:5], -1, 0
	s_cmp_eq_u32 s33, 0
	v_mov_b32_e32 v2, v12
	s_cbranch_scc1 .LBB25_53
; %bb.52:
	v_mad_u32_u24 v2, v0, 5, v1
.LBB25_53:
	s_mul_i32 s30, s30, 25
	v_add_u32_e32 v2, s30, v2
	v_ashrrev_i32_e32 v3, 31, v2
	v_lshlrev_b64 v[2:3], 3, v[2:3]
	v_mov_b32_e32 v4, s21
	v_add_co_u32_e32 v2, vcc, s20, v2
	v_addc_co_u32_e32 v3, vcc, v4, v3, vcc
	global_load_dwordx2 v[2:3], v[2:3], off
	v_mov_b32_e32 v4, 0x1e0
	v_mad_u32_u24 v5, v1, 48, v4
	v_cmp_ne_u32_e32 vcc, 0, v1
	v_lshl_add_u32 v4, v0, 3, v5
	v_cmp_eq_u32_e64 s[0:1], 0, v1
	s_waitcnt vmcnt(0)
	ds_write_b64 v4, v[2:3]
	s_waitcnt lgkmcnt(0)
	s_and_saveexec_b64 s[2:3], s[0:1]
	s_cbranch_execz .LBB25_55
; %bb.54:
	v_mov_b32_e32 v16, 0
	ds_read2_b64 v[6:9], v16 offset0:60 offset1:90
	s_mov_b32 s8, 0
	s_brev_b32 s9, 8
	s_waitcnt lgkmcnt(0)
	v_add_f64 v[2:3], v[6:7], -v[8:9]
	v_cmp_gt_f64_e64 s[0:1], 0, v[2:3]
	v_xor_b32_e32 v6, 0x80000000, v3
	v_cndmask_b32_e64 v3, v3, v6, s[0:1]
	v_cmp_gt_f64_e64 s[0:1], s[8:9], v[2:3]
	s_and_b64 s[0:1], s[0:1], exec
	s_cselect_b32 s0, 0x100, 0
	v_ldexp_f64 v[2:3], v[2:3], s0
	s_cselect_b32 s0, 0xffffff80, 0
	v_rsq_f64_e32 v[6:7], v[2:3]
	v_mul_f64 v[8:9], v[2:3], v[6:7]
	v_mul_f64 v[6:7], v[6:7], 0.5
	v_fma_f64 v[10:11], -v[6:7], v[8:9], 0.5
	v_fma_f64 v[8:9], v[8:9], v[10:11], v[8:9]
	v_fma_f64 v[6:7], v[6:7], v[10:11], v[6:7]
	v_fma_f64 v[10:11], -v[8:9], v[8:9], v[2:3]
	v_fma_f64 v[8:9], v[10:11], v[6:7], v[8:9]
	v_fma_f64 v[10:11], -v[8:9], v[8:9], v[2:3]
	v_fma_f64 v[6:7], v[10:11], v[6:7], v[8:9]
	v_mov_b32_e32 v8, 0x260
	v_ldexp_f64 v[6:7], v[6:7], s0
	v_cmp_class_f64_e64 s[0:1], v[2:3], v8
	v_cndmask_b32_e64 v3, v7, v3, s[0:1]
	v_cndmask_b32_e64 v2, v6, v2, s[0:1]
	ds_write_b64 v16, v[2:3] offset:480
.LBB25_55:
	s_or_b64 exec, exec, s[2:3]
	v_mov_b32_e32 v2, 0
	s_waitcnt lgkmcnt(0)
	ds_read_b64 v[2:3], v2 offset:480
	v_or_b32_e32 v6, v0, v1
	v_mov_b32_e32 v7, 0x3ff00000
	v_cmp_ne_u32_e64 s[0:1], 0, v6
	s_add_i32 s18, s12, s13
	s_waitcnt lgkmcnt(0)
	v_cmp_neq_f64_e64 s[2:3], 0, v[2:3]
	v_cndmask_b32_e64 v3, v7, v3, s[2:3]
	s_nor_b64 s[16:17], s[2:3], s[0:1]
	v_cndmask_b32_e64 v2, 0, v2, s[2:3]
	s_and_saveexec_b64 s[8:9], s[16:17]
	s_cbranch_execz .LBB25_59
; %bb.56:
	v_mbcnt_lo_u32_b32 v2, exec_lo, 0
	v_mbcnt_hi_u32_b32 v2, exec_hi, v2
	v_cmp_eq_u32_e64 s[2:3], 0, v2
	s_and_saveexec_b64 s[16:17], s[2:3]
	s_cbranch_execz .LBB25_58
; %bb.57:
	v_mov_b32_e32 v2, 0
	v_mov_b32_e32 v3, s18
	global_atomic_smin v2, v3, s[14:15]
.LBB25_58:
	s_or_b64 exec, exec, s[16:17]
	v_mov_b32_e32 v2, 0
	v_mov_b32_e32 v3, 0x3ff00000
.LBB25_59:
	s_or_b64 exec, exec, s[8:9]
	v_mov_b32_e32 v7, 0x1e0
	v_mad_u32_u24 v7, v0, 48, v7
	s_and_saveexec_b64 s[2:3], vcc
	s_cbranch_execz .LBB25_61
; %bb.60:
	ds_read_b64 v[8:9], v5
	ds_read_b64 v[10:11], v15
	s_waitcnt lgkmcnt(0)
	v_add_f64 v[8:9], v[8:9], -v[10:11]
	v_div_scale_f64 v[10:11], s[8:9], v[2:3], v[2:3], v[8:9]
	v_rcp_f64_e32 v[16:17], v[10:11]
	v_fma_f64 v[18:19], -v[10:11], v[16:17], 1.0
	v_fma_f64 v[16:17], v[16:17], v[18:19], v[16:17]
	v_div_scale_f64 v[18:19], vcc, v[8:9], v[2:3], v[8:9]
	v_fma_f64 v[20:21], -v[10:11], v[16:17], 1.0
	v_fma_f64 v[16:17], v[16:17], v[20:21], v[16:17]
	v_mul_f64 v[20:21], v[18:19], v[16:17]
	v_fma_f64 v[10:11], -v[10:11], v[20:21], v[18:19]
	v_div_fmas_f64 v[10:11], v[10:11], v[16:17], v[20:21]
	v_div_fixup_f64 v[2:3], v[10:11], v[2:3], v[8:9]
	ds_write_b64 v5, v[2:3]
	s_waitcnt lgkmcnt(0)
	ds_read_b64 v[8:9], v7
	ds_read_b64 v[10:11], v14
	s_waitcnt lgkmcnt(0)
	v_fma_f64 v[2:3], v[2:3], v[8:9], v[10:11]
	ds_write_b64 v14, v[2:3]
.LBB25_61:
	s_or_b64 exec, exec, s[2:3]
	v_cmp_eq_u32_e32 vcc, 1, v1
	s_waitcnt lgkmcnt(0)
	s_and_saveexec_b64 s[2:3], vcc
	s_cbranch_execz .LBB25_63
; %bb.62:
	v_mov_b32_e32 v18, 0
	ds_read2_b64 v[8:11], v18 offset0:67 offset1:97
	s_mov_b32 s8, 0
	s_brev_b32 s9, 8
	s_waitcnt lgkmcnt(0)
	v_add_f64 v[2:3], v[8:9], -v[10:11]
	v_cmp_gt_f64_e32 vcc, 0, v[2:3]
	v_xor_b32_e32 v8, 0x80000000, v3
	v_cndmask_b32_e32 v3, v3, v8, vcc
	v_cmp_gt_f64_e32 vcc, s[8:9], v[2:3]
	s_and_b64 s[8:9], vcc, exec
	s_cselect_b32 s8, 0x100, 0
	v_ldexp_f64 v[2:3], v[2:3], s8
	s_cselect_b32 s8, 0xffffff80, 0
	v_rsq_f64_e32 v[8:9], v[2:3]
	v_mul_f64 v[10:11], v[2:3], v[8:9]
	v_mul_f64 v[8:9], v[8:9], 0.5
	v_fma_f64 v[16:17], -v[8:9], v[10:11], 0.5
	v_fma_f64 v[10:11], v[10:11], v[16:17], v[10:11]
	v_fma_f64 v[8:9], v[8:9], v[16:17], v[8:9]
	v_fma_f64 v[16:17], -v[10:11], v[10:11], v[2:3]
	v_fma_f64 v[10:11], v[16:17], v[8:9], v[10:11]
	v_fma_f64 v[16:17], -v[10:11], v[10:11], v[2:3]
	v_fma_f64 v[8:9], v[16:17], v[8:9], v[10:11]
	v_mov_b32_e32 v10, 0x260
	v_cmp_class_f64_e32 vcc, v[2:3], v10
	v_ldexp_f64 v[8:9], v[8:9], s8
	v_cndmask_b32_e32 v3, v9, v3, vcc
	v_cndmask_b32_e32 v2, v8, v2, vcc
	ds_write_b64 v18, v[2:3] offset:536
.LBB25_63:
	s_or_b64 exec, exec, s[2:3]
	v_mov_b32_e32 v2, 0
	s_waitcnt lgkmcnt(0)
	ds_read_b64 v[2:3], v2 offset:536
	v_mov_b32_e32 v8, 0x3ff00000
	s_waitcnt lgkmcnt(0)
	v_cmp_neq_f64_e32 vcc, 0, v[2:3]
	v_cndmask_b32_e32 v3, v8, v3, vcc
	s_nor_b64 s[8:9], vcc, s[0:1]
	v_cndmask_b32_e32 v2, 0, v2, vcc
	s_and_saveexec_b64 s[2:3], s[8:9]
	s_cbranch_execz .LBB25_67
; %bb.64:
	v_mbcnt_lo_u32_b32 v2, exec_lo, 0
	v_mbcnt_hi_u32_b32 v2, exec_hi, v2
	v_cmp_eq_u32_e32 vcc, 0, v2
	s_and_saveexec_b64 s[8:9], vcc
	s_cbranch_execz .LBB25_66
; %bb.65:
	v_mov_b32_e32 v2, 0
	v_mov_b32_e32 v3, s18
	global_atomic_smin v2, v3, s[14:15]
.LBB25_66:
	s_or_b64 exec, exec, s[8:9]
	v_mov_b32_e32 v2, 0
	v_mov_b32_e32 v3, 0x3ff00000
.LBB25_67:
	s_or_b64 exec, exec, s[2:3]
	v_cmp_lt_u32_e32 vcc, 1, v1
	s_and_saveexec_b64 s[2:3], vcc
	s_cbranch_execz .LBB25_69
; %bb.68:
	ds_read_b64 v[8:9], v5 offset:8
	ds_read_b64 v[10:11], v15 offset:8
	s_waitcnt lgkmcnt(0)
	v_add_f64 v[8:9], v[8:9], -v[10:11]
	v_div_scale_f64 v[10:11], s[8:9], v[2:3], v[2:3], v[8:9]
	v_rcp_f64_e32 v[16:17], v[10:11]
	v_fma_f64 v[18:19], -v[10:11], v[16:17], 1.0
	v_fma_f64 v[16:17], v[16:17], v[18:19], v[16:17]
	v_div_scale_f64 v[18:19], vcc, v[8:9], v[2:3], v[8:9]
	v_fma_f64 v[20:21], -v[10:11], v[16:17], 1.0
	v_fma_f64 v[16:17], v[16:17], v[20:21], v[16:17]
	v_mul_f64 v[20:21], v[18:19], v[16:17]
	v_fma_f64 v[10:11], -v[10:11], v[20:21], v[18:19]
	v_div_fmas_f64 v[10:11], v[10:11], v[16:17], v[20:21]
	v_div_fixup_f64 v[2:3], v[10:11], v[2:3], v[8:9]
	ds_write_b64 v5, v[2:3] offset:8
	s_waitcnt lgkmcnt(0)
	ds_read_b64 v[8:9], v7 offset:8
	ds_read_b64 v[10:11], v14
	s_waitcnt lgkmcnt(0)
	v_fma_f64 v[2:3], v[2:3], v[8:9], v[10:11]
	ds_write_b64 v14, v[2:3]
.LBB25_69:
	s_or_b64 exec, exec, s[2:3]
	v_cmp_eq_u32_e32 vcc, 2, v1
	s_waitcnt lgkmcnt(0)
	s_and_saveexec_b64 s[2:3], vcc
	s_cbranch_execz .LBB25_71
; %bb.70:
	v_mov_b32_e32 v18, 0
	ds_read2_b64 v[8:11], v18 offset0:74 offset1:104
	s_mov_b32 s8, 0
	s_brev_b32 s9, 8
	s_waitcnt lgkmcnt(0)
	v_add_f64 v[2:3], v[8:9], -v[10:11]
	v_cmp_gt_f64_e32 vcc, 0, v[2:3]
	v_xor_b32_e32 v8, 0x80000000, v3
	v_cndmask_b32_e32 v3, v3, v8, vcc
	v_cmp_gt_f64_e32 vcc, s[8:9], v[2:3]
	s_and_b64 s[8:9], vcc, exec
	s_cselect_b32 s8, 0x100, 0
	v_ldexp_f64 v[2:3], v[2:3], s8
	s_cselect_b32 s8, 0xffffff80, 0
	v_rsq_f64_e32 v[8:9], v[2:3]
	v_mul_f64 v[10:11], v[2:3], v[8:9]
	v_mul_f64 v[8:9], v[8:9], 0.5
	v_fma_f64 v[16:17], -v[8:9], v[10:11], 0.5
	v_fma_f64 v[10:11], v[10:11], v[16:17], v[10:11]
	v_fma_f64 v[8:9], v[8:9], v[16:17], v[8:9]
	v_fma_f64 v[16:17], -v[10:11], v[10:11], v[2:3]
	v_fma_f64 v[10:11], v[16:17], v[8:9], v[10:11]
	v_fma_f64 v[16:17], -v[10:11], v[10:11], v[2:3]
	v_fma_f64 v[8:9], v[16:17], v[8:9], v[10:11]
	v_mov_b32_e32 v10, 0x260
	v_cmp_class_f64_e32 vcc, v[2:3], v10
	v_ldexp_f64 v[8:9], v[8:9], s8
	v_cndmask_b32_e32 v3, v9, v3, vcc
	v_cndmask_b32_e32 v2, v8, v2, vcc
	ds_write_b64 v18, v[2:3] offset:592
.LBB25_71:
	s_or_b64 exec, exec, s[2:3]
	v_mov_b32_e32 v2, 0
	s_waitcnt lgkmcnt(0)
	ds_read_b64 v[2:3], v2 offset:592
	v_mov_b32_e32 v8, 0x3ff00000
	s_waitcnt lgkmcnt(0)
	v_cmp_neq_f64_e32 vcc, 0, v[2:3]
	v_cndmask_b32_e32 v3, v8, v3, vcc
	s_nor_b64 s[8:9], vcc, s[0:1]
	v_cndmask_b32_e32 v2, 0, v2, vcc
	s_and_saveexec_b64 s[2:3], s[8:9]
	s_cbranch_execz .LBB25_75
; %bb.72:
	v_mbcnt_lo_u32_b32 v2, exec_lo, 0
	v_mbcnt_hi_u32_b32 v2, exec_hi, v2
	v_cmp_eq_u32_e32 vcc, 0, v2
	s_and_saveexec_b64 s[8:9], vcc
	s_cbranch_execz .LBB25_74
; %bb.73:
	v_mov_b32_e32 v2, 0
	v_mov_b32_e32 v3, s18
	global_atomic_smin v2, v3, s[14:15]
.LBB25_74:
	s_or_b64 exec, exec, s[8:9]
	v_mov_b32_e32 v2, 0
	v_mov_b32_e32 v3, 0x3ff00000
.LBB25_75:
	s_or_b64 exec, exec, s[2:3]
	v_cmp_lt_u32_e32 vcc, 2, v1
	s_and_saveexec_b64 s[2:3], vcc
	s_cbranch_execz .LBB25_77
; %bb.76:
	ds_read_b64 v[8:9], v5 offset:16
	ds_read_b64 v[10:11], v15 offset:16
	s_waitcnt lgkmcnt(0)
	v_add_f64 v[8:9], v[8:9], -v[10:11]
	v_div_scale_f64 v[10:11], s[8:9], v[2:3], v[2:3], v[8:9]
	v_rcp_f64_e32 v[16:17], v[10:11]
	v_fma_f64 v[18:19], -v[10:11], v[16:17], 1.0
	v_fma_f64 v[16:17], v[16:17], v[18:19], v[16:17]
	v_div_scale_f64 v[18:19], vcc, v[8:9], v[2:3], v[8:9]
	v_fma_f64 v[20:21], -v[10:11], v[16:17], 1.0
	v_fma_f64 v[16:17], v[16:17], v[20:21], v[16:17]
	v_mul_f64 v[20:21], v[18:19], v[16:17]
	v_fma_f64 v[10:11], -v[10:11], v[20:21], v[18:19]
	v_div_fmas_f64 v[10:11], v[10:11], v[16:17], v[20:21]
	v_div_fixup_f64 v[2:3], v[10:11], v[2:3], v[8:9]
	ds_write_b64 v5, v[2:3] offset:16
	s_waitcnt lgkmcnt(0)
	ds_read_b64 v[8:9], v7 offset:16
	ds_read_b64 v[10:11], v14
	s_waitcnt lgkmcnt(0)
	v_fma_f64 v[2:3], v[2:3], v[8:9], v[10:11]
	ds_write_b64 v14, v[2:3]
.LBB25_77:
	s_or_b64 exec, exec, s[2:3]
	v_cmp_eq_u32_e32 vcc, 3, v1
	s_waitcnt lgkmcnt(0)
	s_and_saveexec_b64 s[2:3], vcc
	s_cbranch_execz .LBB25_79
; %bb.78:
	v_mov_b32_e32 v18, 0
	ds_read2_b64 v[8:11], v18 offset0:81 offset1:111
	s_mov_b32 s8, 0
	s_brev_b32 s9, 8
	s_waitcnt lgkmcnt(0)
	v_add_f64 v[2:3], v[8:9], -v[10:11]
	v_cmp_gt_f64_e32 vcc, 0, v[2:3]
	v_xor_b32_e32 v8, 0x80000000, v3
	v_cndmask_b32_e32 v3, v3, v8, vcc
	v_cmp_gt_f64_e32 vcc, s[8:9], v[2:3]
	s_and_b64 s[8:9], vcc, exec
	s_cselect_b32 s8, 0x100, 0
	v_ldexp_f64 v[2:3], v[2:3], s8
	s_cselect_b32 s8, 0xffffff80, 0
	v_rsq_f64_e32 v[8:9], v[2:3]
	v_mul_f64 v[10:11], v[2:3], v[8:9]
	v_mul_f64 v[8:9], v[8:9], 0.5
	v_fma_f64 v[16:17], -v[8:9], v[10:11], 0.5
	v_fma_f64 v[10:11], v[10:11], v[16:17], v[10:11]
	v_fma_f64 v[8:9], v[8:9], v[16:17], v[8:9]
	v_fma_f64 v[16:17], -v[10:11], v[10:11], v[2:3]
	v_fma_f64 v[10:11], v[16:17], v[8:9], v[10:11]
	v_fma_f64 v[16:17], -v[10:11], v[10:11], v[2:3]
	v_fma_f64 v[8:9], v[16:17], v[8:9], v[10:11]
	v_mov_b32_e32 v10, 0x260
	v_cmp_class_f64_e32 vcc, v[2:3], v10
	v_ldexp_f64 v[8:9], v[8:9], s8
	v_cndmask_b32_e32 v3, v9, v3, vcc
	v_cndmask_b32_e32 v2, v8, v2, vcc
	ds_write_b64 v18, v[2:3] offset:648
.LBB25_79:
	s_or_b64 exec, exec, s[2:3]
	v_mov_b32_e32 v2, 0
	s_waitcnt lgkmcnt(0)
	ds_read_b64 v[2:3], v2 offset:648
	v_mov_b32_e32 v8, 0x3ff00000
	s_waitcnt lgkmcnt(0)
	v_cmp_neq_f64_e32 vcc, 0, v[2:3]
	v_cndmask_b32_e32 v3, v8, v3, vcc
	s_nor_b64 s[8:9], vcc, s[0:1]
	v_cndmask_b32_e32 v2, 0, v2, vcc
	s_and_saveexec_b64 s[2:3], s[8:9]
	s_cbranch_execz .LBB25_83
; %bb.80:
	v_mbcnt_lo_u32_b32 v2, exec_lo, 0
	v_mbcnt_hi_u32_b32 v2, exec_hi, v2
	v_cmp_eq_u32_e32 vcc, 0, v2
	s_and_saveexec_b64 s[8:9], vcc
	s_cbranch_execz .LBB25_82
; %bb.81:
	v_mov_b32_e32 v2, 0
	v_mov_b32_e32 v3, s18
	global_atomic_smin v2, v3, s[14:15]
.LBB25_82:
	s_or_b64 exec, exec, s[8:9]
	v_mov_b32_e32 v2, 0
	v_mov_b32_e32 v3, 0x3ff00000
.LBB25_83:
	s_or_b64 exec, exec, s[2:3]
	v_cmp_lt_u32_e32 vcc, 3, v1
	s_and_saveexec_b64 s[2:3], vcc
	s_cbranch_execz .LBB25_85
; %bb.84:
	ds_read_b64 v[8:9], v5 offset:24
	ds_read_b64 v[10:11], v15 offset:24
	s_waitcnt lgkmcnt(0)
	v_add_f64 v[8:9], v[8:9], -v[10:11]
	v_div_scale_f64 v[10:11], s[8:9], v[2:3], v[2:3], v[8:9]
	v_rcp_f64_e32 v[16:17], v[10:11]
	v_fma_f64 v[18:19], -v[10:11], v[16:17], 1.0
	v_fma_f64 v[16:17], v[16:17], v[18:19], v[16:17]
	v_div_scale_f64 v[18:19], vcc, v[8:9], v[2:3], v[8:9]
	v_fma_f64 v[20:21], -v[10:11], v[16:17], 1.0
	v_fma_f64 v[16:17], v[16:17], v[20:21], v[16:17]
	v_mul_f64 v[20:21], v[18:19], v[16:17]
	v_fma_f64 v[10:11], -v[10:11], v[20:21], v[18:19]
	v_div_fmas_f64 v[10:11], v[10:11], v[16:17], v[20:21]
	v_div_fixup_f64 v[2:3], v[10:11], v[2:3], v[8:9]
	ds_write_b64 v5, v[2:3] offset:24
	s_waitcnt lgkmcnt(0)
	ds_read_b64 v[8:9], v7 offset:24
	ds_read_b64 v[10:11], v14
	s_waitcnt lgkmcnt(0)
	v_fma_f64 v[2:3], v[2:3], v[8:9], v[10:11]
	ds_write_b64 v14, v[2:3]
.LBB25_85:
	s_or_b64 exec, exec, s[2:3]
	v_cmp_eq_u32_e32 vcc, 4, v1
	s_waitcnt lgkmcnt(0)
	s_and_saveexec_b64 s[2:3], vcc
	s_cbranch_execz .LBB25_87
; %bb.86:
	v_mov_b32_e32 v18, 0
	ds_read2_b64 v[8:11], v18 offset0:88 offset1:118
	s_mov_b32 s8, 0
	s_brev_b32 s9, 8
	s_waitcnt lgkmcnt(0)
	v_add_f64 v[2:3], v[8:9], -v[10:11]
	v_cmp_gt_f64_e32 vcc, 0, v[2:3]
	v_xor_b32_e32 v8, 0x80000000, v3
	v_cndmask_b32_e32 v3, v3, v8, vcc
	v_cmp_gt_f64_e32 vcc, s[8:9], v[2:3]
	s_and_b64 s[8:9], vcc, exec
	s_cselect_b32 s8, 0x100, 0
	v_ldexp_f64 v[2:3], v[2:3], s8
	s_cselect_b32 s8, 0xffffff80, 0
	v_rsq_f64_e32 v[8:9], v[2:3]
	v_mul_f64 v[10:11], v[2:3], v[8:9]
	v_mul_f64 v[8:9], v[8:9], 0.5
	v_fma_f64 v[16:17], -v[8:9], v[10:11], 0.5
	v_fma_f64 v[10:11], v[10:11], v[16:17], v[10:11]
	v_fma_f64 v[8:9], v[8:9], v[16:17], v[8:9]
	v_fma_f64 v[16:17], -v[10:11], v[10:11], v[2:3]
	v_fma_f64 v[10:11], v[16:17], v[8:9], v[10:11]
	v_fma_f64 v[16:17], -v[10:11], v[10:11], v[2:3]
	v_fma_f64 v[8:9], v[16:17], v[8:9], v[10:11]
	v_mov_b32_e32 v10, 0x260
	v_cmp_class_f64_e32 vcc, v[2:3], v10
	v_ldexp_f64 v[8:9], v[8:9], s8
	v_cndmask_b32_e32 v3, v9, v3, vcc
	v_cndmask_b32_e32 v2, v8, v2, vcc
	ds_write_b64 v18, v[2:3] offset:704
.LBB25_87:
	s_or_b64 exec, exec, s[2:3]
	v_mov_b32_e32 v2, 0
	s_waitcnt lgkmcnt(0)
	ds_read_b64 v[2:3], v2 offset:704
	v_mov_b32_e32 v8, 0x3ff00000
	s_waitcnt lgkmcnt(0)
	v_cmp_neq_f64_e32 vcc, 0, v[2:3]
	v_cndmask_b32_e32 v3, v8, v3, vcc
	s_nor_b64 s[2:3], vcc, s[0:1]
	v_cndmask_b32_e32 v2, 0, v2, vcc
	s_and_saveexec_b64 s[0:1], s[2:3]
	s_cbranch_execz .LBB25_91
; %bb.88:
	v_mbcnt_lo_u32_b32 v2, exec_lo, 0
	v_mbcnt_hi_u32_b32 v2, exec_hi, v2
	v_cmp_eq_u32_e32 vcc, 0, v2
	s_and_saveexec_b64 s[2:3], vcc
	s_cbranch_execz .LBB25_90
; %bb.89:
	v_mov_b32_e32 v2, 0
	v_mov_b32_e32 v3, s18
	global_atomic_smin v2, v3, s[14:15]
.LBB25_90:
	s_or_b64 exec, exec, s[2:3]
	v_mov_b32_e32 v2, 0
	v_mov_b32_e32 v3, 0x3ff00000
.LBB25_91:
	s_or_b64 exec, exec, s[0:1]
	v_cmp_lt_u32_e32 vcc, 4, v1
	s_and_saveexec_b64 s[0:1], vcc
	s_cbranch_execz .LBB25_93
; %bb.92:
	ds_read_b64 v[8:9], v5 offset:32
	ds_read_b64 v[10:11], v15 offset:32
	s_waitcnt lgkmcnt(0)
	v_add_f64 v[8:9], v[8:9], -v[10:11]
	v_div_scale_f64 v[10:11], s[2:3], v[2:3], v[2:3], v[8:9]
	v_rcp_f64_e32 v[15:16], v[10:11]
	v_fma_f64 v[17:18], -v[10:11], v[15:16], 1.0
	v_fma_f64 v[15:16], v[15:16], v[17:18], v[15:16]
	v_div_scale_f64 v[17:18], vcc, v[8:9], v[2:3], v[8:9]
	v_fma_f64 v[19:20], -v[10:11], v[15:16], 1.0
	v_fma_f64 v[15:16], v[15:16], v[19:20], v[15:16]
	v_mul_f64 v[19:20], v[17:18], v[15:16]
	v_fma_f64 v[10:11], -v[10:11], v[19:20], v[17:18]
	v_div_fmas_f64 v[10:11], v[10:11], v[15:16], v[19:20]
	v_div_fixup_f64 v[2:3], v[10:11], v[2:3], v[8:9]
	ds_write_b64 v5, v[2:3] offset:32
	s_waitcnt lgkmcnt(0)
	ds_read_b64 v[7:8], v7 offset:32
	ds_read_b64 v[9:10], v14
	s_waitcnt lgkmcnt(0)
	v_fma_f64 v[2:3], v[2:3], v[7:8], v[9:10]
	ds_write_b64 v14, v[2:3]
.LBB25_93:
	s_or_b64 exec, exec, s[0:1]
	s_waitcnt lgkmcnt(0)
	ds_read_b64 v[2:3], v4
	s_andn2_b64 vcc, exec, s[4:5]
	s_cbranch_vccnz .LBB25_95
; %bb.94:
	v_mov_b32_e32 v12, v13
.LBB25_95:
	v_add_u32_e32 v4, s30, v12
	v_ashrrev_i32_e32 v5, 31, v4
	v_lshlrev_b64 v[4:5], 3, v[4:5]
	v_mov_b32_e32 v7, s21
	v_add_co_u32_e32 v4, vcc, s20, v4
	v_addc_co_u32_e32 v5, vcc, v7, v5, vcc
	v_cmp_eq_u32_e32 vcc, 0, v6
	s_waitcnt lgkmcnt(0)
	global_store_dwordx2 v[4:5], v[2:3], off
	s_and_saveexec_b64 s[0:1], vcc
	s_cbranch_execz .LBB25_97
; %bb.96:
	s_add_u32 s2, s10, s6
	s_addc_u32 s3, s11, s7
	v_mov_b32_e32 v2, 0
	v_mov_b32_e32 v3, 1
	s_waitcnt vmcnt(0)
	global_store_dword v2, v3, s[2:3]
.LBB25_97:
	s_or_b64 exec, exec, s[0:1]
.LBB25_98:
	s_endpgm
.LBB25_99:
	s_cbranch_execz .LBB25_98
; %bb.100:
	v_or_b32_e32 v0, v0, v1
	v_cmp_eq_u32_e32 vcc, 0, v0
	s_and_saveexec_b64 s[0:1], vcc
	s_cbranch_execz .LBB25_98
; %bb.101:
	v_mbcnt_lo_u32_b32 v0, exec_lo, 0
	v_mbcnt_hi_u32_b32 v0, exec_hi, v0
	v_cmp_eq_u32_e32 vcc, 0, v0
	s_and_saveexec_b64 s[0:1], vcc
	s_cbranch_execz .LBB25_103
; %bb.102:
	s_add_i32 s2, s12, s13
	v_mov_b32_e32 v0, 0
	v_mov_b32_e32 v1, s2
	global_atomic_smin v0, v1, s[14:15]
.LBB25_103:
	s_or_b64 exec, exec, s[0:1]
	s_add_u32 s0, s10, s6
	s_addc_u32 s1, s11, s7
	v_mov_b32_e32 v0, 0
	v_mov_b32_e32 v1, 1
	s_waitcnt vmcnt(0)
	global_store_dword v0, v1, s[0:1]
	s_endpgm
	.section	.rodata,"a",@progbits
	.p2align	6, 0x0
	.amdhsa_kernel _ZN9rocsparseL26bsric0_2_8_unrolled_kernelILi25ELi32ELi5EdEEv20rocsparse_direction_iiPKiS3_PT2_S3_PiS3_S6_21rocsparse_index_base_
		.amdhsa_group_segment_fixed_size 1344
		.amdhsa_private_segment_fixed_size 0
		.amdhsa_kernarg_size 76
		.amdhsa_user_sgpr_count 6
		.amdhsa_user_sgpr_private_segment_buffer 1
		.amdhsa_user_sgpr_dispatch_ptr 0
		.amdhsa_user_sgpr_queue_ptr 0
		.amdhsa_user_sgpr_kernarg_segment_ptr 1
		.amdhsa_user_sgpr_dispatch_id 0
		.amdhsa_user_sgpr_flat_scratch_init 0
		.amdhsa_user_sgpr_private_segment_size 0
		.amdhsa_uses_dynamic_stack 0
		.amdhsa_system_sgpr_private_segment_wavefront_offset 0
		.amdhsa_system_sgpr_workgroup_id_x 1
		.amdhsa_system_sgpr_workgroup_id_y 0
		.amdhsa_system_sgpr_workgroup_id_z 0
		.amdhsa_system_sgpr_workgroup_info 0
		.amdhsa_system_vgpr_workitem_id 1
		.amdhsa_next_free_vgpr 50
		.amdhsa_next_free_sgpr 40
		.amdhsa_reserve_vcc 1
		.amdhsa_reserve_flat_scratch 0
		.amdhsa_float_round_mode_32 0
		.amdhsa_float_round_mode_16_64 0
		.amdhsa_float_denorm_mode_32 3
		.amdhsa_float_denorm_mode_16_64 3
		.amdhsa_dx10_clamp 1
		.amdhsa_ieee_mode 1
		.amdhsa_fp16_overflow 0
		.amdhsa_exception_fp_ieee_invalid_op 0
		.amdhsa_exception_fp_denorm_src 0
		.amdhsa_exception_fp_ieee_div_zero 0
		.amdhsa_exception_fp_ieee_overflow 0
		.amdhsa_exception_fp_ieee_underflow 0
		.amdhsa_exception_fp_ieee_inexact 0
		.amdhsa_exception_int_div_zero 0
	.end_amdhsa_kernel
	.section	.text._ZN9rocsparseL26bsric0_2_8_unrolled_kernelILi25ELi32ELi5EdEEv20rocsparse_direction_iiPKiS3_PT2_S3_PiS3_S6_21rocsparse_index_base_,"axG",@progbits,_ZN9rocsparseL26bsric0_2_8_unrolled_kernelILi25ELi32ELi5EdEEv20rocsparse_direction_iiPKiS3_PT2_S3_PiS3_S6_21rocsparse_index_base_,comdat
.Lfunc_end25:
	.size	_ZN9rocsparseL26bsric0_2_8_unrolled_kernelILi25ELi32ELi5EdEEv20rocsparse_direction_iiPKiS3_PT2_S3_PiS3_S6_21rocsparse_index_base_, .Lfunc_end25-_ZN9rocsparseL26bsric0_2_8_unrolled_kernelILi25ELi32ELi5EdEEv20rocsparse_direction_iiPKiS3_PT2_S3_PiS3_S6_21rocsparse_index_base_
                                        ; -- End function
	.set _ZN9rocsparseL26bsric0_2_8_unrolled_kernelILi25ELi32ELi5EdEEv20rocsparse_direction_iiPKiS3_PT2_S3_PiS3_S6_21rocsparse_index_base_.num_vgpr, 50
	.set _ZN9rocsparseL26bsric0_2_8_unrolled_kernelILi25ELi32ELi5EdEEv20rocsparse_direction_iiPKiS3_PT2_S3_PiS3_S6_21rocsparse_index_base_.num_agpr, 0
	.set _ZN9rocsparseL26bsric0_2_8_unrolled_kernelILi25ELi32ELi5EdEEv20rocsparse_direction_iiPKiS3_PT2_S3_PiS3_S6_21rocsparse_index_base_.numbered_sgpr, 40
	.set _ZN9rocsparseL26bsric0_2_8_unrolled_kernelILi25ELi32ELi5EdEEv20rocsparse_direction_iiPKiS3_PT2_S3_PiS3_S6_21rocsparse_index_base_.num_named_barrier, 0
	.set _ZN9rocsparseL26bsric0_2_8_unrolled_kernelILi25ELi32ELi5EdEEv20rocsparse_direction_iiPKiS3_PT2_S3_PiS3_S6_21rocsparse_index_base_.private_seg_size, 0
	.set _ZN9rocsparseL26bsric0_2_8_unrolled_kernelILi25ELi32ELi5EdEEv20rocsparse_direction_iiPKiS3_PT2_S3_PiS3_S6_21rocsparse_index_base_.uses_vcc, 1
	.set _ZN9rocsparseL26bsric0_2_8_unrolled_kernelILi25ELi32ELi5EdEEv20rocsparse_direction_iiPKiS3_PT2_S3_PiS3_S6_21rocsparse_index_base_.uses_flat_scratch, 0
	.set _ZN9rocsparseL26bsric0_2_8_unrolled_kernelILi25ELi32ELi5EdEEv20rocsparse_direction_iiPKiS3_PT2_S3_PiS3_S6_21rocsparse_index_base_.has_dyn_sized_stack, 0
	.set _ZN9rocsparseL26bsric0_2_8_unrolled_kernelILi25ELi32ELi5EdEEv20rocsparse_direction_iiPKiS3_PT2_S3_PiS3_S6_21rocsparse_index_base_.has_recursion, 0
	.set _ZN9rocsparseL26bsric0_2_8_unrolled_kernelILi25ELi32ELi5EdEEv20rocsparse_direction_iiPKiS3_PT2_S3_PiS3_S6_21rocsparse_index_base_.has_indirect_call, 0
	.section	.AMDGPU.csdata,"",@progbits
; Kernel info:
; codeLenInByte = 6108
; TotalNumSgprs: 44
; NumVgprs: 50
; ScratchSize: 0
; MemoryBound: 1
; FloatMode: 240
; IeeeMode: 1
; LDSByteSize: 1344 bytes/workgroup (compile time only)
; SGPRBlocks: 5
; VGPRBlocks: 12
; NumSGPRsForWavesPerEU: 44
; NumVGPRsForWavesPerEU: 50
; Occupancy: 4
; WaveLimiterHint : 1
; COMPUTE_PGM_RSRC2:SCRATCH_EN: 0
; COMPUTE_PGM_RSRC2:USER_SGPR: 6
; COMPUTE_PGM_RSRC2:TRAP_HANDLER: 0
; COMPUTE_PGM_RSRC2:TGID_X_EN: 1
; COMPUTE_PGM_RSRC2:TGID_Y_EN: 0
; COMPUTE_PGM_RSRC2:TGID_Z_EN: 0
; COMPUTE_PGM_RSRC2:TIDIG_COMP_CNT: 1
	.section	.text._ZN9rocsparseL26bsric0_2_8_unrolled_kernelILi36ELi32ELi6EdEEv20rocsparse_direction_iiPKiS3_PT2_S3_PiS3_S6_21rocsparse_index_base_,"axG",@progbits,_ZN9rocsparseL26bsric0_2_8_unrolled_kernelILi36ELi32ELi6EdEEv20rocsparse_direction_iiPKiS3_PT2_S3_PiS3_S6_21rocsparse_index_base_,comdat
	.globl	_ZN9rocsparseL26bsric0_2_8_unrolled_kernelILi36ELi32ELi6EdEEv20rocsparse_direction_iiPKiS3_PT2_S3_PiS3_S6_21rocsparse_index_base_ ; -- Begin function _ZN9rocsparseL26bsric0_2_8_unrolled_kernelILi36ELi32ELi6EdEEv20rocsparse_direction_iiPKiS3_PT2_S3_PiS3_S6_21rocsparse_index_base_
	.p2align	8
	.type	_ZN9rocsparseL26bsric0_2_8_unrolled_kernelILi36ELi32ELi6EdEEv20rocsparse_direction_iiPKiS3_PT2_S3_PiS3_S6_21rocsparse_index_base_,@function
_ZN9rocsparseL26bsric0_2_8_unrolled_kernelILi36ELi32ELi6EdEEv20rocsparse_direction_iiPKiS3_PT2_S3_PiS3_S6_21rocsparse_index_base_: ; @_ZN9rocsparseL26bsric0_2_8_unrolled_kernelILi36ELi32ELi6EdEEv20rocsparse_direction_iiPKiS3_PT2_S3_PiS3_S6_21rocsparse_index_base_
; %bb.0:
	s_load_dwordx8 s[8:15], s[4:5], 0x28
	s_mov_b32 s7, 0
	s_lshl_b64 s[0:1], s[6:7], 2
	s_waitcnt lgkmcnt(0)
	s_add_u32 s0, s12, s0
	s_addc_u32 s1, s13, s1
	s_load_dword s12, s[0:1], 0x0
	s_waitcnt lgkmcnt(0)
	s_ashr_i32 s13, s12, 31
	s_lshl_b64 s[6:7], s[12:13], 2
	s_add_u32 s0, s8, s6
	s_addc_u32 s1, s9, s7
	s_load_dword s30, s[0:1], 0x0
	s_load_dword s13, s[4:5], 0x48
	s_waitcnt lgkmcnt(0)
	s_cmp_lg_u32 s30, -1
	s_cbranch_scc0 .LBB26_111
; %bb.1:
	s_load_dwordx4 s[16:19], s[4:5], 0x10
	s_load_dwordx2 s[20:21], s[4:5], 0x20
	v_mad_u32_u24 v12, v1, 6, v0
	s_waitcnt lgkmcnt(0)
	s_add_u32 s0, s16, s6
	s_addc_u32 s1, s17, s7
	s_load_dword s0, s[0:1], 0x0
	s_waitcnt lgkmcnt(0)
	s_sub_i32 s31, s0, s13
	v_add_u32_e32 v2, s31, v12
	v_cmp_ge_i32_e32 vcc, s30, v2
	s_and_saveexec_b64 s[0:1], vcc
	s_cbranch_execz .LBB26_4
; %bb.2:
	v_mov_b32_e32 v3, 0x640
	v_lshl_add_u32 v5, v12, 2, v3
	v_ashrrev_i32_e32 v3, 31, v2
	v_lshlrev_b64 v[3:4], 2, v[2:3]
	v_mov_b32_e32 v6, s19
	v_add_co_u32_e32 v3, vcc, s18, v3
	v_addc_co_u32_e32 v4, vcc, v6, v4, vcc
	s_mov_b64 s[2:3], 0
.LBB26_3:                               ; =>This Inner Loop Header: Depth=1
	global_load_dword v6, v[3:4], off
	v_add_co_u32_e32 v3, vcc, 0x90, v3
	v_add_u32_e32 v2, 36, v2
	v_addc_co_u32_e32 v4, vcc, 0, v4, vcc
	v_cmp_lt_i32_e32 vcc, s30, v2
	s_or_b64 s[2:3], vcc, s[2:3]
	s_waitcnt vmcnt(0)
	v_subrev_u32_e32 v6, s13, v6
	ds_write_b32 v5, v6
	v_add_u32_e32 v5, 0x90, v5
	s_andn2_b64 exec, exec, s[2:3]
	s_cbranch_execnz .LBB26_3
.LBB26_4:
	s_or_b64 exec, exec, s[0:1]
	s_load_dword s33, s[4:5], 0x0
	v_mov_b32_e32 v2, 0x3f0
	v_mad_u32_u24 v14, v1, 56, v2
	v_mov_b32_e32 v2, 0
	v_mul_u32_u24_e32 v15, 6, v1
	v_lshl_add_u32 v13, v0, 3, v14
	v_mov_b32_e32 v3, v2
	s_cmp_ge_i32 s31, s30
	ds_write_b64 v13, v[2:3]
	s_waitcnt lgkmcnt(0)
	s_cbranch_scc1 .LBB26_55
; %bb.5:
	s_cmp_lg_u32 s33, 0
	s_cselect_b64 s[2:3], -1, 0
	s_cmp_eq_u32 s33, 0
	v_mov_b32_e32 v4, 0x2a0
	v_mov_b32_e32 v6, 0x150
	v_mad_u32_u24 v3, v0, 6, v1
	v_mad_u32_u24 v17, v1, 56, v4
	v_lshlrev_b32_e32 v5, 3, v0
	v_mad_u32_u24 v20, v1, 56, v6
	v_mad_u32_u24 v22, v0, 56, v4
	v_or_b32_e32 v4, v0, v1
	s_cselect_b64 vcc, -1, 0
	v_mul_u32_u24_e32 v16, 6, v0
	v_add_u32_e32 v18, v17, v5
	v_mad_u32_u24 v19, v1, 56, v5
	v_add_u32_e32 v21, v20, v5
	v_cmp_ne_u32_e64 s[0:1], 0, v4
	v_cndmask_b32_e32 v3, v3, v12, vcc
	v_mov_b32_e32 v23, 0x3ff00000
	s_mov_b32 s4, s31
	s_branch .LBB26_8
.LBB26_6:                               ;   in Loop: Header=BB26_8 Depth=1
	s_or_b64 exec, exec, s[24:25]
	v_mov_b32_e32 v8, 0
	v_mov_b32_e32 v9, 0x3ff00000
.LBB26_7:                               ;   in Loop: Header=BB26_8 Depth=1
	s_or_b64 exec, exec, s[22:23]
	ds_read2_b64 v[24:27], v2 offset0:35 offset1:36
	ds_read2_b64 v[28:31], v17 offset1:1
	ds_read_b64 v[10:11], v20 offset:40
	s_add_i32 s4, s4, 1
	s_cmp_ge_i32 s4, s30
	s_waitcnt lgkmcnt(0)
	v_fma_f64 v[10:11], v[24:25], v[28:29], v[10:11]
	v_fma_f64 v[10:11], v[26:27], v[30:31], v[10:11]
	ds_read2_b64 v[24:27], v2 offset0:37 offset1:38
	ds_read2_b64 v[28:31], v17 offset0:2 offset1:3
	s_waitcnt lgkmcnt(0)
	v_fma_f64 v[10:11], v[24:25], v[28:29], v[10:11]
	v_fma_f64 v[10:11], v[26:27], v[30:31], v[10:11]
	ds_read_b64 v[24:25], v17 offset:32
	ds_read_b64 v[26:27], v2 offset:312
	s_waitcnt lgkmcnt(0)
	v_fma_f64 v[10:11], v[26:27], v[24:25], v[10:11]
	v_add_f64 v[6:7], v[6:7], -v[10:11]
	v_div_scale_f64 v[10:11], s[22:23], v[8:9], v[8:9], v[6:7]
	s_cselect_b64 s[22:23], -1, 0
	v_rcp_f64_e32 v[24:25], v[10:11]
	v_fma_f64 v[26:27], -v[10:11], v[24:25], 1.0
	v_fma_f64 v[24:25], v[24:25], v[26:27], v[24:25]
	v_div_scale_f64 v[26:27], vcc, v[6:7], v[8:9], v[6:7]
	v_fma_f64 v[28:29], -v[10:11], v[24:25], 1.0
	v_fma_f64 v[24:25], v[24:25], v[28:29], v[24:25]
	v_mul_f64 v[28:29], v[26:27], v[24:25]
	v_fma_f64 v[10:11], -v[10:11], v[28:29], v[26:27]
	v_div_fmas_f64 v[10:11], v[10:11], v[24:25], v[28:29]
	v_div_fixup_f64 v[6:7], v[10:11], v[8:9], v[6:7]
	ds_write_b64 v17, v[6:7] offset:40
	s_waitcnt lgkmcnt(0)
	ds_read_b64 v[8:9], v22 offset:40
	ds_read_b64 v[10:11], v13
	s_waitcnt lgkmcnt(0)
	v_fma_f64 v[6:7], v[6:7], v[8:9], v[10:11]
	ds_write_b64 v13, v[6:7]
	s_waitcnt lgkmcnt(0)
	ds_read_b64 v[6:7], v18
	s_waitcnt lgkmcnt(0)
	global_store_dwordx2 v[4:5], v[6:7], off
	s_waitcnt vmcnt(0)
	buffer_wbinvl1_vol
	s_and_b64 vcc, exec, s[22:23]
	s_cbranch_vccnz .LBB26_55
.LBB26_8:                               ; =>This Loop Header: Depth=1
                                        ;     Child Loop BB26_11 Depth 2
                                        ;     Child Loop BB26_22 Depth 2
	;; [unrolled: 1-line block ×3, first 2 shown]
	s_ashr_i32 s5, s4, 31
	s_lshl_b64 s[22:23], s[4:5], 2
	s_add_u32 s22, s18, s22
	s_addc_u32 s23, s19, s23
	s_load_dword s5, s[22:23], 0x0
	s_waitcnt lgkmcnt(0)
	s_sub_i32 s24, s5, s13
	s_ashr_i32 s25, s24, 31
	s_lshl_b64 s[22:23], s[24:25], 2
	s_add_u32 s26, s8, s22
	s_addc_u32 s27, s9, s23
	s_load_dword s25, s[26:27], 0x0
	s_waitcnt lgkmcnt(0)
	s_cmp_eq_u32 s25, -1
	s_cbranch_scc1 .LBB26_54
; %bb.9:                                ;   in Loop: Header=BB26_8 Depth=1
	v_mad_u64_u32 v[4:5], s[26:27], s4, 36, v[3:4]
	v_mov_b32_e32 v6, s21
	s_add_u32 s26, s16, s22
	v_ashrrev_i32_e32 v5, 31, v4
	v_lshlrev_b64 v[4:5], 3, v[4:5]
	s_addc_u32 s27, s17, s23
	v_add_co_u32_e32 v4, vcc, s20, v4
	v_addc_co_u32_e32 v5, vcc, v6, v5, vcc
	global_load_dwordx2 v[6:7], v[4:5], off
	s_load_dword s26, s[26:27], 0x0
	ds_read_b32 v8, v2 offset:1600
	s_mov_b32 s27, 0
	s_waitcnt lgkmcnt(0)
	s_sub_i32 s26, s26, s13
	s_cmp_le_i32 s26, s25
	v_cmp_ge_i32_e32 vcc, s24, v8
	s_cselect_b64 s[28:29], -1, 0
	s_and_b64 s[28:29], s[28:29], vcc
	s_andn2_b64 vcc, exec, s[28:29]
	s_waitcnt vmcnt(0)
	ds_write_b64 v18, v[6:7]
	s_cbranch_vccnz .LBB26_21
; %bb.10:                               ;   in Loop: Header=BB26_8 Depth=1
	s_mov_b32 s34, 0
	s_mov_b32 s35, 0
.LBB26_11:                              ;   Parent Loop BB26_8 Depth=1
                                        ; =>  This Inner Loop Header: Depth=2
	s_ashr_i32 s27, s26, 31
	s_lshl_b64 s[28:29], s[26:27], 2
	s_add_u32 s28, s18, s28
	s_addc_u32 s29, s19, s29
	s_load_dword s27, s[28:29], 0x0
	s_lshl_b32 s28, s35, 2
	v_mov_b32_e32 v6, s28
	ds_read_b32 v6, v6 offset:1600
	s_mov_b64 s[28:29], -1
	s_waitcnt lgkmcnt(0)
	s_sub_i32 s39, s27, s13
                                        ; implicit-def: $sgpr27
                                        ; implicit-def: $sgpr38
                                        ; implicit-def: $sgpr37
	v_cmp_ge_i32_e32 vcc, s39, v6
	v_readfirstlane_b32 s36, v6
	s_cbranch_vccz .LBB26_17
; %bb.12:                               ;   in Loop: Header=BB26_11 Depth=2
	s_cmp_le_i32 s39, s36
                                        ; implicit-def: $sgpr27
                                        ; implicit-def: $sgpr38
                                        ; implicit-def: $sgpr37
	s_cbranch_scc0 .LBB26_14
; %bb.13:                               ;   in Loop: Header=BB26_11 Depth=2
	s_add_i32 s27, s35, s31
	s_mul_i32 s27, s27, 36
	s_lshl_b32 s28, s34, 2
	v_mov_b32_e32 v6, s28
	v_mov_b32_e32 v7, s27
	s_mul_i32 s27, s26, 36
	v_mov_b32_e32 v8, s27
	v_add_u32_e32 v6, 0x400, v6
	ds_write2_b32 v6, v8, v7 offset0:80 offset1:112
	s_add_i32 s37, s35, 1
	s_add_i32 s38, s26, 1
	;; [unrolled: 1-line block ×3, first 2 shown]
	s_mov_b64 s[28:29], 0
.LBB26_14:                              ;   in Loop: Header=BB26_11 Depth=2
	s_andn2_b64 vcc, exec, s[28:29]
	s_cbranch_vccnz .LBB26_16
; %bb.15:                               ;   in Loop: Header=BB26_11 Depth=2
	s_add_i32 s37, s35, 1
	s_mov_b32 s27, s34
	s_mov_b32 s38, s26
.LBB26_16:                              ;   in Loop: Header=BB26_11 Depth=2
	s_mov_b64 s[28:29], 0
.LBB26_17:                              ;   in Loop: Header=BB26_11 Depth=2
	s_andn2_b64 vcc, exec, s[28:29]
	s_cbranch_vccnz .LBB26_19
; %bb.18:                               ;   in Loop: Header=BB26_11 Depth=2
	s_add_i32 s38, s26, 1
	s_mov_b32 s37, s35
	s_mov_b32 s27, s34
.LBB26_19:                              ;   in Loop: Header=BB26_11 Depth=2
	s_cmp_le_i32 s38, s25
	s_cselect_b64 s[28:29], -1, 0
	s_cmp_le_i32 s36, s24
	s_cselect_b64 s[34:35], -1, 0
	s_and_b64 s[28:29], s[28:29], s[34:35]
	s_and_b64 vcc, exec, s[28:29]
	s_cbranch_vccz .LBB26_21
; %bb.20:                               ;   in Loop: Header=BB26_11 Depth=2
	s_mov_b32 s34, s27
	s_mov_b32 s26, s38
	s_mov_b32 s35, s37
	s_branch .LBB26_11
.LBB26_21:                              ;   in Loop: Header=BB26_8 Depth=1
	s_add_u32 s22, s10, s22
	s_addc_u32 s23, s11, s23
	s_waitcnt lgkmcnt(0)
.LBB26_22:                              ;   Parent Loop BB26_8 Depth=1
                                        ; =>  This Inner Loop Header: Depth=2
	global_load_dword v6, v2, s[22:23] glc
	s_waitcnt vmcnt(0)
	v_cmp_eq_u32_e32 vcc, 0, v6
	s_cbranch_vccnz .LBB26_22
; %bb.23:                               ;   in Loop: Header=BB26_8 Depth=1
	v_mad_u64_u32 v[6:7], s[22:23], s25, 36, v[3:4]
	v_mov_b32_e32 v8, s21
	buffer_wbinvl1_vol
	v_ashrrev_i32_e32 v7, 31, v6
	v_lshlrev_b64 v[6:7], 3, v[6:7]
	v_mov_b32_e32 v10, 0
	v_add_co_u32_e32 v6, vcc, s20, v6
	v_addc_co_u32_e32 v7, vcc, v8, v7, vcc
	global_load_dwordx2 v[6:7], v[6:7], off
	v_mov_b32_e32 v11, 0
	s_cmp_lt_i32 s27, 2
	s_waitcnt vmcnt(0)
	ds_write_b64 v19, v[6:7]
	s_waitcnt lgkmcnt(0)
	s_cbranch_scc1 .LBB26_31
; %bb.24:                               ;   in Loop: Header=BB26_8 Depth=1
	v_mov_b32_e32 v6, 0
	s_add_i32 s24, s27, -1
	v_mov_b32_e32 v7, 0
	s_movk_i32 s25, 0x540
.LBB26_25:                              ;   Parent Loop BB26_8 Depth=1
                                        ; =>  This Inner Loop Header: Depth=2
	s_waitcnt lgkmcnt(0)
	v_mov_b32_e32 v8, s25
	ds_read2_b32 v[8:9], v8 offset1:32
	s_mov_b64 s[22:23], -1
	s_and_b64 vcc, exec, s[2:3]
                                        ; implicit-def: $vgpr10_vgpr11
	s_cbranch_vccz .LBB26_28
; %bb.26:                               ;   in Loop: Header=BB26_25 Depth=2
	s_waitcnt lgkmcnt(0)
	v_add_u32_e32 v10, v8, v0
	v_ashrrev_i32_e32 v11, 31, v10
	v_lshlrev_b64 v[24:25], 3, v[10:11]
	v_add_u32_e32 v26, v9, v1
	v_ashrrev_i32_e32 v27, 31, v26
	v_mov_b32_e32 v11, s21
	v_add_co_u32_e32 v24, vcc, s20, v24
	v_lshlrev_b64 v[27:28], 3, v[26:27]
	v_add_u32_e32 v29, 6, v10
	v_addc_co_u32_e32 v25, vcc, v11, v25, vcc
	v_ashrrev_i32_e32 v30, 31, v29
	v_add_co_u32_e32 v27, vcc, s20, v27
	v_lshlrev_b64 v[29:30], 3, v[29:30]
	v_add_u32_e32 v31, 6, v26
	v_addc_co_u32_e32 v28, vcc, v11, v28, vcc
	v_ashrrev_i32_e32 v32, 31, v31
	v_add_co_u32_e32 v29, vcc, s20, v29
	v_lshlrev_b64 v[31:32], 3, v[31:32]
	v_addc_co_u32_e32 v30, vcc, v11, v30, vcc
	v_add_co_u32_e32 v31, vcc, s20, v31
	v_addc_co_u32_e32 v32, vcc, v11, v32, vcc
	global_load_dwordx2 v[33:34], v[24:25], off
	global_load_dwordx2 v[35:36], v[27:28], off
	;; [unrolled: 1-line block ×4, first 2 shown]
	v_add_u32_e32 v24, 12, v10
	v_ashrrev_i32_e32 v25, 31, v24
	v_lshlrev_b64 v[24:25], 3, v[24:25]
	v_add_u32_e32 v27, 12, v26
	v_ashrrev_i32_e32 v28, 31, v27
	v_add_co_u32_e32 v24, vcc, s20, v24
	v_lshlrev_b64 v[27:28], 3, v[27:28]
	v_add_u32_e32 v29, 18, v10
	v_addc_co_u32_e32 v25, vcc, v11, v25, vcc
	v_ashrrev_i32_e32 v30, 31, v29
	v_add_co_u32_e32 v27, vcc, s20, v27
	v_lshlrev_b64 v[29:30], 3, v[29:30]
	v_add_u32_e32 v31, 18, v26
	v_addc_co_u32_e32 v28, vcc, v11, v28, vcc
	v_ashrrev_i32_e32 v32, 31, v31
	v_add_co_u32_e32 v29, vcc, s20, v29
	v_lshlrev_b64 v[31:32], 3, v[31:32]
	v_addc_co_u32_e32 v30, vcc, v11, v30, vcc
	v_add_co_u32_e32 v31, vcc, s20, v31
	v_addc_co_u32_e32 v32, vcc, v11, v32, vcc
	global_load_dwordx2 v[41:42], v[24:25], off
	global_load_dwordx2 v[43:44], v[27:28], off
	;; [unrolled: 1-line block ×4, first 2 shown]
	v_add_u32_e32 v24, 24, v10
	v_ashrrev_i32_e32 v25, 31, v24
	v_lshlrev_b64 v[24:25], 3, v[24:25]
	v_add_u32_e32 v27, 24, v26
	v_ashrrev_i32_e32 v28, 31, v27
	v_add_co_u32_e32 v24, vcc, s20, v24
	v_lshlrev_b64 v[27:28], 3, v[27:28]
	v_addc_co_u32_e32 v25, vcc, v11, v25, vcc
	v_add_co_u32_e32 v27, vcc, s20, v27
	v_add_u32_e32 v10, 30, v10
	v_addc_co_u32_e32 v28, vcc, v11, v28, vcc
	v_ashrrev_i32_e32 v11, 31, v10
	global_load_dwordx2 v[29:30], v[24:25], off
	global_load_dwordx2 v[31:32], v[27:28], off
	v_lshlrev_b64 v[10:11], 3, v[10:11]
	v_mov_b32_e32 v24, s21
	v_add_co_u32_e32 v10, vcc, s20, v10
	v_addc_co_u32_e32 v11, vcc, v24, v11, vcc
	v_add_u32_e32 v24, 30, v26
	v_ashrrev_i32_e32 v25, 31, v24
	v_lshlrev_b64 v[24:25], 3, v[24:25]
	v_mov_b32_e32 v26, s21
	v_add_co_u32_e32 v24, vcc, s20, v24
	v_addc_co_u32_e32 v25, vcc, v26, v25, vcc
	global_load_dwordx2 v[26:27], v[10:11], off
	global_load_dwordx2 v[49:50], v[24:25], off
	s_waitcnt vmcnt(10)
	v_fma_f64 v[10:11], v[33:34], v[35:36], v[6:7]
	s_waitcnt vmcnt(8)
	v_fma_f64 v[10:11], v[37:38], v[39:40], v[10:11]
	s_waitcnt vmcnt(6)
	v_fma_f64 v[10:11], v[41:42], v[43:44], v[10:11]
	s_waitcnt vmcnt(4)
	v_fma_f64 v[10:11], v[45:46], v[47:48], v[10:11]
	s_waitcnt vmcnt(2)
	v_fma_f64 v[10:11], v[29:30], v[31:32], v[10:11]
	s_waitcnt vmcnt(0)
	v_fma_f64 v[10:11], v[26:27], v[49:50], v[10:11]
	s_cbranch_execz .LBB26_29
.LBB26_27:                              ;   in Loop: Header=BB26_25 Depth=2
	s_add_i32 s24, s24, -1
	s_add_i32 s25, s25, 4
	s_cmp_eq_u32 s24, 0
	s_cbranch_scc0 .LBB26_30
	s_branch .LBB26_31
.LBB26_28:                              ;   in Loop: Header=BB26_25 Depth=2
	s_andn2_b64 vcc, exec, s[22:23]
	s_cbranch_vccnz .LBB26_27
.LBB26_29:                              ;   in Loop: Header=BB26_25 Depth=2
	s_waitcnt lgkmcnt(0)
	v_add_u32_e32 v10, v8, v16
	v_ashrrev_i32_e32 v11, 31, v10
	v_lshlrev_b64 v[10:11], 3, v[10:11]
	v_mov_b32_e32 v8, s21
	v_add_co_u32_e32 v36, vcc, s20, v10
	v_addc_co_u32_e32 v37, vcc, v8, v11, vcc
	v_add_u32_e32 v8, v9, v15
	v_ashrrev_i32_e32 v9, 31, v8
	v_lshlrev_b64 v[8:9], 3, v[8:9]
	v_mov_b32_e32 v10, s21
	v_add_co_u32_e32 v38, vcc, s20, v8
	v_addc_co_u32_e32 v39, vcc, v10, v9, vcc
	global_load_dwordx4 v[8:11], v[38:39], off
	global_load_dwordx4 v[24:27], v[36:37], off
	global_load_dwordx4 v[28:31], v[36:37], off offset:16
	global_load_dwordx4 v[32:35], v[36:37], off offset:32
	s_waitcnt vmcnt(2)
	v_fma_f64 v[6:7], v[24:25], v[8:9], v[6:7]
	v_fma_f64 v[10:11], v[26:27], v[10:11], v[6:7]
	global_load_dwordx4 v[6:9], v[38:39], off offset:16
	global_load_dwordx4 v[24:27], v[38:39], off offset:32
	s_waitcnt vmcnt(1)
	v_fma_f64 v[6:7], v[28:29], v[6:7], v[10:11]
	v_fma_f64 v[6:7], v[30:31], v[8:9], v[6:7]
	s_waitcnt vmcnt(0)
	v_fma_f64 v[6:7], v[32:33], v[24:25], v[6:7]
	v_fma_f64 v[10:11], v[34:35], v[26:27], v[6:7]
	s_add_i32 s24, s24, -1
	s_add_i32 s25, s25, 4
	s_cmp_eq_u32 s24, 0
	s_cbranch_scc1 .LBB26_31
.LBB26_30:                              ;   in Loop: Header=BB26_25 Depth=2
	v_mov_b32_e32 v6, v10
	v_mov_b32_e32 v7, v11
	s_branch .LBB26_25
.LBB26_31:                              ;   in Loop: Header=BB26_8 Depth=1
	ds_write_b64 v21, v[10:11]
	s_waitcnt lgkmcnt(0)
	ds_read_b64 v[8:9], v2
	ds_read_b64 v[6:7], v17
	s_waitcnt lgkmcnt(1)
	v_cmp_neq_f64_e32 vcc, 0, v[8:9]
	v_cndmask_b32_e32 v9, v23, v9, vcc
	s_nor_b64 s[24:25], vcc, s[0:1]
	v_cndmask_b32_e32 v8, 0, v8, vcc
	s_and_saveexec_b64 s[22:23], s[24:25]
	s_cbranch_execz .LBB26_35
; %bb.32:                               ;   in Loop: Header=BB26_8 Depth=1
	v_mbcnt_lo_u32_b32 v8, exec_lo, 0
	v_mbcnt_hi_u32_b32 v8, exec_hi, v8
	v_cmp_eq_u32_e32 vcc, 0, v8
	s_and_saveexec_b64 s[24:25], vcc
	s_cbranch_execz .LBB26_34
; %bb.33:                               ;   in Loop: Header=BB26_8 Depth=1
	v_mov_b32_e32 v8, s5
	global_atomic_smin v2, v8, s[14:15]
.LBB26_34:                              ;   in Loop: Header=BB26_8 Depth=1
	s_or_b64 exec, exec, s[24:25]
	v_mov_b32_e32 v8, 0
	v_mov_b32_e32 v9, 0x3ff00000
.LBB26_35:                              ;   in Loop: Header=BB26_8 Depth=1
	s_or_b64 exec, exec, s[22:23]
	ds_read_b64 v[10:11], v20
	s_waitcnt lgkmcnt(0)
	v_add_f64 v[6:7], v[6:7], -v[10:11]
	v_div_scale_f64 v[10:11], s[22:23], v[8:9], v[8:9], v[6:7]
	v_rcp_f64_e32 v[24:25], v[10:11]
	v_fma_f64 v[26:27], -v[10:11], v[24:25], 1.0
	v_fma_f64 v[24:25], v[24:25], v[26:27], v[24:25]
	v_div_scale_f64 v[26:27], vcc, v[6:7], v[8:9], v[6:7]
	v_fma_f64 v[28:29], -v[10:11], v[24:25], 1.0
	v_fma_f64 v[24:25], v[24:25], v[28:29], v[24:25]
	v_mul_f64 v[28:29], v[26:27], v[24:25]
	v_fma_f64 v[10:11], -v[10:11], v[28:29], v[26:27]
	v_div_fmas_f64 v[10:11], v[10:11], v[24:25], v[28:29]
	v_div_fixup_f64 v[6:7], v[10:11], v[8:9], v[6:7]
	ds_write_b64 v17, v[6:7]
	s_waitcnt lgkmcnt(0)
	ds_read_b64 v[8:9], v22
	ds_read_b64 v[10:11], v13
	s_waitcnt lgkmcnt(0)
	v_fma_f64 v[6:7], v[6:7], v[8:9], v[10:11]
	ds_write_b64 v13, v[6:7]
	s_waitcnt lgkmcnt(0)
	ds_read_b64 v[8:9], v2 offset:64
	ds_read_b64 v[6:7], v17 offset:8
	s_waitcnt lgkmcnt(1)
	v_cmp_neq_f64_e32 vcc, 0, v[8:9]
	v_cndmask_b32_e32 v9, v23, v9, vcc
	s_nor_b64 s[24:25], vcc, s[0:1]
	v_cndmask_b32_e32 v8, 0, v8, vcc
	s_and_saveexec_b64 s[22:23], s[24:25]
	s_cbranch_execz .LBB26_39
; %bb.36:                               ;   in Loop: Header=BB26_8 Depth=1
	v_mbcnt_lo_u32_b32 v8, exec_lo, 0
	v_mbcnt_hi_u32_b32 v8, exec_hi, v8
	v_cmp_eq_u32_e32 vcc, 0, v8
	s_and_saveexec_b64 s[24:25], vcc
	s_cbranch_execz .LBB26_38
; %bb.37:                               ;   in Loop: Header=BB26_8 Depth=1
	v_mov_b32_e32 v8, s5
	global_atomic_smin v2, v8, s[14:15]
.LBB26_38:                              ;   in Loop: Header=BB26_8 Depth=1
	s_or_b64 exec, exec, s[24:25]
	v_mov_b32_e32 v8, 0
	v_mov_b32_e32 v9, 0x3ff00000
.LBB26_39:                              ;   in Loop: Header=BB26_8 Depth=1
	s_or_b64 exec, exec, s[22:23]
	ds_read_b64 v[10:11], v2 offset:56
	ds_read_b64 v[24:25], v17
	ds_read_b64 v[26:27], v20 offset:8
	s_waitcnt lgkmcnt(0)
	v_fma_f64 v[10:11], v[10:11], v[24:25], v[26:27]
	v_add_f64 v[6:7], v[6:7], -v[10:11]
	v_div_scale_f64 v[10:11], s[22:23], v[8:9], v[8:9], v[6:7]
	v_rcp_f64_e32 v[24:25], v[10:11]
	v_fma_f64 v[26:27], -v[10:11], v[24:25], 1.0
	v_fma_f64 v[24:25], v[24:25], v[26:27], v[24:25]
	v_div_scale_f64 v[26:27], vcc, v[6:7], v[8:9], v[6:7]
	v_fma_f64 v[28:29], -v[10:11], v[24:25], 1.0
	v_fma_f64 v[24:25], v[24:25], v[28:29], v[24:25]
	v_mul_f64 v[28:29], v[26:27], v[24:25]
	v_fma_f64 v[10:11], -v[10:11], v[28:29], v[26:27]
	v_div_fmas_f64 v[10:11], v[10:11], v[24:25], v[28:29]
	v_div_fixup_f64 v[6:7], v[10:11], v[8:9], v[6:7]
	ds_write_b64 v17, v[6:7] offset:8
	s_waitcnt lgkmcnt(0)
	ds_read_b64 v[8:9], v22 offset:8
	ds_read_b64 v[10:11], v13
	s_waitcnt lgkmcnt(0)
	v_fma_f64 v[6:7], v[6:7], v[8:9], v[10:11]
	ds_write_b64 v13, v[6:7]
	s_waitcnt lgkmcnt(0)
	ds_read_b64 v[8:9], v2 offset:128
	ds_read_b64 v[6:7], v17 offset:16
	s_waitcnt lgkmcnt(1)
	v_cmp_neq_f64_e32 vcc, 0, v[8:9]
	v_cndmask_b32_e32 v9, v23, v9, vcc
	s_nor_b64 s[24:25], vcc, s[0:1]
	v_cndmask_b32_e32 v8, 0, v8, vcc
	s_and_saveexec_b64 s[22:23], s[24:25]
	s_cbranch_execz .LBB26_43
; %bb.40:                               ;   in Loop: Header=BB26_8 Depth=1
	v_mbcnt_lo_u32_b32 v8, exec_lo, 0
	v_mbcnt_hi_u32_b32 v8, exec_hi, v8
	v_cmp_eq_u32_e32 vcc, 0, v8
	s_and_saveexec_b64 s[24:25], vcc
	s_cbranch_execz .LBB26_42
; %bb.41:                               ;   in Loop: Header=BB26_8 Depth=1
	v_mov_b32_e32 v8, s5
	global_atomic_smin v2, v8, s[14:15]
.LBB26_42:                              ;   in Loop: Header=BB26_8 Depth=1
	s_or_b64 exec, exec, s[24:25]
	v_mov_b32_e32 v8, 0
	v_mov_b32_e32 v9, 0x3ff00000
.LBB26_43:                              ;   in Loop: Header=BB26_8 Depth=1
	s_or_b64 exec, exec, s[22:23]
	ds_read_b128 v[24:27], v2 offset:112
	ds_read2_b64 v[28:31], v17 offset1:1
	ds_read_b64 v[10:11], v20 offset:16
	s_waitcnt lgkmcnt(0)
	v_fma_f64 v[10:11], v[24:25], v[28:29], v[10:11]
	v_fma_f64 v[10:11], v[26:27], v[30:31], v[10:11]
	v_add_f64 v[6:7], v[6:7], -v[10:11]
	v_div_scale_f64 v[10:11], s[22:23], v[8:9], v[8:9], v[6:7]
	v_rcp_f64_e32 v[24:25], v[10:11]
	v_fma_f64 v[26:27], -v[10:11], v[24:25], 1.0
	v_fma_f64 v[24:25], v[24:25], v[26:27], v[24:25]
	v_div_scale_f64 v[26:27], vcc, v[6:7], v[8:9], v[6:7]
	v_fma_f64 v[28:29], -v[10:11], v[24:25], 1.0
	v_fma_f64 v[24:25], v[24:25], v[28:29], v[24:25]
	v_mul_f64 v[28:29], v[26:27], v[24:25]
	v_fma_f64 v[10:11], -v[10:11], v[28:29], v[26:27]
	v_div_fmas_f64 v[10:11], v[10:11], v[24:25], v[28:29]
	v_div_fixup_f64 v[6:7], v[10:11], v[8:9], v[6:7]
	ds_write_b64 v17, v[6:7] offset:16
	s_waitcnt lgkmcnt(0)
	ds_read_b64 v[8:9], v22 offset:16
	ds_read_b64 v[10:11], v13
	s_waitcnt lgkmcnt(0)
	v_fma_f64 v[6:7], v[6:7], v[8:9], v[10:11]
	ds_write_b64 v13, v[6:7]
	s_waitcnt lgkmcnt(0)
	ds_read_b64 v[8:9], v2 offset:192
	ds_read_b64 v[6:7], v17 offset:24
	s_waitcnt lgkmcnt(1)
	v_cmp_neq_f64_e32 vcc, 0, v[8:9]
	v_cndmask_b32_e32 v9, v23, v9, vcc
	s_nor_b64 s[24:25], vcc, s[0:1]
	v_cndmask_b32_e32 v8, 0, v8, vcc
	s_and_saveexec_b64 s[22:23], s[24:25]
	s_cbranch_execz .LBB26_47
; %bb.44:                               ;   in Loop: Header=BB26_8 Depth=1
	v_mbcnt_lo_u32_b32 v8, exec_lo, 0
	v_mbcnt_hi_u32_b32 v8, exec_hi, v8
	v_cmp_eq_u32_e32 vcc, 0, v8
	s_and_saveexec_b64 s[24:25], vcc
	s_cbranch_execz .LBB26_46
; %bb.45:                               ;   in Loop: Header=BB26_8 Depth=1
	v_mov_b32_e32 v8, s5
	global_atomic_smin v2, v8, s[14:15]
.LBB26_46:                              ;   in Loop: Header=BB26_8 Depth=1
	s_or_b64 exec, exec, s[24:25]
	v_mov_b32_e32 v8, 0
	v_mov_b32_e32 v9, 0x3ff00000
.LBB26_47:                              ;   in Loop: Header=BB26_8 Depth=1
	s_or_b64 exec, exec, s[22:23]
	ds_read2_b64 v[24:27], v17 offset1:1
	ds_read2_b64 v[28:31], v2 offset0:21 offset1:22
	ds_read_b64 v[10:11], v20 offset:24
	s_waitcnt lgkmcnt(0)
	v_fma_f64 v[10:11], v[28:29], v[24:25], v[10:11]
	v_fma_f64 v[10:11], v[30:31], v[26:27], v[10:11]
	ds_read_b64 v[24:25], v17 offset:16
	ds_read_b64 v[26:27], v2 offset:184
	s_waitcnt lgkmcnt(0)
	v_fma_f64 v[10:11], v[26:27], v[24:25], v[10:11]
	v_add_f64 v[6:7], v[6:7], -v[10:11]
	v_div_scale_f64 v[10:11], s[22:23], v[8:9], v[8:9], v[6:7]
	v_rcp_f64_e32 v[24:25], v[10:11]
	v_fma_f64 v[26:27], -v[10:11], v[24:25], 1.0
	v_fma_f64 v[24:25], v[24:25], v[26:27], v[24:25]
	v_div_scale_f64 v[26:27], vcc, v[6:7], v[8:9], v[6:7]
	v_fma_f64 v[28:29], -v[10:11], v[24:25], 1.0
	v_fma_f64 v[24:25], v[24:25], v[28:29], v[24:25]
	v_mul_f64 v[28:29], v[26:27], v[24:25]
	v_fma_f64 v[10:11], -v[10:11], v[28:29], v[26:27]
	v_div_fmas_f64 v[10:11], v[10:11], v[24:25], v[28:29]
	v_div_fixup_f64 v[6:7], v[10:11], v[8:9], v[6:7]
	ds_write_b64 v17, v[6:7] offset:24
	s_waitcnt lgkmcnt(0)
	ds_read_b64 v[8:9], v22 offset:24
	ds_read_b64 v[10:11], v13
	s_waitcnt lgkmcnt(0)
	v_fma_f64 v[6:7], v[6:7], v[8:9], v[10:11]
	ds_write_b64 v13, v[6:7]
	s_waitcnt lgkmcnt(0)
	ds_read_b64 v[8:9], v2 offset:256
	ds_read_b64 v[6:7], v17 offset:32
	s_waitcnt lgkmcnt(1)
	v_cmp_neq_f64_e32 vcc, 0, v[8:9]
	v_cndmask_b32_e32 v9, v23, v9, vcc
	s_nor_b64 s[24:25], vcc, s[0:1]
	v_cndmask_b32_e32 v8, 0, v8, vcc
	s_and_saveexec_b64 s[22:23], s[24:25]
	s_cbranch_execz .LBB26_51
; %bb.48:                               ;   in Loop: Header=BB26_8 Depth=1
	v_mbcnt_lo_u32_b32 v8, exec_lo, 0
	v_mbcnt_hi_u32_b32 v8, exec_hi, v8
	v_cmp_eq_u32_e32 vcc, 0, v8
	s_and_saveexec_b64 s[24:25], vcc
	s_cbranch_execz .LBB26_50
; %bb.49:                               ;   in Loop: Header=BB26_8 Depth=1
	v_mov_b32_e32 v8, s5
	global_atomic_smin v2, v8, s[14:15]
.LBB26_50:                              ;   in Loop: Header=BB26_8 Depth=1
	s_or_b64 exec, exec, s[24:25]
	v_mov_b32_e32 v8, 0
	v_mov_b32_e32 v9, 0x3ff00000
.LBB26_51:                              ;   in Loop: Header=BB26_8 Depth=1
	s_or_b64 exec, exec, s[22:23]
	ds_read2_b64 v[24:27], v17 offset1:1
	ds_read_b128 v[28:31], v2 offset:224
	ds_read_b64 v[10:11], v20 offset:32
	s_waitcnt lgkmcnt(0)
	v_fma_f64 v[10:11], v[28:29], v[24:25], v[10:11]
	v_fma_f64 v[10:11], v[30:31], v[26:27], v[10:11]
	ds_read2_b64 v[24:27], v17 offset0:2 offset1:3
	ds_read_b128 v[28:31], v2 offset:240
	s_waitcnt lgkmcnt(0)
	v_fma_f64 v[10:11], v[28:29], v[24:25], v[10:11]
	v_fma_f64 v[10:11], v[30:31], v[26:27], v[10:11]
	v_add_f64 v[6:7], v[6:7], -v[10:11]
	v_div_scale_f64 v[10:11], s[22:23], v[8:9], v[8:9], v[6:7]
	v_rcp_f64_e32 v[24:25], v[10:11]
	v_fma_f64 v[26:27], -v[10:11], v[24:25], 1.0
	v_fma_f64 v[24:25], v[24:25], v[26:27], v[24:25]
	v_div_scale_f64 v[26:27], vcc, v[6:7], v[8:9], v[6:7]
	v_fma_f64 v[28:29], -v[10:11], v[24:25], 1.0
	v_fma_f64 v[24:25], v[24:25], v[28:29], v[24:25]
	v_mul_f64 v[28:29], v[26:27], v[24:25]
	v_fma_f64 v[10:11], -v[10:11], v[28:29], v[26:27]
	v_div_fmas_f64 v[10:11], v[10:11], v[24:25], v[28:29]
	v_div_fixup_f64 v[6:7], v[10:11], v[8:9], v[6:7]
	ds_write_b64 v17, v[6:7] offset:32
	s_waitcnt lgkmcnt(0)
	ds_read_b64 v[8:9], v22 offset:32
	ds_read_b64 v[10:11], v13
	s_waitcnt lgkmcnt(0)
	v_fma_f64 v[6:7], v[6:7], v[8:9], v[10:11]
	ds_write_b64 v13, v[6:7]
	s_waitcnt lgkmcnt(0)
	ds_read_b64 v[8:9], v2 offset:320
	ds_read_b64 v[6:7], v17 offset:40
	s_waitcnt lgkmcnt(1)
	v_cmp_neq_f64_e32 vcc, 0, v[8:9]
	v_cndmask_b32_e32 v9, v23, v9, vcc
	s_nor_b64 s[24:25], vcc, s[0:1]
	v_cndmask_b32_e32 v8, 0, v8, vcc
	s_and_saveexec_b64 s[22:23], s[24:25]
	s_cbranch_execz .LBB26_7
; %bb.52:                               ;   in Loop: Header=BB26_8 Depth=1
	v_mbcnt_lo_u32_b32 v8, exec_lo, 0
	v_mbcnt_hi_u32_b32 v8, exec_hi, v8
	v_cmp_eq_u32_e32 vcc, 0, v8
	s_and_saveexec_b64 s[24:25], vcc
	s_cbranch_execz .LBB26_6
; %bb.53:                               ;   in Loop: Header=BB26_8 Depth=1
	v_mov_b32_e32 v8, s5
	global_atomic_smin v2, v8, s[14:15]
	s_branch .LBB26_6
.LBB26_54:                              ;   in Loop: Header=BB26_8 Depth=1
                                        ; implicit-def: $sgpr4
	s_cbranch_execz .LBB26_8
.LBB26_55:
	s_cmp_lg_u32 s33, 0
	s_cselect_b64 s[4:5], -1, 0
	s_cmp_eq_u32 s33, 0
	v_mov_b32_e32 v2, v12
	s_cbranch_scc1 .LBB26_57
; %bb.56:
	v_mad_u32_u24 v2, v0, 6, v1
.LBB26_57:
	s_mul_i32 s30, s30, 36
	v_add_u32_e32 v2, s30, v2
	v_ashrrev_i32_e32 v3, 31, v2
	v_lshlrev_b64 v[2:3], 3, v[2:3]
	v_mov_b32_e32 v4, s21
	v_add_co_u32_e32 v2, vcc, s20, v2
	v_addc_co_u32_e32 v3, vcc, v4, v3, vcc
	global_load_dwordx2 v[2:3], v[2:3], off
	v_mov_b32_e32 v4, 0x2a0
	v_mad_u32_u24 v5, v1, 56, v4
	v_cmp_ne_u32_e32 vcc, 0, v1
	v_lshl_add_u32 v4, v0, 3, v5
	v_cmp_eq_u32_e64 s[0:1], 0, v1
	s_waitcnt vmcnt(0)
	ds_write_b64 v4, v[2:3]
	s_waitcnt lgkmcnt(0)
	s_and_saveexec_b64 s[2:3], s[0:1]
	s_cbranch_execz .LBB26_59
; %bb.58:
	v_mov_b32_e32 v15, 0
	ds_read2_b64 v[6:9], v15 offset0:84 offset1:126
	s_mov_b32 s8, 0
	s_brev_b32 s9, 8
	s_waitcnt lgkmcnt(0)
	v_add_f64 v[2:3], v[6:7], -v[8:9]
	v_cmp_gt_f64_e64 s[0:1], 0, v[2:3]
	v_xor_b32_e32 v6, 0x80000000, v3
	v_cndmask_b32_e64 v3, v3, v6, s[0:1]
	v_cmp_gt_f64_e64 s[0:1], s[8:9], v[2:3]
	s_and_b64 s[0:1], s[0:1], exec
	s_cselect_b32 s0, 0x100, 0
	v_ldexp_f64 v[2:3], v[2:3], s0
	s_cselect_b32 s0, 0xffffff80, 0
	v_rsq_f64_e32 v[6:7], v[2:3]
	v_mul_f64 v[8:9], v[2:3], v[6:7]
	v_mul_f64 v[6:7], v[6:7], 0.5
	v_fma_f64 v[10:11], -v[6:7], v[8:9], 0.5
	v_fma_f64 v[8:9], v[8:9], v[10:11], v[8:9]
	v_fma_f64 v[6:7], v[6:7], v[10:11], v[6:7]
	v_fma_f64 v[10:11], -v[8:9], v[8:9], v[2:3]
	v_fma_f64 v[8:9], v[10:11], v[6:7], v[8:9]
	v_fma_f64 v[10:11], -v[8:9], v[8:9], v[2:3]
	v_fma_f64 v[6:7], v[10:11], v[6:7], v[8:9]
	v_mov_b32_e32 v8, 0x260
	v_ldexp_f64 v[6:7], v[6:7], s0
	v_cmp_class_f64_e64 s[0:1], v[2:3], v8
	v_cndmask_b32_e64 v3, v7, v3, s[0:1]
	v_cndmask_b32_e64 v2, v6, v2, s[0:1]
	ds_write_b64 v15, v[2:3] offset:672
.LBB26_59:
	s_or_b64 exec, exec, s[2:3]
	v_mov_b32_e32 v2, 0
	s_waitcnt lgkmcnt(0)
	ds_read_b64 v[2:3], v2 offset:672
	v_or_b32_e32 v6, v0, v1
	v_mov_b32_e32 v7, 0x3ff00000
	v_cmp_ne_u32_e64 s[0:1], 0, v6
	s_add_i32 s18, s12, s13
	s_waitcnt lgkmcnt(0)
	v_cmp_neq_f64_e64 s[2:3], 0, v[2:3]
	v_cndmask_b32_e64 v3, v7, v3, s[2:3]
	s_nor_b64 s[16:17], s[2:3], s[0:1]
	v_cndmask_b32_e64 v2, 0, v2, s[2:3]
	s_and_saveexec_b64 s[8:9], s[16:17]
	s_cbranch_execz .LBB26_63
; %bb.60:
	v_mbcnt_lo_u32_b32 v2, exec_lo, 0
	v_mbcnt_hi_u32_b32 v2, exec_hi, v2
	v_cmp_eq_u32_e64 s[2:3], 0, v2
	s_and_saveexec_b64 s[16:17], s[2:3]
	s_cbranch_execz .LBB26_62
; %bb.61:
	v_mov_b32_e32 v2, 0
	v_mov_b32_e32 v3, s18
	global_atomic_smin v2, v3, s[14:15]
.LBB26_62:
	s_or_b64 exec, exec, s[16:17]
	v_mov_b32_e32 v2, 0
	v_mov_b32_e32 v3, 0x3ff00000
.LBB26_63:
	s_or_b64 exec, exec, s[8:9]
	v_mov_b32_e32 v7, 0x2a0
	v_mad_u32_u24 v7, v0, 56, v7
	s_and_saveexec_b64 s[2:3], vcc
	s_cbranch_execz .LBB26_65
; %bb.64:
	ds_read_b64 v[8:9], v5
	ds_read_b64 v[10:11], v14
	s_waitcnt lgkmcnt(0)
	v_add_f64 v[8:9], v[8:9], -v[10:11]
	v_div_scale_f64 v[10:11], s[8:9], v[2:3], v[2:3], v[8:9]
	v_rcp_f64_e32 v[15:16], v[10:11]
	v_fma_f64 v[17:18], -v[10:11], v[15:16], 1.0
	v_fma_f64 v[15:16], v[15:16], v[17:18], v[15:16]
	v_div_scale_f64 v[17:18], vcc, v[8:9], v[2:3], v[8:9]
	v_fma_f64 v[19:20], -v[10:11], v[15:16], 1.0
	v_fma_f64 v[15:16], v[15:16], v[19:20], v[15:16]
	v_mul_f64 v[19:20], v[17:18], v[15:16]
	v_fma_f64 v[10:11], -v[10:11], v[19:20], v[17:18]
	v_div_fmas_f64 v[10:11], v[10:11], v[15:16], v[19:20]
	v_div_fixup_f64 v[2:3], v[10:11], v[2:3], v[8:9]
	ds_write_b64 v5, v[2:3]
	s_waitcnt lgkmcnt(0)
	ds_read_b64 v[8:9], v7
	ds_read_b64 v[10:11], v13
	s_waitcnt lgkmcnt(0)
	v_fma_f64 v[2:3], v[2:3], v[8:9], v[10:11]
	ds_write_b64 v13, v[2:3]
.LBB26_65:
	s_or_b64 exec, exec, s[2:3]
	v_cmp_eq_u32_e32 vcc, 1, v1
	s_waitcnt lgkmcnt(0)
	s_and_saveexec_b64 s[2:3], vcc
	s_cbranch_execz .LBB26_67
; %bb.66:
	v_mov_b32_e32 v17, 0
	ds_read2_b64 v[8:11], v17 offset0:92 offset1:134
	s_mov_b32 s8, 0
	s_brev_b32 s9, 8
	s_waitcnt lgkmcnt(0)
	v_add_f64 v[2:3], v[8:9], -v[10:11]
	v_cmp_gt_f64_e32 vcc, 0, v[2:3]
	v_xor_b32_e32 v8, 0x80000000, v3
	v_cndmask_b32_e32 v3, v3, v8, vcc
	v_cmp_gt_f64_e32 vcc, s[8:9], v[2:3]
	s_and_b64 s[8:9], vcc, exec
	s_cselect_b32 s8, 0x100, 0
	v_ldexp_f64 v[2:3], v[2:3], s8
	s_cselect_b32 s8, 0xffffff80, 0
	v_rsq_f64_e32 v[8:9], v[2:3]
	v_mul_f64 v[10:11], v[2:3], v[8:9]
	v_mul_f64 v[8:9], v[8:9], 0.5
	v_fma_f64 v[15:16], -v[8:9], v[10:11], 0.5
	v_fma_f64 v[10:11], v[10:11], v[15:16], v[10:11]
	v_fma_f64 v[8:9], v[8:9], v[15:16], v[8:9]
	v_fma_f64 v[15:16], -v[10:11], v[10:11], v[2:3]
	v_fma_f64 v[10:11], v[15:16], v[8:9], v[10:11]
	v_fma_f64 v[15:16], -v[10:11], v[10:11], v[2:3]
	v_fma_f64 v[8:9], v[15:16], v[8:9], v[10:11]
	v_mov_b32_e32 v10, 0x260
	v_cmp_class_f64_e32 vcc, v[2:3], v10
	v_ldexp_f64 v[8:9], v[8:9], s8
	v_cndmask_b32_e32 v3, v9, v3, vcc
	v_cndmask_b32_e32 v2, v8, v2, vcc
	ds_write_b64 v17, v[2:3] offset:736
.LBB26_67:
	s_or_b64 exec, exec, s[2:3]
	v_mov_b32_e32 v2, 0
	s_waitcnt lgkmcnt(0)
	ds_read_b64 v[2:3], v2 offset:736
	v_mov_b32_e32 v8, 0x3ff00000
	s_waitcnt lgkmcnt(0)
	v_cmp_neq_f64_e32 vcc, 0, v[2:3]
	v_cndmask_b32_e32 v3, v8, v3, vcc
	s_nor_b64 s[8:9], vcc, s[0:1]
	v_cndmask_b32_e32 v2, 0, v2, vcc
	s_and_saveexec_b64 s[2:3], s[8:9]
	s_cbranch_execz .LBB26_71
; %bb.68:
	v_mbcnt_lo_u32_b32 v2, exec_lo, 0
	v_mbcnt_hi_u32_b32 v2, exec_hi, v2
	v_cmp_eq_u32_e32 vcc, 0, v2
	s_and_saveexec_b64 s[8:9], vcc
	s_cbranch_execz .LBB26_70
; %bb.69:
	v_mov_b32_e32 v2, 0
	v_mov_b32_e32 v3, s18
	global_atomic_smin v2, v3, s[14:15]
.LBB26_70:
	s_or_b64 exec, exec, s[8:9]
	v_mov_b32_e32 v2, 0
	v_mov_b32_e32 v3, 0x3ff00000
.LBB26_71:
	s_or_b64 exec, exec, s[2:3]
	v_cmp_lt_u32_e32 vcc, 1, v1
	s_and_saveexec_b64 s[2:3], vcc
	s_cbranch_execz .LBB26_73
; %bb.72:
	ds_read_b64 v[8:9], v5 offset:8
	ds_read_b64 v[10:11], v14 offset:8
	s_waitcnt lgkmcnt(0)
	v_add_f64 v[8:9], v[8:9], -v[10:11]
	v_div_scale_f64 v[10:11], s[8:9], v[2:3], v[2:3], v[8:9]
	v_rcp_f64_e32 v[15:16], v[10:11]
	v_fma_f64 v[17:18], -v[10:11], v[15:16], 1.0
	v_fma_f64 v[15:16], v[15:16], v[17:18], v[15:16]
	v_div_scale_f64 v[17:18], vcc, v[8:9], v[2:3], v[8:9]
	v_fma_f64 v[19:20], -v[10:11], v[15:16], 1.0
	v_fma_f64 v[15:16], v[15:16], v[19:20], v[15:16]
	v_mul_f64 v[19:20], v[17:18], v[15:16]
	v_fma_f64 v[10:11], -v[10:11], v[19:20], v[17:18]
	v_div_fmas_f64 v[10:11], v[10:11], v[15:16], v[19:20]
	v_div_fixup_f64 v[2:3], v[10:11], v[2:3], v[8:9]
	ds_write_b64 v5, v[2:3] offset:8
	s_waitcnt lgkmcnt(0)
	ds_read_b64 v[8:9], v7 offset:8
	ds_read_b64 v[10:11], v13
	s_waitcnt lgkmcnt(0)
	v_fma_f64 v[2:3], v[2:3], v[8:9], v[10:11]
	ds_write_b64 v13, v[2:3]
.LBB26_73:
	s_or_b64 exec, exec, s[2:3]
	v_cmp_eq_u32_e32 vcc, 2, v1
	s_waitcnt lgkmcnt(0)
	s_and_saveexec_b64 s[2:3], vcc
	s_cbranch_execz .LBB26_75
; %bb.74:
	v_mov_b32_e32 v17, 0
	ds_read2_b64 v[8:11], v17 offset0:100 offset1:142
	s_mov_b32 s8, 0
	s_brev_b32 s9, 8
	s_waitcnt lgkmcnt(0)
	v_add_f64 v[2:3], v[8:9], -v[10:11]
	v_cmp_gt_f64_e32 vcc, 0, v[2:3]
	v_xor_b32_e32 v8, 0x80000000, v3
	v_cndmask_b32_e32 v3, v3, v8, vcc
	v_cmp_gt_f64_e32 vcc, s[8:9], v[2:3]
	s_and_b64 s[8:9], vcc, exec
	s_cselect_b32 s8, 0x100, 0
	v_ldexp_f64 v[2:3], v[2:3], s8
	s_cselect_b32 s8, 0xffffff80, 0
	v_rsq_f64_e32 v[8:9], v[2:3]
	v_mul_f64 v[10:11], v[2:3], v[8:9]
	v_mul_f64 v[8:9], v[8:9], 0.5
	v_fma_f64 v[15:16], -v[8:9], v[10:11], 0.5
	v_fma_f64 v[10:11], v[10:11], v[15:16], v[10:11]
	v_fma_f64 v[8:9], v[8:9], v[15:16], v[8:9]
	v_fma_f64 v[15:16], -v[10:11], v[10:11], v[2:3]
	v_fma_f64 v[10:11], v[15:16], v[8:9], v[10:11]
	v_fma_f64 v[15:16], -v[10:11], v[10:11], v[2:3]
	v_fma_f64 v[8:9], v[15:16], v[8:9], v[10:11]
	v_mov_b32_e32 v10, 0x260
	v_cmp_class_f64_e32 vcc, v[2:3], v10
	v_ldexp_f64 v[8:9], v[8:9], s8
	v_cndmask_b32_e32 v3, v9, v3, vcc
	v_cndmask_b32_e32 v2, v8, v2, vcc
	ds_write_b64 v17, v[2:3] offset:800
.LBB26_75:
	s_or_b64 exec, exec, s[2:3]
	v_mov_b32_e32 v2, 0
	s_waitcnt lgkmcnt(0)
	ds_read_b64 v[2:3], v2 offset:800
	v_mov_b32_e32 v8, 0x3ff00000
	s_waitcnt lgkmcnt(0)
	v_cmp_neq_f64_e32 vcc, 0, v[2:3]
	v_cndmask_b32_e32 v3, v8, v3, vcc
	s_nor_b64 s[8:9], vcc, s[0:1]
	v_cndmask_b32_e32 v2, 0, v2, vcc
	s_and_saveexec_b64 s[2:3], s[8:9]
	s_cbranch_execz .LBB26_79
; %bb.76:
	v_mbcnt_lo_u32_b32 v2, exec_lo, 0
	v_mbcnt_hi_u32_b32 v2, exec_hi, v2
	v_cmp_eq_u32_e32 vcc, 0, v2
	s_and_saveexec_b64 s[8:9], vcc
	s_cbranch_execz .LBB26_78
; %bb.77:
	v_mov_b32_e32 v2, 0
	v_mov_b32_e32 v3, s18
	global_atomic_smin v2, v3, s[14:15]
.LBB26_78:
	s_or_b64 exec, exec, s[8:9]
	v_mov_b32_e32 v2, 0
	v_mov_b32_e32 v3, 0x3ff00000
.LBB26_79:
	s_or_b64 exec, exec, s[2:3]
	v_cmp_lt_u32_e32 vcc, 2, v1
	s_and_saveexec_b64 s[2:3], vcc
	s_cbranch_execz .LBB26_81
; %bb.80:
	ds_read_b64 v[8:9], v5 offset:16
	ds_read_b64 v[10:11], v14 offset:16
	s_waitcnt lgkmcnt(0)
	v_add_f64 v[8:9], v[8:9], -v[10:11]
	v_div_scale_f64 v[10:11], s[8:9], v[2:3], v[2:3], v[8:9]
	v_rcp_f64_e32 v[15:16], v[10:11]
	v_fma_f64 v[17:18], -v[10:11], v[15:16], 1.0
	v_fma_f64 v[15:16], v[15:16], v[17:18], v[15:16]
	v_div_scale_f64 v[17:18], vcc, v[8:9], v[2:3], v[8:9]
	v_fma_f64 v[19:20], -v[10:11], v[15:16], 1.0
	v_fma_f64 v[15:16], v[15:16], v[19:20], v[15:16]
	v_mul_f64 v[19:20], v[17:18], v[15:16]
	v_fma_f64 v[10:11], -v[10:11], v[19:20], v[17:18]
	v_div_fmas_f64 v[10:11], v[10:11], v[15:16], v[19:20]
	v_div_fixup_f64 v[2:3], v[10:11], v[2:3], v[8:9]
	ds_write_b64 v5, v[2:3] offset:16
	s_waitcnt lgkmcnt(0)
	ds_read_b64 v[8:9], v7 offset:16
	ds_read_b64 v[10:11], v13
	s_waitcnt lgkmcnt(0)
	v_fma_f64 v[2:3], v[2:3], v[8:9], v[10:11]
	ds_write_b64 v13, v[2:3]
.LBB26_81:
	s_or_b64 exec, exec, s[2:3]
	v_cmp_eq_u32_e32 vcc, 3, v1
	s_waitcnt lgkmcnt(0)
	s_and_saveexec_b64 s[2:3], vcc
	s_cbranch_execz .LBB26_83
; %bb.82:
	v_mov_b32_e32 v17, 0
	ds_read2_b64 v[8:11], v17 offset0:108 offset1:150
	s_mov_b32 s8, 0
	s_brev_b32 s9, 8
	s_waitcnt lgkmcnt(0)
	v_add_f64 v[2:3], v[8:9], -v[10:11]
	v_cmp_gt_f64_e32 vcc, 0, v[2:3]
	v_xor_b32_e32 v8, 0x80000000, v3
	v_cndmask_b32_e32 v3, v3, v8, vcc
	v_cmp_gt_f64_e32 vcc, s[8:9], v[2:3]
	s_and_b64 s[8:9], vcc, exec
	s_cselect_b32 s8, 0x100, 0
	v_ldexp_f64 v[2:3], v[2:3], s8
	s_cselect_b32 s8, 0xffffff80, 0
	v_rsq_f64_e32 v[8:9], v[2:3]
	v_mul_f64 v[10:11], v[2:3], v[8:9]
	v_mul_f64 v[8:9], v[8:9], 0.5
	v_fma_f64 v[15:16], -v[8:9], v[10:11], 0.5
	v_fma_f64 v[10:11], v[10:11], v[15:16], v[10:11]
	v_fma_f64 v[8:9], v[8:9], v[15:16], v[8:9]
	v_fma_f64 v[15:16], -v[10:11], v[10:11], v[2:3]
	v_fma_f64 v[10:11], v[15:16], v[8:9], v[10:11]
	v_fma_f64 v[15:16], -v[10:11], v[10:11], v[2:3]
	v_fma_f64 v[8:9], v[15:16], v[8:9], v[10:11]
	v_mov_b32_e32 v10, 0x260
	v_cmp_class_f64_e32 vcc, v[2:3], v10
	v_ldexp_f64 v[8:9], v[8:9], s8
	v_cndmask_b32_e32 v3, v9, v3, vcc
	v_cndmask_b32_e32 v2, v8, v2, vcc
	ds_write_b64 v17, v[2:3] offset:864
.LBB26_83:
	s_or_b64 exec, exec, s[2:3]
	v_mov_b32_e32 v2, 0
	s_waitcnt lgkmcnt(0)
	ds_read_b64 v[2:3], v2 offset:864
	v_mov_b32_e32 v8, 0x3ff00000
	s_waitcnt lgkmcnt(0)
	v_cmp_neq_f64_e32 vcc, 0, v[2:3]
	v_cndmask_b32_e32 v3, v8, v3, vcc
	s_nor_b64 s[8:9], vcc, s[0:1]
	v_cndmask_b32_e32 v2, 0, v2, vcc
	s_and_saveexec_b64 s[2:3], s[8:9]
	s_cbranch_execz .LBB26_87
; %bb.84:
	v_mbcnt_lo_u32_b32 v2, exec_lo, 0
	v_mbcnt_hi_u32_b32 v2, exec_hi, v2
	v_cmp_eq_u32_e32 vcc, 0, v2
	s_and_saveexec_b64 s[8:9], vcc
	s_cbranch_execz .LBB26_86
; %bb.85:
	v_mov_b32_e32 v2, 0
	v_mov_b32_e32 v3, s18
	global_atomic_smin v2, v3, s[14:15]
.LBB26_86:
	s_or_b64 exec, exec, s[8:9]
	v_mov_b32_e32 v2, 0
	v_mov_b32_e32 v3, 0x3ff00000
.LBB26_87:
	s_or_b64 exec, exec, s[2:3]
	v_cmp_lt_u32_e32 vcc, 3, v1
	s_and_saveexec_b64 s[2:3], vcc
	s_cbranch_execz .LBB26_89
; %bb.88:
	ds_read_b64 v[8:9], v5 offset:24
	ds_read_b64 v[10:11], v14 offset:24
	s_waitcnt lgkmcnt(0)
	v_add_f64 v[8:9], v[8:9], -v[10:11]
	v_div_scale_f64 v[10:11], s[8:9], v[2:3], v[2:3], v[8:9]
	v_rcp_f64_e32 v[15:16], v[10:11]
	v_fma_f64 v[17:18], -v[10:11], v[15:16], 1.0
	v_fma_f64 v[15:16], v[15:16], v[17:18], v[15:16]
	v_div_scale_f64 v[17:18], vcc, v[8:9], v[2:3], v[8:9]
	v_fma_f64 v[19:20], -v[10:11], v[15:16], 1.0
	v_fma_f64 v[15:16], v[15:16], v[19:20], v[15:16]
	v_mul_f64 v[19:20], v[17:18], v[15:16]
	v_fma_f64 v[10:11], -v[10:11], v[19:20], v[17:18]
	v_div_fmas_f64 v[10:11], v[10:11], v[15:16], v[19:20]
	v_div_fixup_f64 v[2:3], v[10:11], v[2:3], v[8:9]
	ds_write_b64 v5, v[2:3] offset:24
	s_waitcnt lgkmcnt(0)
	ds_read_b64 v[8:9], v7 offset:24
	ds_read_b64 v[10:11], v13
	s_waitcnt lgkmcnt(0)
	v_fma_f64 v[2:3], v[2:3], v[8:9], v[10:11]
	ds_write_b64 v13, v[2:3]
.LBB26_89:
	s_or_b64 exec, exec, s[2:3]
	v_cmp_eq_u32_e32 vcc, 4, v1
	s_waitcnt lgkmcnt(0)
	s_and_saveexec_b64 s[2:3], vcc
	s_cbranch_execz .LBB26_91
; %bb.90:
	v_mov_b32_e32 v17, 0
	ds_read2_b64 v[8:11], v17 offset0:116 offset1:158
	s_mov_b32 s8, 0
	s_brev_b32 s9, 8
	s_waitcnt lgkmcnt(0)
	v_add_f64 v[2:3], v[8:9], -v[10:11]
	v_cmp_gt_f64_e32 vcc, 0, v[2:3]
	v_xor_b32_e32 v8, 0x80000000, v3
	v_cndmask_b32_e32 v3, v3, v8, vcc
	v_cmp_gt_f64_e32 vcc, s[8:9], v[2:3]
	s_and_b64 s[8:9], vcc, exec
	s_cselect_b32 s8, 0x100, 0
	v_ldexp_f64 v[2:3], v[2:3], s8
	s_cselect_b32 s8, 0xffffff80, 0
	v_rsq_f64_e32 v[8:9], v[2:3]
	v_mul_f64 v[10:11], v[2:3], v[8:9]
	v_mul_f64 v[8:9], v[8:9], 0.5
	v_fma_f64 v[15:16], -v[8:9], v[10:11], 0.5
	v_fma_f64 v[10:11], v[10:11], v[15:16], v[10:11]
	v_fma_f64 v[8:9], v[8:9], v[15:16], v[8:9]
	v_fma_f64 v[15:16], -v[10:11], v[10:11], v[2:3]
	v_fma_f64 v[10:11], v[15:16], v[8:9], v[10:11]
	v_fma_f64 v[15:16], -v[10:11], v[10:11], v[2:3]
	v_fma_f64 v[8:9], v[15:16], v[8:9], v[10:11]
	v_mov_b32_e32 v10, 0x260
	v_cmp_class_f64_e32 vcc, v[2:3], v10
	v_ldexp_f64 v[8:9], v[8:9], s8
	v_cndmask_b32_e32 v3, v9, v3, vcc
	v_cndmask_b32_e32 v2, v8, v2, vcc
	ds_write_b64 v17, v[2:3] offset:928
.LBB26_91:
	s_or_b64 exec, exec, s[2:3]
	v_mov_b32_e32 v2, 0
	s_waitcnt lgkmcnt(0)
	ds_read_b64 v[2:3], v2 offset:928
	v_mov_b32_e32 v8, 0x3ff00000
	s_waitcnt lgkmcnt(0)
	v_cmp_neq_f64_e32 vcc, 0, v[2:3]
	v_cndmask_b32_e32 v3, v8, v3, vcc
	s_nor_b64 s[8:9], vcc, s[0:1]
	v_cndmask_b32_e32 v2, 0, v2, vcc
	s_and_saveexec_b64 s[2:3], s[8:9]
	s_cbranch_execz .LBB26_95
; %bb.92:
	v_mbcnt_lo_u32_b32 v2, exec_lo, 0
	v_mbcnt_hi_u32_b32 v2, exec_hi, v2
	v_cmp_eq_u32_e32 vcc, 0, v2
	s_and_saveexec_b64 s[8:9], vcc
	s_cbranch_execz .LBB26_94
; %bb.93:
	v_mov_b32_e32 v2, 0
	v_mov_b32_e32 v3, s18
	global_atomic_smin v2, v3, s[14:15]
.LBB26_94:
	s_or_b64 exec, exec, s[8:9]
	v_mov_b32_e32 v2, 0
	v_mov_b32_e32 v3, 0x3ff00000
.LBB26_95:
	s_or_b64 exec, exec, s[2:3]
	v_cmp_lt_u32_e32 vcc, 4, v1
	s_and_saveexec_b64 s[2:3], vcc
	s_cbranch_execz .LBB26_97
; %bb.96:
	ds_read_b64 v[8:9], v5 offset:32
	ds_read_b64 v[10:11], v14 offset:32
	s_waitcnt lgkmcnt(0)
	v_add_f64 v[8:9], v[8:9], -v[10:11]
	v_div_scale_f64 v[10:11], s[8:9], v[2:3], v[2:3], v[8:9]
	v_rcp_f64_e32 v[15:16], v[10:11]
	v_fma_f64 v[17:18], -v[10:11], v[15:16], 1.0
	v_fma_f64 v[15:16], v[15:16], v[17:18], v[15:16]
	v_div_scale_f64 v[17:18], vcc, v[8:9], v[2:3], v[8:9]
	v_fma_f64 v[19:20], -v[10:11], v[15:16], 1.0
	v_fma_f64 v[15:16], v[15:16], v[19:20], v[15:16]
	v_mul_f64 v[19:20], v[17:18], v[15:16]
	v_fma_f64 v[10:11], -v[10:11], v[19:20], v[17:18]
	v_div_fmas_f64 v[10:11], v[10:11], v[15:16], v[19:20]
	v_div_fixup_f64 v[2:3], v[10:11], v[2:3], v[8:9]
	ds_write_b64 v5, v[2:3] offset:32
	s_waitcnt lgkmcnt(0)
	ds_read_b64 v[8:9], v7 offset:32
	ds_read_b64 v[10:11], v13
	s_waitcnt lgkmcnt(0)
	v_fma_f64 v[2:3], v[2:3], v[8:9], v[10:11]
	ds_write_b64 v13, v[2:3]
.LBB26_97:
	s_or_b64 exec, exec, s[2:3]
	v_cmp_eq_u32_e32 vcc, 5, v1
	s_waitcnt lgkmcnt(0)
	s_and_saveexec_b64 s[2:3], vcc
	s_cbranch_execz .LBB26_99
; %bb.98:
	v_mov_b32_e32 v17, 0
	ds_read2_b64 v[8:11], v17 offset0:124 offset1:166
	s_mov_b32 s8, 0
	s_brev_b32 s9, 8
	s_waitcnt lgkmcnt(0)
	v_add_f64 v[2:3], v[8:9], -v[10:11]
	v_cmp_gt_f64_e32 vcc, 0, v[2:3]
	v_xor_b32_e32 v8, 0x80000000, v3
	v_cndmask_b32_e32 v3, v3, v8, vcc
	v_cmp_gt_f64_e32 vcc, s[8:9], v[2:3]
	s_and_b64 s[8:9], vcc, exec
	s_cselect_b32 s8, 0x100, 0
	v_ldexp_f64 v[2:3], v[2:3], s8
	s_cselect_b32 s8, 0xffffff80, 0
	v_rsq_f64_e32 v[8:9], v[2:3]
	v_mul_f64 v[10:11], v[2:3], v[8:9]
	v_mul_f64 v[8:9], v[8:9], 0.5
	v_fma_f64 v[15:16], -v[8:9], v[10:11], 0.5
	v_fma_f64 v[10:11], v[10:11], v[15:16], v[10:11]
	v_fma_f64 v[8:9], v[8:9], v[15:16], v[8:9]
	v_fma_f64 v[15:16], -v[10:11], v[10:11], v[2:3]
	v_fma_f64 v[10:11], v[15:16], v[8:9], v[10:11]
	v_fma_f64 v[15:16], -v[10:11], v[10:11], v[2:3]
	v_fma_f64 v[8:9], v[15:16], v[8:9], v[10:11]
	v_mov_b32_e32 v10, 0x260
	v_cmp_class_f64_e32 vcc, v[2:3], v10
	v_ldexp_f64 v[8:9], v[8:9], s8
	v_cndmask_b32_e32 v3, v9, v3, vcc
	v_cndmask_b32_e32 v2, v8, v2, vcc
	ds_write_b64 v17, v[2:3] offset:992
.LBB26_99:
	s_or_b64 exec, exec, s[2:3]
	v_mov_b32_e32 v2, 0
	s_waitcnt lgkmcnt(0)
	ds_read_b64 v[2:3], v2 offset:992
	v_mov_b32_e32 v8, 0x3ff00000
	s_waitcnt lgkmcnt(0)
	v_cmp_neq_f64_e32 vcc, 0, v[2:3]
	v_cndmask_b32_e32 v3, v8, v3, vcc
	s_nor_b64 s[2:3], vcc, s[0:1]
	v_cndmask_b32_e32 v2, 0, v2, vcc
	s_and_saveexec_b64 s[0:1], s[2:3]
	s_cbranch_execz .LBB26_103
; %bb.100:
	v_mbcnt_lo_u32_b32 v2, exec_lo, 0
	v_mbcnt_hi_u32_b32 v2, exec_hi, v2
	v_cmp_eq_u32_e32 vcc, 0, v2
	s_and_saveexec_b64 s[2:3], vcc
	s_cbranch_execz .LBB26_102
; %bb.101:
	v_mov_b32_e32 v2, 0
	v_mov_b32_e32 v3, s18
	global_atomic_smin v2, v3, s[14:15]
.LBB26_102:
	s_or_b64 exec, exec, s[2:3]
	v_mov_b32_e32 v2, 0
	v_mov_b32_e32 v3, 0x3ff00000
.LBB26_103:
	s_or_b64 exec, exec, s[0:1]
	v_cmp_lt_u32_e32 vcc, 5, v1
	s_and_saveexec_b64 s[0:1], vcc
	s_cbranch_execz .LBB26_105
; %bb.104:
	ds_read_b64 v[8:9], v5 offset:40
	ds_read_b64 v[10:11], v14 offset:40
	s_waitcnt lgkmcnt(0)
	v_add_f64 v[8:9], v[8:9], -v[10:11]
	v_div_scale_f64 v[10:11], s[2:3], v[2:3], v[2:3], v[8:9]
	v_rcp_f64_e32 v[14:15], v[10:11]
	v_fma_f64 v[16:17], -v[10:11], v[14:15], 1.0
	v_fma_f64 v[14:15], v[14:15], v[16:17], v[14:15]
	v_div_scale_f64 v[16:17], vcc, v[8:9], v[2:3], v[8:9]
	v_fma_f64 v[18:19], -v[10:11], v[14:15], 1.0
	v_fma_f64 v[14:15], v[14:15], v[18:19], v[14:15]
	v_mul_f64 v[18:19], v[16:17], v[14:15]
	v_fma_f64 v[10:11], -v[10:11], v[18:19], v[16:17]
	v_div_fmas_f64 v[10:11], v[10:11], v[14:15], v[18:19]
	v_div_fixup_f64 v[2:3], v[10:11], v[2:3], v[8:9]
	ds_write_b64 v5, v[2:3] offset:40
	s_waitcnt lgkmcnt(0)
	ds_read_b64 v[7:8], v7 offset:40
	ds_read_b64 v[9:10], v13
	s_waitcnt lgkmcnt(0)
	v_fma_f64 v[2:3], v[2:3], v[7:8], v[9:10]
	ds_write_b64 v13, v[2:3]
.LBB26_105:
	s_or_b64 exec, exec, s[0:1]
	s_waitcnt lgkmcnt(0)
	ds_read_b64 v[2:3], v4
	s_andn2_b64 vcc, exec, s[4:5]
	s_cbranch_vccnz .LBB26_107
; %bb.106:
	v_mad_u32_u24 v12, v0, 6, v1
.LBB26_107:
	v_add_u32_e32 v4, s30, v12
	v_ashrrev_i32_e32 v5, 31, v4
	v_lshlrev_b64 v[4:5], 3, v[4:5]
	v_mov_b32_e32 v7, s21
	v_add_co_u32_e32 v4, vcc, s20, v4
	v_addc_co_u32_e32 v5, vcc, v7, v5, vcc
	v_cmp_eq_u32_e32 vcc, 0, v6
	s_waitcnt lgkmcnt(0)
	global_store_dwordx2 v[4:5], v[2:3], off
	s_and_saveexec_b64 s[0:1], vcc
	s_cbranch_execz .LBB26_109
; %bb.108:
	s_add_u32 s2, s10, s6
	s_addc_u32 s3, s11, s7
	v_mov_b32_e32 v2, 0
	v_mov_b32_e32 v3, 1
	s_waitcnt vmcnt(0)
	global_store_dword v2, v3, s[2:3]
.LBB26_109:
	s_or_b64 exec, exec, s[0:1]
.LBB26_110:
	s_endpgm
.LBB26_111:
	s_cbranch_execz .LBB26_110
; %bb.112:
	v_or_b32_e32 v0, v0, v1
	v_cmp_eq_u32_e32 vcc, 0, v0
	s_and_saveexec_b64 s[0:1], vcc
	s_cbranch_execz .LBB26_110
; %bb.113:
	v_mbcnt_lo_u32_b32 v0, exec_lo, 0
	v_mbcnt_hi_u32_b32 v0, exec_hi, v0
	v_cmp_eq_u32_e32 vcc, 0, v0
	s_and_saveexec_b64 s[0:1], vcc
	s_cbranch_execz .LBB26_115
; %bb.114:
	s_add_i32 s2, s12, s13
	v_mov_b32_e32 v0, 0
	v_mov_b32_e32 v1, s2
	global_atomic_smin v0, v1, s[14:15]
.LBB26_115:
	s_or_b64 exec, exec, s[0:1]
	s_add_u32 s0, s10, s6
	s_addc_u32 s1, s11, s7
	v_mov_b32_e32 v0, 0
	v_mov_b32_e32 v1, 1
	s_waitcnt vmcnt(0)
	global_store_dword v0, v1, s[0:1]
	s_endpgm
	.section	.rodata,"a",@progbits
	.p2align	6, 0x0
	.amdhsa_kernel _ZN9rocsparseL26bsric0_2_8_unrolled_kernelILi36ELi32ELi6EdEEv20rocsparse_direction_iiPKiS3_PT2_S3_PiS3_S6_21rocsparse_index_base_
		.amdhsa_group_segment_fixed_size 1728
		.amdhsa_private_segment_fixed_size 0
		.amdhsa_kernarg_size 76
		.amdhsa_user_sgpr_count 6
		.amdhsa_user_sgpr_private_segment_buffer 1
		.amdhsa_user_sgpr_dispatch_ptr 0
		.amdhsa_user_sgpr_queue_ptr 0
		.amdhsa_user_sgpr_kernarg_segment_ptr 1
		.amdhsa_user_sgpr_dispatch_id 0
		.amdhsa_user_sgpr_flat_scratch_init 0
		.amdhsa_user_sgpr_private_segment_size 0
		.amdhsa_uses_dynamic_stack 0
		.amdhsa_system_sgpr_private_segment_wavefront_offset 0
		.amdhsa_system_sgpr_workgroup_id_x 1
		.amdhsa_system_sgpr_workgroup_id_y 0
		.amdhsa_system_sgpr_workgroup_id_z 0
		.amdhsa_system_sgpr_workgroup_info 0
		.amdhsa_system_vgpr_workitem_id 1
		.amdhsa_next_free_vgpr 51
		.amdhsa_next_free_sgpr 40
		.amdhsa_reserve_vcc 1
		.amdhsa_reserve_flat_scratch 0
		.amdhsa_float_round_mode_32 0
		.amdhsa_float_round_mode_16_64 0
		.amdhsa_float_denorm_mode_32 3
		.amdhsa_float_denorm_mode_16_64 3
		.amdhsa_dx10_clamp 1
		.amdhsa_ieee_mode 1
		.amdhsa_fp16_overflow 0
		.amdhsa_exception_fp_ieee_invalid_op 0
		.amdhsa_exception_fp_denorm_src 0
		.amdhsa_exception_fp_ieee_div_zero 0
		.amdhsa_exception_fp_ieee_overflow 0
		.amdhsa_exception_fp_ieee_underflow 0
		.amdhsa_exception_fp_ieee_inexact 0
		.amdhsa_exception_int_div_zero 0
	.end_amdhsa_kernel
	.section	.text._ZN9rocsparseL26bsric0_2_8_unrolled_kernelILi36ELi32ELi6EdEEv20rocsparse_direction_iiPKiS3_PT2_S3_PiS3_S6_21rocsparse_index_base_,"axG",@progbits,_ZN9rocsparseL26bsric0_2_8_unrolled_kernelILi36ELi32ELi6EdEEv20rocsparse_direction_iiPKiS3_PT2_S3_PiS3_S6_21rocsparse_index_base_,comdat
.Lfunc_end26:
	.size	_ZN9rocsparseL26bsric0_2_8_unrolled_kernelILi36ELi32ELi6EdEEv20rocsparse_direction_iiPKiS3_PT2_S3_PiS3_S6_21rocsparse_index_base_, .Lfunc_end26-_ZN9rocsparseL26bsric0_2_8_unrolled_kernelILi36ELi32ELi6EdEEv20rocsparse_direction_iiPKiS3_PT2_S3_PiS3_S6_21rocsparse_index_base_
                                        ; -- End function
	.set _ZN9rocsparseL26bsric0_2_8_unrolled_kernelILi36ELi32ELi6EdEEv20rocsparse_direction_iiPKiS3_PT2_S3_PiS3_S6_21rocsparse_index_base_.num_vgpr, 51
	.set _ZN9rocsparseL26bsric0_2_8_unrolled_kernelILi36ELi32ELi6EdEEv20rocsparse_direction_iiPKiS3_PT2_S3_PiS3_S6_21rocsparse_index_base_.num_agpr, 0
	.set _ZN9rocsparseL26bsric0_2_8_unrolled_kernelILi36ELi32ELi6EdEEv20rocsparse_direction_iiPKiS3_PT2_S3_PiS3_S6_21rocsparse_index_base_.numbered_sgpr, 40
	.set _ZN9rocsparseL26bsric0_2_8_unrolled_kernelILi36ELi32ELi6EdEEv20rocsparse_direction_iiPKiS3_PT2_S3_PiS3_S6_21rocsparse_index_base_.num_named_barrier, 0
	.set _ZN9rocsparseL26bsric0_2_8_unrolled_kernelILi36ELi32ELi6EdEEv20rocsparse_direction_iiPKiS3_PT2_S3_PiS3_S6_21rocsparse_index_base_.private_seg_size, 0
	.set _ZN9rocsparseL26bsric0_2_8_unrolled_kernelILi36ELi32ELi6EdEEv20rocsparse_direction_iiPKiS3_PT2_S3_PiS3_S6_21rocsparse_index_base_.uses_vcc, 1
	.set _ZN9rocsparseL26bsric0_2_8_unrolled_kernelILi36ELi32ELi6EdEEv20rocsparse_direction_iiPKiS3_PT2_S3_PiS3_S6_21rocsparse_index_base_.uses_flat_scratch, 0
	.set _ZN9rocsparseL26bsric0_2_8_unrolled_kernelILi36ELi32ELi6EdEEv20rocsparse_direction_iiPKiS3_PT2_S3_PiS3_S6_21rocsparse_index_base_.has_dyn_sized_stack, 0
	.set _ZN9rocsparseL26bsric0_2_8_unrolled_kernelILi36ELi32ELi6EdEEv20rocsparse_direction_iiPKiS3_PT2_S3_PiS3_S6_21rocsparse_index_base_.has_recursion, 0
	.set _ZN9rocsparseL26bsric0_2_8_unrolled_kernelILi36ELi32ELi6EdEEv20rocsparse_direction_iiPKiS3_PT2_S3_PiS3_S6_21rocsparse_index_base_.has_indirect_call, 0
	.section	.AMDGPU.csdata,"",@progbits
; Kernel info:
; codeLenInByte = 7048
; TotalNumSgprs: 44
; NumVgprs: 51
; ScratchSize: 0
; MemoryBound: 1
; FloatMode: 240
; IeeeMode: 1
; LDSByteSize: 1728 bytes/workgroup (compile time only)
; SGPRBlocks: 5
; VGPRBlocks: 12
; NumSGPRsForWavesPerEU: 44
; NumVGPRsForWavesPerEU: 51
; Occupancy: 4
; WaveLimiterHint : 1
; COMPUTE_PGM_RSRC2:SCRATCH_EN: 0
; COMPUTE_PGM_RSRC2:USER_SGPR: 6
; COMPUTE_PGM_RSRC2:TRAP_HANDLER: 0
; COMPUTE_PGM_RSRC2:TGID_X_EN: 1
; COMPUTE_PGM_RSRC2:TGID_Y_EN: 0
; COMPUTE_PGM_RSRC2:TGID_Z_EN: 0
; COMPUTE_PGM_RSRC2:TIDIG_COMP_CNT: 1
	.section	.text._ZN9rocsparseL26bsric0_2_8_unrolled_kernelILi49ELi32ELi7EdEEv20rocsparse_direction_iiPKiS3_PT2_S3_PiS3_S6_21rocsparse_index_base_,"axG",@progbits,_ZN9rocsparseL26bsric0_2_8_unrolled_kernelILi49ELi32ELi7EdEEv20rocsparse_direction_iiPKiS3_PT2_S3_PiS3_S6_21rocsparse_index_base_,comdat
	.globl	_ZN9rocsparseL26bsric0_2_8_unrolled_kernelILi49ELi32ELi7EdEEv20rocsparse_direction_iiPKiS3_PT2_S3_PiS3_S6_21rocsparse_index_base_ ; -- Begin function _ZN9rocsparseL26bsric0_2_8_unrolled_kernelILi49ELi32ELi7EdEEv20rocsparse_direction_iiPKiS3_PT2_S3_PiS3_S6_21rocsparse_index_base_
	.p2align	8
	.type	_ZN9rocsparseL26bsric0_2_8_unrolled_kernelILi49ELi32ELi7EdEEv20rocsparse_direction_iiPKiS3_PT2_S3_PiS3_S6_21rocsparse_index_base_,@function
_ZN9rocsparseL26bsric0_2_8_unrolled_kernelILi49ELi32ELi7EdEEv20rocsparse_direction_iiPKiS3_PT2_S3_PiS3_S6_21rocsparse_index_base_: ; @_ZN9rocsparseL26bsric0_2_8_unrolled_kernelILi49ELi32ELi7EdEEv20rocsparse_direction_iiPKiS3_PT2_S3_PiS3_S6_21rocsparse_index_base_
; %bb.0:
	s_load_dwordx8 s[8:15], s[4:5], 0x28
	s_mov_b32 s7, 0
	s_lshl_b64 s[0:1], s[6:7], 2
	s_waitcnt lgkmcnt(0)
	s_add_u32 s0, s12, s0
	s_addc_u32 s1, s13, s1
	s_load_dword s12, s[0:1], 0x0
	s_waitcnt lgkmcnt(0)
	s_ashr_i32 s13, s12, 31
	s_lshl_b64 s[6:7], s[12:13], 2
	s_add_u32 s0, s8, s6
	s_addc_u32 s1, s9, s7
	s_load_dword s30, s[0:1], 0x0
	s_load_dword s13, s[4:5], 0x48
	s_waitcnt lgkmcnt(0)
	s_cmp_lg_u32 s30, -1
	s_cbranch_scc0 .LBB27_123
; %bb.1:
	s_load_dwordx4 s[16:19], s[4:5], 0x10
	s_load_dwordx2 s[20:21], s[4:5], 0x20
	v_mad_u32_u24 v12, v1, 7, v0
	s_waitcnt lgkmcnt(0)
	s_add_u32 s0, s16, s6
	s_addc_u32 s1, s17, s7
	s_load_dword s0, s[0:1], 0x0
	s_waitcnt lgkmcnt(0)
	s_sub_i32 s31, s0, s13
	v_add_u32_e32 v2, s31, v12
	v_cmp_ge_i32_e32 vcc, s30, v2
	s_and_saveexec_b64 s[0:1], vcc
	s_cbranch_execz .LBB27_4
; %bb.2:
	v_mov_b32_e32 v3, 0x800
	v_lshl_add_u32 v5, v12, 2, v3
	v_ashrrev_i32_e32 v3, 31, v2
	v_lshlrev_b64 v[3:4], 2, v[2:3]
	v_mov_b32_e32 v6, s19
	v_add_co_u32_e32 v3, vcc, s18, v3
	v_addc_co_u32_e32 v4, vcc, v6, v4, vcc
	s_mov_b64 s[2:3], 0
.LBB27_3:                               ; =>This Inner Loop Header: Depth=1
	global_load_dword v6, v[3:4], off
	v_add_co_u32_e32 v3, vcc, 0xc4, v3
	v_add_u32_e32 v2, 49, v2
	v_addc_co_u32_e32 v4, vcc, 0, v4, vcc
	v_cmp_lt_i32_e32 vcc, s30, v2
	s_or_b64 s[2:3], vcc, s[2:3]
	s_waitcnt vmcnt(0)
	v_subrev_u32_e32 v6, s13, v6
	ds_write_b32 v5, v6
	v_add_u32_e32 v5, 0xc4, v5
	s_andn2_b64 exec, exec, s[2:3]
	s_cbranch_execnz .LBB27_3
.LBB27_4:
	s_or_b64 exec, exec, s[0:1]
	s_load_dword s33, s[4:5], 0x0
	v_mov_b32_e32 v2, 0x540
	v_lshl_add_u32 v15, v1, 6, v2
	v_mov_b32_e32 v2, 0
	v_mul_u32_u24_e32 v16, 7, v1
	v_lshl_add_u32 v14, v0, 3, v15
	v_mov_b32_e32 v3, v2
	s_cmp_ge_i32 s31, s30
	v_mad_u32_u24 v13, v0, 7, v1
	ds_write_b64 v14, v[2:3]
	s_waitcnt lgkmcnt(0)
	s_cbranch_scc1 .LBB27_59
; %bb.5:
	s_cmp_lg_u32 s33, 0
	v_lshlrev_b32_e32 v4, 6, v1
	v_lshlrev_b32_e32 v5, 3, v0
	s_cselect_b64 s[2:3], -1, 0
	s_cmp_eq_u32 s33, 0
	v_add_u32_e32 v18, 0x380, v4
	v_add_u32_e32 v20, v4, v5
	;; [unrolled: 1-line block ×3, first 2 shown]
	v_mov_b32_e32 v4, 0x380
	v_mad_u32_u24 v3, v0, 7, v1
	v_lshl_add_u32 v23, v0, 6, v4
	v_or_b32_e32 v4, v0, v1
	s_cselect_b64 vcc, -1, 0
	v_mul_u32_u24_e32 v17, 7, v0
	v_add_u32_e32 v19, v18, v5
	v_add_u32_e32 v22, v21, v5
	v_cmp_ne_u32_e64 s[0:1], 0, v4
	v_cndmask_b32_e32 v3, v3, v12, vcc
	v_mov_b32_e32 v24, 0x3ff00000
	s_mov_b32 s4, s31
	s_branch .LBB27_8
.LBB27_6:                               ;   in Loop: Header=BB27_8 Depth=1
	s_or_b64 exec, exec, s[24:25]
	v_mov_b32_e32 v8, 0
	v_mov_b32_e32 v9, 0x3ff00000
.LBB27_7:                               ;   in Loop: Header=BB27_8 Depth=1
	s_or_b64 exec, exec, s[22:23]
	ds_read_b128 v[25:28], v18
	ds_read_b64 v[10:11], v21 offset:48
	ds_read_b128 v[29:32], v2 offset:384
	ds_read_b128 v[33:36], v2 offset:400
	;; [unrolled: 1-line block ×3, first 2 shown]
	s_add_i32 s4, s4, 1
	s_cmp_ge_i32 s4, s30
	s_waitcnt lgkmcnt(2)
	v_fma_f64 v[10:11], v[29:30], v[25:26], v[10:11]
	v_fma_f64 v[10:11], v[31:32], v[27:28], v[10:11]
	ds_read_b128 v[25:28], v18 offset:32
	ds_read_b128 v[29:32], v2 offset:416
	s_waitcnt lgkmcnt(2)
	v_fma_f64 v[10:11], v[33:34], v[37:38], v[10:11]
	v_fma_f64 v[10:11], v[35:36], v[39:40], v[10:11]
	s_waitcnt lgkmcnt(0)
	v_fma_f64 v[10:11], v[29:30], v[25:26], v[10:11]
	v_fma_f64 v[10:11], v[31:32], v[27:28], v[10:11]
	v_add_f64 v[6:7], v[6:7], -v[10:11]
	v_div_scale_f64 v[10:11], s[22:23], v[8:9], v[8:9], v[6:7]
	s_cselect_b64 s[22:23], -1, 0
	v_rcp_f64_e32 v[25:26], v[10:11]
	v_fma_f64 v[27:28], -v[10:11], v[25:26], 1.0
	v_fma_f64 v[25:26], v[25:26], v[27:28], v[25:26]
	v_div_scale_f64 v[27:28], vcc, v[6:7], v[8:9], v[6:7]
	v_fma_f64 v[29:30], -v[10:11], v[25:26], 1.0
	v_fma_f64 v[25:26], v[25:26], v[29:30], v[25:26]
	v_mul_f64 v[29:30], v[27:28], v[25:26]
	v_fma_f64 v[10:11], -v[10:11], v[29:30], v[27:28]
	v_div_fmas_f64 v[10:11], v[10:11], v[25:26], v[29:30]
	v_div_fixup_f64 v[6:7], v[10:11], v[8:9], v[6:7]
	ds_write_b64 v18, v[6:7] offset:48
	s_waitcnt lgkmcnt(0)
	ds_read_b64 v[8:9], v23 offset:48
	ds_read_b64 v[10:11], v14
	s_waitcnt lgkmcnt(0)
	v_fma_f64 v[6:7], v[6:7], v[8:9], v[10:11]
	ds_write_b64 v14, v[6:7]
	s_waitcnt lgkmcnt(0)
	ds_read_b64 v[6:7], v19
	s_waitcnt lgkmcnt(0)
	global_store_dwordx2 v[4:5], v[6:7], off
	s_waitcnt vmcnt(0)
	buffer_wbinvl1_vol
	s_and_b64 vcc, exec, s[22:23]
	s_cbranch_vccnz .LBB27_59
.LBB27_8:                               ; =>This Loop Header: Depth=1
                                        ;     Child Loop BB27_11 Depth 2
                                        ;     Child Loop BB27_22 Depth 2
	;; [unrolled: 1-line block ×3, first 2 shown]
	s_ashr_i32 s5, s4, 31
	s_lshl_b64 s[22:23], s[4:5], 2
	s_add_u32 s22, s18, s22
	s_addc_u32 s23, s19, s23
	s_load_dword s5, s[22:23], 0x0
	s_waitcnt lgkmcnt(0)
	s_sub_i32 s24, s5, s13
	s_ashr_i32 s25, s24, 31
	s_lshl_b64 s[22:23], s[24:25], 2
	s_add_u32 s26, s8, s22
	s_addc_u32 s27, s9, s23
	s_load_dword s25, s[26:27], 0x0
	s_waitcnt lgkmcnt(0)
	s_cmp_eq_u32 s25, -1
	s_cbranch_scc1 .LBB27_58
; %bb.9:                                ;   in Loop: Header=BB27_8 Depth=1
	v_mad_u64_u32 v[4:5], s[26:27], s4, 49, v[3:4]
	v_mov_b32_e32 v6, s21
	s_add_u32 s26, s16, s22
	v_ashrrev_i32_e32 v5, 31, v4
	v_lshlrev_b64 v[4:5], 3, v[4:5]
	s_addc_u32 s27, s17, s23
	v_add_co_u32_e32 v4, vcc, s20, v4
	v_addc_co_u32_e32 v5, vcc, v6, v5, vcc
	global_load_dwordx2 v[6:7], v[4:5], off
	s_load_dword s26, s[26:27], 0x0
	ds_read_b32 v8, v2 offset:2048
	s_mov_b32 s27, 0
	s_waitcnt lgkmcnt(0)
	s_sub_i32 s26, s26, s13
	s_cmp_le_i32 s26, s25
	v_cmp_ge_i32_e32 vcc, s24, v8
	s_cselect_b64 s[28:29], -1, 0
	s_and_b64 s[28:29], s[28:29], vcc
	s_andn2_b64 vcc, exec, s[28:29]
	s_waitcnt vmcnt(0)
	ds_write_b64 v19, v[6:7]
	s_cbranch_vccnz .LBB27_21
; %bb.10:                               ;   in Loop: Header=BB27_8 Depth=1
	s_mov_b32 s34, 0
	s_mov_b32 s35, 0
.LBB27_11:                              ;   Parent Loop BB27_8 Depth=1
                                        ; =>  This Inner Loop Header: Depth=2
	s_ashr_i32 s27, s26, 31
	s_lshl_b64 s[28:29], s[26:27], 2
	s_add_u32 s28, s18, s28
	s_addc_u32 s29, s19, s29
	s_load_dword s27, s[28:29], 0x0
	s_lshl_b32 s28, s35, 2
	v_mov_b32_e32 v6, s28
	ds_read_b32 v6, v6 offset:2048
	s_mov_b64 s[28:29], -1
	s_waitcnt lgkmcnt(0)
	s_sub_i32 s39, s27, s13
                                        ; implicit-def: $sgpr27
                                        ; implicit-def: $sgpr38
                                        ; implicit-def: $sgpr37
	v_cmp_ge_i32_e32 vcc, s39, v6
	v_readfirstlane_b32 s36, v6
	s_cbranch_vccz .LBB27_17
; %bb.12:                               ;   in Loop: Header=BB27_11 Depth=2
	s_cmp_le_i32 s39, s36
                                        ; implicit-def: $sgpr27
                                        ; implicit-def: $sgpr38
                                        ; implicit-def: $sgpr37
	s_cbranch_scc0 .LBB27_14
; %bb.13:                               ;   in Loop: Header=BB27_11 Depth=2
	s_add_i32 s27, s35, s31
	s_mul_i32 s27, s27, 49
	s_lshl_b32 s28, s34, 2
	v_mov_b32_e32 v6, s28
	v_mov_b32_e32 v7, s27
	s_mul_i32 s27, s26, 49
	v_mov_b32_e32 v8, s27
	v_add_u32_e32 v6, 0x400, v6
	ds_write2_b32 v6, v8, v7 offset0:192 offset1:224
	s_add_i32 s37, s35, 1
	s_add_i32 s38, s26, 1
	;; [unrolled: 1-line block ×3, first 2 shown]
	s_mov_b64 s[28:29], 0
.LBB27_14:                              ;   in Loop: Header=BB27_11 Depth=2
	s_andn2_b64 vcc, exec, s[28:29]
	s_cbranch_vccnz .LBB27_16
; %bb.15:                               ;   in Loop: Header=BB27_11 Depth=2
	s_add_i32 s37, s35, 1
	s_mov_b32 s27, s34
	s_mov_b32 s38, s26
.LBB27_16:                              ;   in Loop: Header=BB27_11 Depth=2
	s_mov_b64 s[28:29], 0
.LBB27_17:                              ;   in Loop: Header=BB27_11 Depth=2
	s_andn2_b64 vcc, exec, s[28:29]
	s_cbranch_vccnz .LBB27_19
; %bb.18:                               ;   in Loop: Header=BB27_11 Depth=2
	s_add_i32 s38, s26, 1
	s_mov_b32 s37, s35
	s_mov_b32 s27, s34
.LBB27_19:                              ;   in Loop: Header=BB27_11 Depth=2
	s_cmp_le_i32 s38, s25
	s_cselect_b64 s[28:29], -1, 0
	s_cmp_le_i32 s36, s24
	s_cselect_b64 s[34:35], -1, 0
	s_and_b64 s[28:29], s[28:29], s[34:35]
	s_and_b64 vcc, exec, s[28:29]
	s_cbranch_vccz .LBB27_21
; %bb.20:                               ;   in Loop: Header=BB27_11 Depth=2
	s_mov_b32 s34, s27
	s_mov_b32 s26, s38
	;; [unrolled: 1-line block ×3, first 2 shown]
	s_branch .LBB27_11
.LBB27_21:                              ;   in Loop: Header=BB27_8 Depth=1
	s_add_u32 s22, s10, s22
	s_addc_u32 s23, s11, s23
	s_waitcnt lgkmcnt(0)
.LBB27_22:                              ;   Parent Loop BB27_8 Depth=1
                                        ; =>  This Inner Loop Header: Depth=2
	global_load_dword v6, v2, s[22:23] glc
	s_waitcnt vmcnt(0)
	v_cmp_eq_u32_e32 vcc, 0, v6
	s_cbranch_vccnz .LBB27_22
; %bb.23:                               ;   in Loop: Header=BB27_8 Depth=1
	v_mad_u64_u32 v[6:7], s[22:23], s25, 49, v[3:4]
	v_mov_b32_e32 v8, s21
	buffer_wbinvl1_vol
	v_ashrrev_i32_e32 v7, 31, v6
	v_lshlrev_b64 v[6:7], 3, v[6:7]
	v_mov_b32_e32 v10, 0
	v_add_co_u32_e32 v6, vcc, s20, v6
	v_addc_co_u32_e32 v7, vcc, v8, v7, vcc
	global_load_dwordx2 v[6:7], v[6:7], off
	v_mov_b32_e32 v11, 0
	s_cmp_lt_i32 s27, 2
	s_waitcnt vmcnt(0)
	ds_write_b64 v20, v[6:7]
	s_waitcnt lgkmcnt(0)
	s_cbranch_scc1 .LBB27_31
; %bb.24:                               ;   in Loop: Header=BB27_8 Depth=1
	v_mov_b32_e32 v6, 0
	s_add_i32 s24, s27, -1
	v_mov_b32_e32 v7, 0
	s_movk_i32 s25, 0x700
.LBB27_25:                              ;   Parent Loop BB27_8 Depth=1
                                        ; =>  This Inner Loop Header: Depth=2
	s_waitcnt lgkmcnt(0)
	v_mov_b32_e32 v8, s25
	ds_read2_b32 v[8:9], v8 offset1:32
	s_mov_b64 s[22:23], -1
	s_and_b64 vcc, exec, s[2:3]
                                        ; implicit-def: $vgpr10_vgpr11
	s_cbranch_vccz .LBB27_28
; %bb.26:                               ;   in Loop: Header=BB27_25 Depth=2
	s_waitcnt lgkmcnt(0)
	v_add_u32_e32 v10, v8, v0
	v_ashrrev_i32_e32 v11, 31, v10
	v_lshlrev_b64 v[25:26], 3, v[10:11]
	v_add_u32_e32 v27, v9, v1
	v_ashrrev_i32_e32 v28, 31, v27
	v_mov_b32_e32 v11, s21
	v_add_co_u32_e32 v25, vcc, s20, v25
	v_lshlrev_b64 v[28:29], 3, v[27:28]
	v_add_u32_e32 v30, 7, v10
	v_addc_co_u32_e32 v26, vcc, v11, v26, vcc
	v_ashrrev_i32_e32 v31, 31, v30
	v_add_co_u32_e32 v28, vcc, s20, v28
	v_lshlrev_b64 v[30:31], 3, v[30:31]
	v_add_u32_e32 v32, 7, v27
	v_addc_co_u32_e32 v29, vcc, v11, v29, vcc
	v_ashrrev_i32_e32 v33, 31, v32
	v_add_co_u32_e32 v30, vcc, s20, v30
	v_lshlrev_b64 v[32:33], 3, v[32:33]
	v_addc_co_u32_e32 v31, vcc, v11, v31, vcc
	v_add_co_u32_e32 v32, vcc, s20, v32
	v_addc_co_u32_e32 v33, vcc, v11, v33, vcc
	global_load_dwordx2 v[34:35], v[25:26], off
	global_load_dwordx2 v[36:37], v[28:29], off
	;; [unrolled: 1-line block ×4, first 2 shown]
	v_add_u32_e32 v25, 14, v10
	v_ashrrev_i32_e32 v26, 31, v25
	v_lshlrev_b64 v[25:26], 3, v[25:26]
	v_add_u32_e32 v28, 14, v27
	v_ashrrev_i32_e32 v29, 31, v28
	v_add_co_u32_e32 v25, vcc, s20, v25
	v_lshlrev_b64 v[28:29], 3, v[28:29]
	v_add_u32_e32 v30, 21, v10
	v_addc_co_u32_e32 v26, vcc, v11, v26, vcc
	v_ashrrev_i32_e32 v31, 31, v30
	v_add_co_u32_e32 v28, vcc, s20, v28
	v_lshlrev_b64 v[30:31], 3, v[30:31]
	v_add_u32_e32 v32, 21, v27
	v_addc_co_u32_e32 v29, vcc, v11, v29, vcc
	v_ashrrev_i32_e32 v33, 31, v32
	v_add_co_u32_e32 v30, vcc, s20, v30
	v_lshlrev_b64 v[32:33], 3, v[32:33]
	v_addc_co_u32_e32 v31, vcc, v11, v31, vcc
	v_add_co_u32_e32 v32, vcc, s20, v32
	v_addc_co_u32_e32 v33, vcc, v11, v33, vcc
	global_load_dwordx2 v[42:43], v[25:26], off
	global_load_dwordx2 v[44:45], v[28:29], off
	;; [unrolled: 1-line block ×4, first 2 shown]
	v_add_u32_e32 v25, 28, v10
	v_ashrrev_i32_e32 v26, 31, v25
	v_lshlrev_b64 v[25:26], 3, v[25:26]
	v_add_u32_e32 v28, 28, v27
	v_ashrrev_i32_e32 v29, 31, v28
	v_add_co_u32_e32 v25, vcc, s20, v25
	v_lshlrev_b64 v[28:29], 3, v[28:29]
	v_add_u32_e32 v30, 35, v10
	v_addc_co_u32_e32 v26, vcc, v11, v26, vcc
	v_ashrrev_i32_e32 v31, 31, v30
	v_add_co_u32_e32 v28, vcc, s20, v28
	v_lshlrev_b64 v[30:31], 3, v[30:31]
	v_add_u32_e32 v32, 35, v27
	v_addc_co_u32_e32 v29, vcc, v11, v29, vcc
	v_ashrrev_i32_e32 v33, 31, v32
	v_add_co_u32_e32 v30, vcc, s20, v30
	v_lshlrev_b64 v[32:33], 3, v[32:33]
	v_addc_co_u32_e32 v31, vcc, v11, v31, vcc
	v_add_co_u32_e32 v32, vcc, s20, v32
	v_addc_co_u32_e32 v33, vcc, v11, v33, vcc
	global_load_dwordx2 v[50:51], v[25:26], off
	global_load_dwordx2 v[52:53], v[28:29], off
	;; [unrolled: 1-line block ×4, first 2 shown]
	v_add_u32_e32 v10, 42, v10
	v_ashrrev_i32_e32 v11, 31, v10
	v_lshlrev_b64 v[10:11], 3, v[10:11]
	v_mov_b32_e32 v25, s21
	v_add_co_u32_e32 v10, vcc, s20, v10
	v_addc_co_u32_e32 v11, vcc, v25, v11, vcc
	v_add_u32_e32 v25, 42, v27
	v_ashrrev_i32_e32 v26, 31, v25
	v_lshlrev_b64 v[25:26], 3, v[25:26]
	v_mov_b32_e32 v27, s21
	v_add_co_u32_e32 v25, vcc, s20, v25
	v_addc_co_u32_e32 v26, vcc, v27, v26, vcc
	global_load_dwordx2 v[27:28], v[10:11], off
	global_load_dwordx2 v[29:30], v[25:26], off
	s_waitcnt vmcnt(12)
	v_fma_f64 v[10:11], v[34:35], v[36:37], v[6:7]
	s_waitcnt vmcnt(10)
	v_fma_f64 v[10:11], v[38:39], v[40:41], v[10:11]
	;; [unrolled: 2-line block ×7, first 2 shown]
	s_cbranch_execz .LBB27_29
.LBB27_27:                              ;   in Loop: Header=BB27_25 Depth=2
	s_add_i32 s24, s24, -1
	s_add_i32 s25, s25, 4
	s_cmp_eq_u32 s24, 0
	s_cbranch_scc0 .LBB27_30
	s_branch .LBB27_31
.LBB27_28:                              ;   in Loop: Header=BB27_25 Depth=2
	s_andn2_b64 vcc, exec, s[22:23]
	s_cbranch_vccnz .LBB27_27
.LBB27_29:                              ;   in Loop: Header=BB27_25 Depth=2
	s_waitcnt lgkmcnt(0)
	v_add_u32_e32 v10, v8, v17
	v_ashrrev_i32_e32 v11, 31, v10
	v_lshlrev_b64 v[10:11], 3, v[10:11]
	v_mov_b32_e32 v8, s21
	v_add_co_u32_e32 v45, vcc, s20, v10
	v_addc_co_u32_e32 v46, vcc, v8, v11, vcc
	v_add_u32_e32 v8, v9, v16
	v_ashrrev_i32_e32 v9, 31, v8
	v_lshlrev_b64 v[8:9], 3, v[8:9]
	v_mov_b32_e32 v10, s21
	v_add_co_u32_e32 v47, vcc, s20, v8
	v_addc_co_u32_e32 v48, vcc, v10, v9, vcc
	global_load_dwordx4 v[8:11], v[47:48], off
	global_load_dwordx4 v[25:28], v[45:46], off
	global_load_dwordx4 v[29:32], v[45:46], off offset:16
	global_load_dwordx4 v[33:36], v[47:48], off offset:16
	;; [unrolled: 1-line block ×4, first 2 shown]
	global_load_dwordx2 v[49:50], v[45:46], off offset:48
	global_load_dwordx2 v[51:52], v[47:48], off offset:48
	s_waitcnt vmcnt(6)
	v_fma_f64 v[6:7], v[25:26], v[8:9], v[6:7]
	v_fma_f64 v[6:7], v[27:28], v[10:11], v[6:7]
	s_waitcnt vmcnt(4)
	v_fma_f64 v[6:7], v[29:30], v[33:34], v[6:7]
	v_fma_f64 v[6:7], v[31:32], v[35:36], v[6:7]
	;; [unrolled: 3-line block ×3, first 2 shown]
	s_waitcnt vmcnt(0)
	v_fma_f64 v[10:11], v[49:50], v[51:52], v[6:7]
	s_add_i32 s24, s24, -1
	s_add_i32 s25, s25, 4
	s_cmp_eq_u32 s24, 0
	s_cbranch_scc1 .LBB27_31
.LBB27_30:                              ;   in Loop: Header=BB27_25 Depth=2
	v_mov_b32_e32 v6, v10
	v_mov_b32_e32 v7, v11
	s_branch .LBB27_25
.LBB27_31:                              ;   in Loop: Header=BB27_8 Depth=1
	ds_write_b64 v22, v[10:11]
	s_waitcnt lgkmcnt(0)
	ds_read_b64 v[8:9], v2
	ds_read_b64 v[6:7], v18
	s_waitcnt lgkmcnt(1)
	v_cmp_neq_f64_e32 vcc, 0, v[8:9]
	v_cndmask_b32_e32 v9, v24, v9, vcc
	s_nor_b64 s[24:25], vcc, s[0:1]
	v_cndmask_b32_e32 v8, 0, v8, vcc
	s_and_saveexec_b64 s[22:23], s[24:25]
	s_cbranch_execz .LBB27_35
; %bb.32:                               ;   in Loop: Header=BB27_8 Depth=1
	v_mbcnt_lo_u32_b32 v8, exec_lo, 0
	v_mbcnt_hi_u32_b32 v8, exec_hi, v8
	v_cmp_eq_u32_e32 vcc, 0, v8
	s_and_saveexec_b64 s[24:25], vcc
	s_cbranch_execz .LBB27_34
; %bb.33:                               ;   in Loop: Header=BB27_8 Depth=1
	v_mov_b32_e32 v8, s5
	global_atomic_smin v2, v8, s[14:15]
.LBB27_34:                              ;   in Loop: Header=BB27_8 Depth=1
	s_or_b64 exec, exec, s[24:25]
	v_mov_b32_e32 v8, 0
	v_mov_b32_e32 v9, 0x3ff00000
.LBB27_35:                              ;   in Loop: Header=BB27_8 Depth=1
	s_or_b64 exec, exec, s[22:23]
	ds_read_b64 v[10:11], v21
	s_waitcnt lgkmcnt(0)
	v_add_f64 v[6:7], v[6:7], -v[10:11]
	v_div_scale_f64 v[10:11], s[22:23], v[8:9], v[8:9], v[6:7]
	v_rcp_f64_e32 v[25:26], v[10:11]
	v_fma_f64 v[27:28], -v[10:11], v[25:26], 1.0
	v_fma_f64 v[25:26], v[25:26], v[27:28], v[25:26]
	v_div_scale_f64 v[27:28], vcc, v[6:7], v[8:9], v[6:7]
	v_fma_f64 v[29:30], -v[10:11], v[25:26], 1.0
	v_fma_f64 v[25:26], v[25:26], v[29:30], v[25:26]
	v_mul_f64 v[29:30], v[27:28], v[25:26]
	v_fma_f64 v[10:11], -v[10:11], v[29:30], v[27:28]
	v_div_fmas_f64 v[10:11], v[10:11], v[25:26], v[29:30]
	v_div_fixup_f64 v[6:7], v[10:11], v[8:9], v[6:7]
	ds_write_b64 v18, v[6:7]
	s_waitcnt lgkmcnt(0)
	ds_read_b64 v[8:9], v23
	ds_read_b64 v[10:11], v14
	s_waitcnt lgkmcnt(0)
	v_fma_f64 v[6:7], v[6:7], v[8:9], v[10:11]
	ds_write_b64 v14, v[6:7]
	s_waitcnt lgkmcnt(0)
	ds_read_b64 v[8:9], v2 offset:72
	ds_read_b64 v[6:7], v18 offset:8
	s_waitcnt lgkmcnt(1)
	v_cmp_neq_f64_e32 vcc, 0, v[8:9]
	v_cndmask_b32_e32 v9, v24, v9, vcc
	s_nor_b64 s[24:25], vcc, s[0:1]
	v_cndmask_b32_e32 v8, 0, v8, vcc
	s_and_saveexec_b64 s[22:23], s[24:25]
	s_cbranch_execz .LBB27_39
; %bb.36:                               ;   in Loop: Header=BB27_8 Depth=1
	v_mbcnt_lo_u32_b32 v8, exec_lo, 0
	v_mbcnt_hi_u32_b32 v8, exec_hi, v8
	v_cmp_eq_u32_e32 vcc, 0, v8
	s_and_saveexec_b64 s[24:25], vcc
	s_cbranch_execz .LBB27_38
; %bb.37:                               ;   in Loop: Header=BB27_8 Depth=1
	v_mov_b32_e32 v8, s5
	global_atomic_smin v2, v8, s[14:15]
.LBB27_38:                              ;   in Loop: Header=BB27_8 Depth=1
	s_or_b64 exec, exec, s[24:25]
	v_mov_b32_e32 v8, 0
	v_mov_b32_e32 v9, 0x3ff00000
.LBB27_39:                              ;   in Loop: Header=BB27_8 Depth=1
	s_or_b64 exec, exec, s[22:23]
	ds_read_b64 v[10:11], v2 offset:64
	ds_read_b64 v[25:26], v18
	ds_read_b64 v[27:28], v21 offset:8
	s_waitcnt lgkmcnt(0)
	v_fma_f64 v[10:11], v[10:11], v[25:26], v[27:28]
	v_add_f64 v[6:7], v[6:7], -v[10:11]
	v_div_scale_f64 v[10:11], s[22:23], v[8:9], v[8:9], v[6:7]
	v_rcp_f64_e32 v[25:26], v[10:11]
	v_fma_f64 v[27:28], -v[10:11], v[25:26], 1.0
	v_fma_f64 v[25:26], v[25:26], v[27:28], v[25:26]
	v_div_scale_f64 v[27:28], vcc, v[6:7], v[8:9], v[6:7]
	v_fma_f64 v[29:30], -v[10:11], v[25:26], 1.0
	v_fma_f64 v[25:26], v[25:26], v[29:30], v[25:26]
	v_mul_f64 v[29:30], v[27:28], v[25:26]
	v_fma_f64 v[10:11], -v[10:11], v[29:30], v[27:28]
	v_div_fmas_f64 v[10:11], v[10:11], v[25:26], v[29:30]
	v_div_fixup_f64 v[6:7], v[10:11], v[8:9], v[6:7]
	ds_write_b64 v18, v[6:7] offset:8
	s_waitcnt lgkmcnt(0)
	ds_read_b64 v[8:9], v23 offset:8
	ds_read_b64 v[10:11], v14
	s_waitcnt lgkmcnt(0)
	v_fma_f64 v[6:7], v[6:7], v[8:9], v[10:11]
	ds_write_b64 v14, v[6:7]
	s_waitcnt lgkmcnt(0)
	ds_read_b64 v[8:9], v2 offset:144
	ds_read_b64 v[6:7], v18 offset:16
	s_waitcnt lgkmcnt(1)
	v_cmp_neq_f64_e32 vcc, 0, v[8:9]
	v_cndmask_b32_e32 v9, v24, v9, vcc
	s_nor_b64 s[24:25], vcc, s[0:1]
	v_cndmask_b32_e32 v8, 0, v8, vcc
	s_and_saveexec_b64 s[22:23], s[24:25]
	s_cbranch_execz .LBB27_43
; %bb.40:                               ;   in Loop: Header=BB27_8 Depth=1
	v_mbcnt_lo_u32_b32 v8, exec_lo, 0
	v_mbcnt_hi_u32_b32 v8, exec_hi, v8
	v_cmp_eq_u32_e32 vcc, 0, v8
	s_and_saveexec_b64 s[24:25], vcc
	s_cbranch_execz .LBB27_42
; %bb.41:                               ;   in Loop: Header=BB27_8 Depth=1
	v_mov_b32_e32 v8, s5
	global_atomic_smin v2, v8, s[14:15]
.LBB27_42:                              ;   in Loop: Header=BB27_8 Depth=1
	s_or_b64 exec, exec, s[24:25]
	v_mov_b32_e32 v8, 0
	v_mov_b32_e32 v9, 0x3ff00000
.LBB27_43:                              ;   in Loop: Header=BB27_8 Depth=1
	s_or_b64 exec, exec, s[22:23]
	ds_read_b128 v[25:28], v2 offset:128
	ds_read_b128 v[29:32], v18
	ds_read_b64 v[10:11], v21 offset:16
	s_waitcnt lgkmcnt(0)
	v_fma_f64 v[10:11], v[25:26], v[29:30], v[10:11]
	v_fma_f64 v[10:11], v[27:28], v[31:32], v[10:11]
	v_add_f64 v[6:7], v[6:7], -v[10:11]
	v_div_scale_f64 v[10:11], s[22:23], v[8:9], v[8:9], v[6:7]
	v_rcp_f64_e32 v[25:26], v[10:11]
	v_fma_f64 v[27:28], -v[10:11], v[25:26], 1.0
	v_fma_f64 v[25:26], v[25:26], v[27:28], v[25:26]
	v_div_scale_f64 v[27:28], vcc, v[6:7], v[8:9], v[6:7]
	v_fma_f64 v[29:30], -v[10:11], v[25:26], 1.0
	v_fma_f64 v[25:26], v[25:26], v[29:30], v[25:26]
	v_mul_f64 v[29:30], v[27:28], v[25:26]
	v_fma_f64 v[10:11], -v[10:11], v[29:30], v[27:28]
	v_div_fmas_f64 v[10:11], v[10:11], v[25:26], v[29:30]
	v_div_fixup_f64 v[6:7], v[10:11], v[8:9], v[6:7]
	ds_write_b64 v18, v[6:7] offset:16
	s_waitcnt lgkmcnt(0)
	ds_read_b64 v[8:9], v23 offset:16
	ds_read_b64 v[10:11], v14
	s_waitcnt lgkmcnt(0)
	v_fma_f64 v[6:7], v[6:7], v[8:9], v[10:11]
	ds_write_b64 v14, v[6:7]
	s_waitcnt lgkmcnt(0)
	ds_read_b64 v[8:9], v2 offset:216
	ds_read_b64 v[6:7], v18 offset:24
	s_waitcnt lgkmcnt(1)
	v_cmp_neq_f64_e32 vcc, 0, v[8:9]
	v_cndmask_b32_e32 v9, v24, v9, vcc
	s_nor_b64 s[24:25], vcc, s[0:1]
	v_cndmask_b32_e32 v8, 0, v8, vcc
	s_and_saveexec_b64 s[22:23], s[24:25]
	s_cbranch_execz .LBB27_47
; %bb.44:                               ;   in Loop: Header=BB27_8 Depth=1
	v_mbcnt_lo_u32_b32 v8, exec_lo, 0
	v_mbcnt_hi_u32_b32 v8, exec_hi, v8
	v_cmp_eq_u32_e32 vcc, 0, v8
	s_and_saveexec_b64 s[24:25], vcc
	s_cbranch_execz .LBB27_46
; %bb.45:                               ;   in Loop: Header=BB27_8 Depth=1
	v_mov_b32_e32 v8, s5
	global_atomic_smin v2, v8, s[14:15]
.LBB27_46:                              ;   in Loop: Header=BB27_8 Depth=1
	s_or_b64 exec, exec, s[24:25]
	v_mov_b32_e32 v8, 0
	v_mov_b32_e32 v9, 0x3ff00000
.LBB27_47:                              ;   in Loop: Header=BB27_8 Depth=1
	s_or_b64 exec, exec, s[22:23]
	ds_read_b128 v[25:28], v2 offset:192
	ds_read_b64 v[10:11], v21 offset:24
	ds_read_b128 v[29:32], v18
	ds_read_b64 v[33:34], v18 offset:16
	s_waitcnt lgkmcnt(1)
	v_fma_f64 v[10:11], v[25:26], v[29:30], v[10:11]
	ds_read_b64 v[25:26], v2 offset:208
	v_fma_f64 v[10:11], v[27:28], v[31:32], v[10:11]
	s_waitcnt lgkmcnt(0)
	v_fma_f64 v[10:11], v[25:26], v[33:34], v[10:11]
	v_add_f64 v[6:7], v[6:7], -v[10:11]
	v_div_scale_f64 v[10:11], s[22:23], v[8:9], v[8:9], v[6:7]
	v_rcp_f64_e32 v[25:26], v[10:11]
	v_fma_f64 v[27:28], -v[10:11], v[25:26], 1.0
	v_fma_f64 v[25:26], v[25:26], v[27:28], v[25:26]
	v_div_scale_f64 v[27:28], vcc, v[6:7], v[8:9], v[6:7]
	v_fma_f64 v[29:30], -v[10:11], v[25:26], 1.0
	v_fma_f64 v[25:26], v[25:26], v[29:30], v[25:26]
	v_mul_f64 v[29:30], v[27:28], v[25:26]
	v_fma_f64 v[10:11], -v[10:11], v[29:30], v[27:28]
	v_div_fmas_f64 v[10:11], v[10:11], v[25:26], v[29:30]
	v_div_fixup_f64 v[6:7], v[10:11], v[8:9], v[6:7]
	ds_write_b64 v18, v[6:7] offset:24
	s_waitcnt lgkmcnt(0)
	ds_read_b64 v[8:9], v23 offset:24
	ds_read_b64 v[10:11], v14
	s_waitcnt lgkmcnt(0)
	v_fma_f64 v[6:7], v[6:7], v[8:9], v[10:11]
	ds_write_b64 v14, v[6:7]
	s_waitcnt lgkmcnt(0)
	ds_read_b64 v[8:9], v2 offset:288
	ds_read_b64 v[6:7], v18 offset:32
	s_waitcnt lgkmcnt(1)
	v_cmp_neq_f64_e32 vcc, 0, v[8:9]
	v_cndmask_b32_e32 v9, v24, v9, vcc
	s_nor_b64 s[24:25], vcc, s[0:1]
	v_cndmask_b32_e32 v8, 0, v8, vcc
	s_and_saveexec_b64 s[22:23], s[24:25]
	s_cbranch_execz .LBB27_51
; %bb.48:                               ;   in Loop: Header=BB27_8 Depth=1
	v_mbcnt_lo_u32_b32 v8, exec_lo, 0
	v_mbcnt_hi_u32_b32 v8, exec_hi, v8
	v_cmp_eq_u32_e32 vcc, 0, v8
	s_and_saveexec_b64 s[24:25], vcc
	s_cbranch_execz .LBB27_50
; %bb.49:                               ;   in Loop: Header=BB27_8 Depth=1
	v_mov_b32_e32 v8, s5
	global_atomic_smin v2, v8, s[14:15]
.LBB27_50:                              ;   in Loop: Header=BB27_8 Depth=1
	s_or_b64 exec, exec, s[24:25]
	v_mov_b32_e32 v8, 0
	v_mov_b32_e32 v9, 0x3ff00000
.LBB27_51:                              ;   in Loop: Header=BB27_8 Depth=1
	s_or_b64 exec, exec, s[22:23]
	ds_read_b128 v[25:28], v2 offset:256
	ds_read_b64 v[10:11], v21 offset:32
	ds_read_b128 v[29:32], v18
	ds_read_b128 v[33:36], v18 offset:16
	s_waitcnt lgkmcnt(1)
	v_fma_f64 v[10:11], v[25:26], v[29:30], v[10:11]
	v_fma_f64 v[10:11], v[27:28], v[31:32], v[10:11]
	ds_read_b128 v[25:28], v2 offset:272
	s_waitcnt lgkmcnt(0)
	v_fma_f64 v[10:11], v[25:26], v[33:34], v[10:11]
	v_fma_f64 v[10:11], v[27:28], v[35:36], v[10:11]
	v_add_f64 v[6:7], v[6:7], -v[10:11]
	v_div_scale_f64 v[10:11], s[22:23], v[8:9], v[8:9], v[6:7]
	v_rcp_f64_e32 v[25:26], v[10:11]
	v_fma_f64 v[27:28], -v[10:11], v[25:26], 1.0
	v_fma_f64 v[25:26], v[25:26], v[27:28], v[25:26]
	v_div_scale_f64 v[27:28], vcc, v[6:7], v[8:9], v[6:7]
	v_fma_f64 v[29:30], -v[10:11], v[25:26], 1.0
	v_fma_f64 v[25:26], v[25:26], v[29:30], v[25:26]
	v_mul_f64 v[29:30], v[27:28], v[25:26]
	v_fma_f64 v[10:11], -v[10:11], v[29:30], v[27:28]
	v_div_fmas_f64 v[10:11], v[10:11], v[25:26], v[29:30]
	v_div_fixup_f64 v[6:7], v[10:11], v[8:9], v[6:7]
	ds_write_b64 v18, v[6:7] offset:32
	s_waitcnt lgkmcnt(0)
	ds_read_b64 v[8:9], v23 offset:32
	ds_read_b64 v[10:11], v14
	s_waitcnt lgkmcnt(0)
	v_fma_f64 v[6:7], v[6:7], v[8:9], v[10:11]
	ds_write_b64 v14, v[6:7]
	s_waitcnt lgkmcnt(0)
	ds_read_b64 v[8:9], v2 offset:360
	ds_read_b64 v[6:7], v18 offset:40
	s_waitcnt lgkmcnt(1)
	v_cmp_neq_f64_e32 vcc, 0, v[8:9]
	v_cndmask_b32_e32 v9, v24, v9, vcc
	s_nor_b64 s[24:25], vcc, s[0:1]
	v_cndmask_b32_e32 v8, 0, v8, vcc
	s_and_saveexec_b64 s[22:23], s[24:25]
	s_cbranch_execz .LBB27_55
; %bb.52:                               ;   in Loop: Header=BB27_8 Depth=1
	v_mbcnt_lo_u32_b32 v8, exec_lo, 0
	v_mbcnt_hi_u32_b32 v8, exec_hi, v8
	v_cmp_eq_u32_e32 vcc, 0, v8
	s_and_saveexec_b64 s[24:25], vcc
	s_cbranch_execz .LBB27_54
; %bb.53:                               ;   in Loop: Header=BB27_8 Depth=1
	v_mov_b32_e32 v8, s5
	global_atomic_smin v2, v8, s[14:15]
.LBB27_54:                              ;   in Loop: Header=BB27_8 Depth=1
	s_or_b64 exec, exec, s[24:25]
	v_mov_b32_e32 v8, 0
	v_mov_b32_e32 v9, 0x3ff00000
.LBB27_55:                              ;   in Loop: Header=BB27_8 Depth=1
	s_or_b64 exec, exec, s[22:23]
	ds_read_b128 v[25:28], v18
	ds_read_b64 v[10:11], v21 offset:40
	ds_read_b128 v[29:32], v2 offset:320
	ds_read_b128 v[33:36], v2 offset:336
	;; [unrolled: 1-line block ×3, first 2 shown]
	s_waitcnt lgkmcnt(2)
	v_fma_f64 v[10:11], v[29:30], v[25:26], v[10:11]
	v_fma_f64 v[10:11], v[31:32], v[27:28], v[10:11]
	ds_read_b64 v[25:26], v18 offset:32
	ds_read_b64 v[27:28], v2 offset:352
	s_waitcnt lgkmcnt(2)
	v_fma_f64 v[10:11], v[33:34], v[37:38], v[10:11]
	v_fma_f64 v[10:11], v[35:36], v[39:40], v[10:11]
	s_waitcnt lgkmcnt(0)
	v_fma_f64 v[10:11], v[27:28], v[25:26], v[10:11]
	v_add_f64 v[6:7], v[6:7], -v[10:11]
	v_div_scale_f64 v[10:11], s[22:23], v[8:9], v[8:9], v[6:7]
	v_rcp_f64_e32 v[25:26], v[10:11]
	v_fma_f64 v[27:28], -v[10:11], v[25:26], 1.0
	v_fma_f64 v[25:26], v[25:26], v[27:28], v[25:26]
	v_div_scale_f64 v[27:28], vcc, v[6:7], v[8:9], v[6:7]
	v_fma_f64 v[29:30], -v[10:11], v[25:26], 1.0
	v_fma_f64 v[25:26], v[25:26], v[29:30], v[25:26]
	v_mul_f64 v[29:30], v[27:28], v[25:26]
	v_fma_f64 v[10:11], -v[10:11], v[29:30], v[27:28]
	v_div_fmas_f64 v[10:11], v[10:11], v[25:26], v[29:30]
	v_div_fixup_f64 v[6:7], v[10:11], v[8:9], v[6:7]
	ds_write_b64 v18, v[6:7] offset:40
	s_waitcnt lgkmcnt(0)
	ds_read_b64 v[8:9], v23 offset:40
	ds_read_b64 v[10:11], v14
	s_waitcnt lgkmcnt(0)
	v_fma_f64 v[6:7], v[6:7], v[8:9], v[10:11]
	ds_write_b64 v14, v[6:7]
	s_waitcnt lgkmcnt(0)
	ds_read_b64 v[8:9], v2 offset:432
	ds_read_b64 v[6:7], v18 offset:48
	s_waitcnt lgkmcnt(1)
	v_cmp_neq_f64_e32 vcc, 0, v[8:9]
	v_cndmask_b32_e32 v9, v24, v9, vcc
	s_nor_b64 s[24:25], vcc, s[0:1]
	v_cndmask_b32_e32 v8, 0, v8, vcc
	s_and_saveexec_b64 s[22:23], s[24:25]
	s_cbranch_execz .LBB27_7
; %bb.56:                               ;   in Loop: Header=BB27_8 Depth=1
	v_mbcnt_lo_u32_b32 v8, exec_lo, 0
	v_mbcnt_hi_u32_b32 v8, exec_hi, v8
	v_cmp_eq_u32_e32 vcc, 0, v8
	s_and_saveexec_b64 s[24:25], vcc
	s_cbranch_execz .LBB27_6
; %bb.57:                               ;   in Loop: Header=BB27_8 Depth=1
	v_mov_b32_e32 v8, s5
	global_atomic_smin v2, v8, s[14:15]
	s_branch .LBB27_6
.LBB27_58:                              ;   in Loop: Header=BB27_8 Depth=1
                                        ; implicit-def: $sgpr4
	s_cbranch_execz .LBB27_8
.LBB27_59:
	s_cmp_lg_u32 s33, 0
	s_cselect_b64 s[4:5], -1, 0
	s_cmp_eq_u32 s33, 0
	v_mov_b32_e32 v2, v12
	s_cbranch_scc1 .LBB27_61
; %bb.60:
	v_mad_u32_u24 v2, v0, 7, v1
.LBB27_61:
	s_mul_i32 s30, s30, 49
	v_add_u32_e32 v2, s30, v2
	v_ashrrev_i32_e32 v3, 31, v2
	v_lshlrev_b64 v[2:3], 3, v[2:3]
	v_mov_b32_e32 v4, s21
	v_add_co_u32_e32 v2, vcc, s20, v2
	v_addc_co_u32_e32 v3, vcc, v4, v3, vcc
	global_load_dwordx2 v[2:3], v[2:3], off
	v_mov_b32_e32 v4, 0x380
	v_lshl_add_u32 v5, v1, 6, v4
	v_cmp_ne_u32_e32 vcc, 0, v1
	v_lshl_add_u32 v4, v0, 3, v5
	v_cmp_eq_u32_e64 s[0:1], 0, v1
	s_waitcnt vmcnt(0)
	ds_write_b64 v4, v[2:3]
	s_waitcnt lgkmcnt(0)
	s_and_saveexec_b64 s[2:3], s[0:1]
	s_cbranch_execz .LBB27_63
; %bb.62:
	v_mov_b32_e32 v16, 0
	ds_read2_b64 v[6:9], v16 offset0:112 offset1:168
	s_mov_b32 s8, 0
	s_brev_b32 s9, 8
	s_waitcnt lgkmcnt(0)
	v_add_f64 v[2:3], v[6:7], -v[8:9]
	v_cmp_gt_f64_e64 s[0:1], 0, v[2:3]
	v_xor_b32_e32 v6, 0x80000000, v3
	v_cndmask_b32_e64 v3, v3, v6, s[0:1]
	v_cmp_gt_f64_e64 s[0:1], s[8:9], v[2:3]
	s_and_b64 s[0:1], s[0:1], exec
	s_cselect_b32 s0, 0x100, 0
	v_ldexp_f64 v[2:3], v[2:3], s0
	s_cselect_b32 s0, 0xffffff80, 0
	v_rsq_f64_e32 v[6:7], v[2:3]
	v_mul_f64 v[8:9], v[2:3], v[6:7]
	v_mul_f64 v[6:7], v[6:7], 0.5
	v_fma_f64 v[10:11], -v[6:7], v[8:9], 0.5
	v_fma_f64 v[8:9], v[8:9], v[10:11], v[8:9]
	v_fma_f64 v[6:7], v[6:7], v[10:11], v[6:7]
	v_fma_f64 v[10:11], -v[8:9], v[8:9], v[2:3]
	v_fma_f64 v[8:9], v[10:11], v[6:7], v[8:9]
	v_fma_f64 v[10:11], -v[8:9], v[8:9], v[2:3]
	v_fma_f64 v[6:7], v[10:11], v[6:7], v[8:9]
	v_mov_b32_e32 v8, 0x260
	v_ldexp_f64 v[6:7], v[6:7], s0
	v_cmp_class_f64_e64 s[0:1], v[2:3], v8
	v_cndmask_b32_e64 v3, v7, v3, s[0:1]
	v_cndmask_b32_e64 v2, v6, v2, s[0:1]
	ds_write_b64 v16, v[2:3] offset:896
.LBB27_63:
	s_or_b64 exec, exec, s[2:3]
	v_mov_b32_e32 v2, 0
	s_waitcnt lgkmcnt(0)
	ds_read_b64 v[2:3], v2 offset:896
	v_or_b32_e32 v6, v0, v1
	v_mov_b32_e32 v7, 0x3ff00000
	v_cmp_ne_u32_e64 s[0:1], 0, v6
	s_add_i32 s18, s12, s13
	s_waitcnt lgkmcnt(0)
	v_cmp_neq_f64_e64 s[2:3], 0, v[2:3]
	v_cndmask_b32_e64 v3, v7, v3, s[2:3]
	s_nor_b64 s[16:17], s[2:3], s[0:1]
	v_cndmask_b32_e64 v2, 0, v2, s[2:3]
	s_and_saveexec_b64 s[8:9], s[16:17]
	s_cbranch_execz .LBB27_67
; %bb.64:
	v_mbcnt_lo_u32_b32 v2, exec_lo, 0
	v_mbcnt_hi_u32_b32 v2, exec_hi, v2
	v_cmp_eq_u32_e64 s[2:3], 0, v2
	s_and_saveexec_b64 s[16:17], s[2:3]
	s_cbranch_execz .LBB27_66
; %bb.65:
	v_mov_b32_e32 v2, 0
	v_mov_b32_e32 v3, s18
	global_atomic_smin v2, v3, s[14:15]
.LBB27_66:
	s_or_b64 exec, exec, s[16:17]
	v_mov_b32_e32 v2, 0
	v_mov_b32_e32 v3, 0x3ff00000
.LBB27_67:
	s_or_b64 exec, exec, s[8:9]
	v_mov_b32_e32 v7, 0x380
	v_lshl_add_u32 v7, v0, 6, v7
	s_and_saveexec_b64 s[2:3], vcc
	s_cbranch_execz .LBB27_69
; %bb.68:
	ds_read_b64 v[8:9], v5
	ds_read_b64 v[10:11], v15
	s_waitcnt lgkmcnt(0)
	v_add_f64 v[8:9], v[8:9], -v[10:11]
	v_div_scale_f64 v[10:11], s[8:9], v[2:3], v[2:3], v[8:9]
	v_rcp_f64_e32 v[16:17], v[10:11]
	v_fma_f64 v[18:19], -v[10:11], v[16:17], 1.0
	v_fma_f64 v[16:17], v[16:17], v[18:19], v[16:17]
	v_div_scale_f64 v[18:19], vcc, v[8:9], v[2:3], v[8:9]
	v_fma_f64 v[20:21], -v[10:11], v[16:17], 1.0
	v_fma_f64 v[16:17], v[16:17], v[20:21], v[16:17]
	v_mul_f64 v[20:21], v[18:19], v[16:17]
	v_fma_f64 v[10:11], -v[10:11], v[20:21], v[18:19]
	v_div_fmas_f64 v[10:11], v[10:11], v[16:17], v[20:21]
	v_div_fixup_f64 v[2:3], v[10:11], v[2:3], v[8:9]
	ds_write_b64 v5, v[2:3]
	s_waitcnt lgkmcnt(0)
	ds_read_b64 v[8:9], v7
	ds_read_b64 v[10:11], v14
	s_waitcnt lgkmcnt(0)
	v_fma_f64 v[2:3], v[2:3], v[8:9], v[10:11]
	ds_write_b64 v14, v[2:3]
.LBB27_69:
	s_or_b64 exec, exec, s[2:3]
	v_cmp_eq_u32_e32 vcc, 1, v1
	s_waitcnt lgkmcnt(0)
	s_and_saveexec_b64 s[2:3], vcc
	s_cbranch_execz .LBB27_71
; %bb.70:
	v_mov_b32_e32 v18, 0
	ds_read2_b64 v[8:11], v18 offset0:121 offset1:177
	s_mov_b32 s8, 0
	s_brev_b32 s9, 8
	s_waitcnt lgkmcnt(0)
	v_add_f64 v[2:3], v[8:9], -v[10:11]
	v_cmp_gt_f64_e32 vcc, 0, v[2:3]
	v_xor_b32_e32 v8, 0x80000000, v3
	v_cndmask_b32_e32 v3, v3, v8, vcc
	v_cmp_gt_f64_e32 vcc, s[8:9], v[2:3]
	s_and_b64 s[8:9], vcc, exec
	s_cselect_b32 s8, 0x100, 0
	v_ldexp_f64 v[2:3], v[2:3], s8
	s_cselect_b32 s8, 0xffffff80, 0
	v_rsq_f64_e32 v[8:9], v[2:3]
	v_mul_f64 v[10:11], v[2:3], v[8:9]
	v_mul_f64 v[8:9], v[8:9], 0.5
	v_fma_f64 v[16:17], -v[8:9], v[10:11], 0.5
	v_fma_f64 v[10:11], v[10:11], v[16:17], v[10:11]
	v_fma_f64 v[8:9], v[8:9], v[16:17], v[8:9]
	v_fma_f64 v[16:17], -v[10:11], v[10:11], v[2:3]
	v_fma_f64 v[10:11], v[16:17], v[8:9], v[10:11]
	v_fma_f64 v[16:17], -v[10:11], v[10:11], v[2:3]
	v_fma_f64 v[8:9], v[16:17], v[8:9], v[10:11]
	v_mov_b32_e32 v10, 0x260
	v_cmp_class_f64_e32 vcc, v[2:3], v10
	v_ldexp_f64 v[8:9], v[8:9], s8
	v_cndmask_b32_e32 v3, v9, v3, vcc
	v_cndmask_b32_e32 v2, v8, v2, vcc
	ds_write_b64 v18, v[2:3] offset:968
.LBB27_71:
	s_or_b64 exec, exec, s[2:3]
	v_mov_b32_e32 v2, 0
	s_waitcnt lgkmcnt(0)
	ds_read_b64 v[2:3], v2 offset:968
	v_mov_b32_e32 v8, 0x3ff00000
	s_waitcnt lgkmcnt(0)
	v_cmp_neq_f64_e32 vcc, 0, v[2:3]
	v_cndmask_b32_e32 v3, v8, v3, vcc
	s_nor_b64 s[8:9], vcc, s[0:1]
	v_cndmask_b32_e32 v2, 0, v2, vcc
	s_and_saveexec_b64 s[2:3], s[8:9]
	s_cbranch_execz .LBB27_75
; %bb.72:
	v_mbcnt_lo_u32_b32 v2, exec_lo, 0
	v_mbcnt_hi_u32_b32 v2, exec_hi, v2
	v_cmp_eq_u32_e32 vcc, 0, v2
	s_and_saveexec_b64 s[8:9], vcc
	s_cbranch_execz .LBB27_74
; %bb.73:
	v_mov_b32_e32 v2, 0
	v_mov_b32_e32 v3, s18
	global_atomic_smin v2, v3, s[14:15]
.LBB27_74:
	s_or_b64 exec, exec, s[8:9]
	v_mov_b32_e32 v2, 0
	v_mov_b32_e32 v3, 0x3ff00000
.LBB27_75:
	s_or_b64 exec, exec, s[2:3]
	v_cmp_lt_u32_e32 vcc, 1, v1
	s_and_saveexec_b64 s[2:3], vcc
	s_cbranch_execz .LBB27_77
; %bb.76:
	ds_read_b64 v[8:9], v5 offset:8
	ds_read_b64 v[10:11], v15 offset:8
	s_waitcnt lgkmcnt(0)
	v_add_f64 v[8:9], v[8:9], -v[10:11]
	v_div_scale_f64 v[10:11], s[8:9], v[2:3], v[2:3], v[8:9]
	v_rcp_f64_e32 v[16:17], v[10:11]
	v_fma_f64 v[18:19], -v[10:11], v[16:17], 1.0
	v_fma_f64 v[16:17], v[16:17], v[18:19], v[16:17]
	v_div_scale_f64 v[18:19], vcc, v[8:9], v[2:3], v[8:9]
	v_fma_f64 v[20:21], -v[10:11], v[16:17], 1.0
	v_fma_f64 v[16:17], v[16:17], v[20:21], v[16:17]
	v_mul_f64 v[20:21], v[18:19], v[16:17]
	v_fma_f64 v[10:11], -v[10:11], v[20:21], v[18:19]
	v_div_fmas_f64 v[10:11], v[10:11], v[16:17], v[20:21]
	v_div_fixup_f64 v[2:3], v[10:11], v[2:3], v[8:9]
	ds_write_b64 v5, v[2:3] offset:8
	s_waitcnt lgkmcnt(0)
	ds_read_b64 v[8:9], v7 offset:8
	ds_read_b64 v[10:11], v14
	s_waitcnt lgkmcnt(0)
	v_fma_f64 v[2:3], v[2:3], v[8:9], v[10:11]
	ds_write_b64 v14, v[2:3]
.LBB27_77:
	s_or_b64 exec, exec, s[2:3]
	v_cmp_eq_u32_e32 vcc, 2, v1
	s_waitcnt lgkmcnt(0)
	s_and_saveexec_b64 s[2:3], vcc
	s_cbranch_execz .LBB27_79
; %bb.78:
	v_mov_b32_e32 v18, 0
	ds_read2_b64 v[8:11], v18 offset0:130 offset1:186
	s_mov_b32 s8, 0
	s_brev_b32 s9, 8
	s_waitcnt lgkmcnt(0)
	v_add_f64 v[2:3], v[8:9], -v[10:11]
	v_cmp_gt_f64_e32 vcc, 0, v[2:3]
	v_xor_b32_e32 v8, 0x80000000, v3
	v_cndmask_b32_e32 v3, v3, v8, vcc
	v_cmp_gt_f64_e32 vcc, s[8:9], v[2:3]
	s_and_b64 s[8:9], vcc, exec
	s_cselect_b32 s8, 0x100, 0
	v_ldexp_f64 v[2:3], v[2:3], s8
	s_cselect_b32 s8, 0xffffff80, 0
	v_rsq_f64_e32 v[8:9], v[2:3]
	v_mul_f64 v[10:11], v[2:3], v[8:9]
	v_mul_f64 v[8:9], v[8:9], 0.5
	v_fma_f64 v[16:17], -v[8:9], v[10:11], 0.5
	v_fma_f64 v[10:11], v[10:11], v[16:17], v[10:11]
	v_fma_f64 v[8:9], v[8:9], v[16:17], v[8:9]
	v_fma_f64 v[16:17], -v[10:11], v[10:11], v[2:3]
	v_fma_f64 v[10:11], v[16:17], v[8:9], v[10:11]
	v_fma_f64 v[16:17], -v[10:11], v[10:11], v[2:3]
	v_fma_f64 v[8:9], v[16:17], v[8:9], v[10:11]
	v_mov_b32_e32 v10, 0x260
	v_cmp_class_f64_e32 vcc, v[2:3], v10
	v_ldexp_f64 v[8:9], v[8:9], s8
	v_cndmask_b32_e32 v3, v9, v3, vcc
	v_cndmask_b32_e32 v2, v8, v2, vcc
	ds_write_b64 v18, v[2:3] offset:1040
.LBB27_79:
	s_or_b64 exec, exec, s[2:3]
	v_mov_b32_e32 v2, 0
	s_waitcnt lgkmcnt(0)
	ds_read_b64 v[2:3], v2 offset:1040
	v_mov_b32_e32 v8, 0x3ff00000
	s_waitcnt lgkmcnt(0)
	v_cmp_neq_f64_e32 vcc, 0, v[2:3]
	v_cndmask_b32_e32 v3, v8, v3, vcc
	s_nor_b64 s[8:9], vcc, s[0:1]
	v_cndmask_b32_e32 v2, 0, v2, vcc
	s_and_saveexec_b64 s[2:3], s[8:9]
	s_cbranch_execz .LBB27_83
; %bb.80:
	v_mbcnt_lo_u32_b32 v2, exec_lo, 0
	v_mbcnt_hi_u32_b32 v2, exec_hi, v2
	v_cmp_eq_u32_e32 vcc, 0, v2
	s_and_saveexec_b64 s[8:9], vcc
	s_cbranch_execz .LBB27_82
; %bb.81:
	v_mov_b32_e32 v2, 0
	v_mov_b32_e32 v3, s18
	global_atomic_smin v2, v3, s[14:15]
.LBB27_82:
	s_or_b64 exec, exec, s[8:9]
	v_mov_b32_e32 v2, 0
	v_mov_b32_e32 v3, 0x3ff00000
.LBB27_83:
	s_or_b64 exec, exec, s[2:3]
	v_cmp_lt_u32_e32 vcc, 2, v1
	s_and_saveexec_b64 s[2:3], vcc
	s_cbranch_execz .LBB27_85
; %bb.84:
	ds_read_b64 v[8:9], v5 offset:16
	ds_read_b64 v[10:11], v15 offset:16
	s_waitcnt lgkmcnt(0)
	v_add_f64 v[8:9], v[8:9], -v[10:11]
	v_div_scale_f64 v[10:11], s[8:9], v[2:3], v[2:3], v[8:9]
	v_rcp_f64_e32 v[16:17], v[10:11]
	v_fma_f64 v[18:19], -v[10:11], v[16:17], 1.0
	v_fma_f64 v[16:17], v[16:17], v[18:19], v[16:17]
	v_div_scale_f64 v[18:19], vcc, v[8:9], v[2:3], v[8:9]
	v_fma_f64 v[20:21], -v[10:11], v[16:17], 1.0
	v_fma_f64 v[16:17], v[16:17], v[20:21], v[16:17]
	v_mul_f64 v[20:21], v[18:19], v[16:17]
	v_fma_f64 v[10:11], -v[10:11], v[20:21], v[18:19]
	v_div_fmas_f64 v[10:11], v[10:11], v[16:17], v[20:21]
	v_div_fixup_f64 v[2:3], v[10:11], v[2:3], v[8:9]
	ds_write_b64 v5, v[2:3] offset:16
	s_waitcnt lgkmcnt(0)
	ds_read_b64 v[8:9], v7 offset:16
	ds_read_b64 v[10:11], v14
	s_waitcnt lgkmcnt(0)
	v_fma_f64 v[2:3], v[2:3], v[8:9], v[10:11]
	ds_write_b64 v14, v[2:3]
.LBB27_85:
	s_or_b64 exec, exec, s[2:3]
	v_cmp_eq_u32_e32 vcc, 3, v1
	s_waitcnt lgkmcnt(0)
	s_and_saveexec_b64 s[2:3], vcc
	s_cbranch_execz .LBB27_87
; %bb.86:
	v_mov_b32_e32 v18, 0
	ds_read2_b64 v[8:11], v18 offset0:139 offset1:195
	s_mov_b32 s8, 0
	s_brev_b32 s9, 8
	s_waitcnt lgkmcnt(0)
	v_add_f64 v[2:3], v[8:9], -v[10:11]
	v_cmp_gt_f64_e32 vcc, 0, v[2:3]
	v_xor_b32_e32 v8, 0x80000000, v3
	v_cndmask_b32_e32 v3, v3, v8, vcc
	v_cmp_gt_f64_e32 vcc, s[8:9], v[2:3]
	s_and_b64 s[8:9], vcc, exec
	s_cselect_b32 s8, 0x100, 0
	v_ldexp_f64 v[2:3], v[2:3], s8
	s_cselect_b32 s8, 0xffffff80, 0
	v_rsq_f64_e32 v[8:9], v[2:3]
	v_mul_f64 v[10:11], v[2:3], v[8:9]
	v_mul_f64 v[8:9], v[8:9], 0.5
	v_fma_f64 v[16:17], -v[8:9], v[10:11], 0.5
	v_fma_f64 v[10:11], v[10:11], v[16:17], v[10:11]
	v_fma_f64 v[8:9], v[8:9], v[16:17], v[8:9]
	v_fma_f64 v[16:17], -v[10:11], v[10:11], v[2:3]
	v_fma_f64 v[10:11], v[16:17], v[8:9], v[10:11]
	v_fma_f64 v[16:17], -v[10:11], v[10:11], v[2:3]
	v_fma_f64 v[8:9], v[16:17], v[8:9], v[10:11]
	v_mov_b32_e32 v10, 0x260
	v_cmp_class_f64_e32 vcc, v[2:3], v10
	v_ldexp_f64 v[8:9], v[8:9], s8
	v_cndmask_b32_e32 v3, v9, v3, vcc
	v_cndmask_b32_e32 v2, v8, v2, vcc
	ds_write_b64 v18, v[2:3] offset:1112
.LBB27_87:
	s_or_b64 exec, exec, s[2:3]
	v_mov_b32_e32 v2, 0
	s_waitcnt lgkmcnt(0)
	ds_read_b64 v[2:3], v2 offset:1112
	v_mov_b32_e32 v8, 0x3ff00000
	s_waitcnt lgkmcnt(0)
	v_cmp_neq_f64_e32 vcc, 0, v[2:3]
	v_cndmask_b32_e32 v3, v8, v3, vcc
	s_nor_b64 s[8:9], vcc, s[0:1]
	v_cndmask_b32_e32 v2, 0, v2, vcc
	s_and_saveexec_b64 s[2:3], s[8:9]
	s_cbranch_execz .LBB27_91
; %bb.88:
	v_mbcnt_lo_u32_b32 v2, exec_lo, 0
	v_mbcnt_hi_u32_b32 v2, exec_hi, v2
	v_cmp_eq_u32_e32 vcc, 0, v2
	s_and_saveexec_b64 s[8:9], vcc
	s_cbranch_execz .LBB27_90
; %bb.89:
	v_mov_b32_e32 v2, 0
	v_mov_b32_e32 v3, s18
	global_atomic_smin v2, v3, s[14:15]
.LBB27_90:
	s_or_b64 exec, exec, s[8:9]
	v_mov_b32_e32 v2, 0
	v_mov_b32_e32 v3, 0x3ff00000
.LBB27_91:
	s_or_b64 exec, exec, s[2:3]
	v_cmp_lt_u32_e32 vcc, 3, v1
	s_and_saveexec_b64 s[2:3], vcc
	s_cbranch_execz .LBB27_93
; %bb.92:
	ds_read_b64 v[8:9], v5 offset:24
	ds_read_b64 v[10:11], v15 offset:24
	s_waitcnt lgkmcnt(0)
	v_add_f64 v[8:9], v[8:9], -v[10:11]
	v_div_scale_f64 v[10:11], s[8:9], v[2:3], v[2:3], v[8:9]
	v_rcp_f64_e32 v[16:17], v[10:11]
	v_fma_f64 v[18:19], -v[10:11], v[16:17], 1.0
	v_fma_f64 v[16:17], v[16:17], v[18:19], v[16:17]
	v_div_scale_f64 v[18:19], vcc, v[8:9], v[2:3], v[8:9]
	v_fma_f64 v[20:21], -v[10:11], v[16:17], 1.0
	v_fma_f64 v[16:17], v[16:17], v[20:21], v[16:17]
	v_mul_f64 v[20:21], v[18:19], v[16:17]
	v_fma_f64 v[10:11], -v[10:11], v[20:21], v[18:19]
	v_div_fmas_f64 v[10:11], v[10:11], v[16:17], v[20:21]
	v_div_fixup_f64 v[2:3], v[10:11], v[2:3], v[8:9]
	ds_write_b64 v5, v[2:3] offset:24
	s_waitcnt lgkmcnt(0)
	ds_read_b64 v[8:9], v7 offset:24
	ds_read_b64 v[10:11], v14
	s_waitcnt lgkmcnt(0)
	v_fma_f64 v[2:3], v[2:3], v[8:9], v[10:11]
	ds_write_b64 v14, v[2:3]
.LBB27_93:
	s_or_b64 exec, exec, s[2:3]
	v_cmp_eq_u32_e32 vcc, 4, v1
	s_waitcnt lgkmcnt(0)
	s_and_saveexec_b64 s[2:3], vcc
	s_cbranch_execz .LBB27_95
; %bb.94:
	v_mov_b32_e32 v18, 0
	ds_read2_b64 v[8:11], v18 offset0:148 offset1:204
	s_mov_b32 s8, 0
	s_brev_b32 s9, 8
	s_waitcnt lgkmcnt(0)
	v_add_f64 v[2:3], v[8:9], -v[10:11]
	v_cmp_gt_f64_e32 vcc, 0, v[2:3]
	v_xor_b32_e32 v8, 0x80000000, v3
	v_cndmask_b32_e32 v3, v3, v8, vcc
	v_cmp_gt_f64_e32 vcc, s[8:9], v[2:3]
	s_and_b64 s[8:9], vcc, exec
	s_cselect_b32 s8, 0x100, 0
	v_ldexp_f64 v[2:3], v[2:3], s8
	s_cselect_b32 s8, 0xffffff80, 0
	v_rsq_f64_e32 v[8:9], v[2:3]
	v_mul_f64 v[10:11], v[2:3], v[8:9]
	v_mul_f64 v[8:9], v[8:9], 0.5
	v_fma_f64 v[16:17], -v[8:9], v[10:11], 0.5
	v_fma_f64 v[10:11], v[10:11], v[16:17], v[10:11]
	v_fma_f64 v[8:9], v[8:9], v[16:17], v[8:9]
	v_fma_f64 v[16:17], -v[10:11], v[10:11], v[2:3]
	v_fma_f64 v[10:11], v[16:17], v[8:9], v[10:11]
	v_fma_f64 v[16:17], -v[10:11], v[10:11], v[2:3]
	v_fma_f64 v[8:9], v[16:17], v[8:9], v[10:11]
	v_mov_b32_e32 v10, 0x260
	v_cmp_class_f64_e32 vcc, v[2:3], v10
	v_ldexp_f64 v[8:9], v[8:9], s8
	v_cndmask_b32_e32 v3, v9, v3, vcc
	v_cndmask_b32_e32 v2, v8, v2, vcc
	ds_write_b64 v18, v[2:3] offset:1184
.LBB27_95:
	s_or_b64 exec, exec, s[2:3]
	v_mov_b32_e32 v2, 0
	s_waitcnt lgkmcnt(0)
	ds_read_b64 v[2:3], v2 offset:1184
	v_mov_b32_e32 v8, 0x3ff00000
	s_waitcnt lgkmcnt(0)
	v_cmp_neq_f64_e32 vcc, 0, v[2:3]
	v_cndmask_b32_e32 v3, v8, v3, vcc
	s_nor_b64 s[8:9], vcc, s[0:1]
	v_cndmask_b32_e32 v2, 0, v2, vcc
	s_and_saveexec_b64 s[2:3], s[8:9]
	s_cbranch_execz .LBB27_99
; %bb.96:
	v_mbcnt_lo_u32_b32 v2, exec_lo, 0
	v_mbcnt_hi_u32_b32 v2, exec_hi, v2
	v_cmp_eq_u32_e32 vcc, 0, v2
	s_and_saveexec_b64 s[8:9], vcc
	s_cbranch_execz .LBB27_98
; %bb.97:
	v_mov_b32_e32 v2, 0
	v_mov_b32_e32 v3, s18
	global_atomic_smin v2, v3, s[14:15]
.LBB27_98:
	s_or_b64 exec, exec, s[8:9]
	v_mov_b32_e32 v2, 0
	v_mov_b32_e32 v3, 0x3ff00000
.LBB27_99:
	s_or_b64 exec, exec, s[2:3]
	v_cmp_lt_u32_e32 vcc, 4, v1
	s_and_saveexec_b64 s[2:3], vcc
	s_cbranch_execz .LBB27_101
; %bb.100:
	ds_read_b64 v[8:9], v5 offset:32
	ds_read_b64 v[10:11], v15 offset:32
	s_waitcnt lgkmcnt(0)
	v_add_f64 v[8:9], v[8:9], -v[10:11]
	v_div_scale_f64 v[10:11], s[8:9], v[2:3], v[2:3], v[8:9]
	v_rcp_f64_e32 v[16:17], v[10:11]
	v_fma_f64 v[18:19], -v[10:11], v[16:17], 1.0
	v_fma_f64 v[16:17], v[16:17], v[18:19], v[16:17]
	v_div_scale_f64 v[18:19], vcc, v[8:9], v[2:3], v[8:9]
	v_fma_f64 v[20:21], -v[10:11], v[16:17], 1.0
	v_fma_f64 v[16:17], v[16:17], v[20:21], v[16:17]
	v_mul_f64 v[20:21], v[18:19], v[16:17]
	v_fma_f64 v[10:11], -v[10:11], v[20:21], v[18:19]
	v_div_fmas_f64 v[10:11], v[10:11], v[16:17], v[20:21]
	v_div_fixup_f64 v[2:3], v[10:11], v[2:3], v[8:9]
	ds_write_b64 v5, v[2:3] offset:32
	s_waitcnt lgkmcnt(0)
	ds_read_b64 v[8:9], v7 offset:32
	ds_read_b64 v[10:11], v14
	s_waitcnt lgkmcnt(0)
	v_fma_f64 v[2:3], v[2:3], v[8:9], v[10:11]
	ds_write_b64 v14, v[2:3]
.LBB27_101:
	s_or_b64 exec, exec, s[2:3]
	v_cmp_eq_u32_e32 vcc, 5, v1
	s_waitcnt lgkmcnt(0)
	s_and_saveexec_b64 s[2:3], vcc
	s_cbranch_execz .LBB27_103
; %bb.102:
	v_mov_b32_e32 v18, 0
	ds_read2_b64 v[8:11], v18 offset0:157 offset1:213
	s_mov_b32 s8, 0
	s_brev_b32 s9, 8
	s_waitcnt lgkmcnt(0)
	v_add_f64 v[2:3], v[8:9], -v[10:11]
	v_cmp_gt_f64_e32 vcc, 0, v[2:3]
	v_xor_b32_e32 v8, 0x80000000, v3
	v_cndmask_b32_e32 v3, v3, v8, vcc
	v_cmp_gt_f64_e32 vcc, s[8:9], v[2:3]
	s_and_b64 s[8:9], vcc, exec
	s_cselect_b32 s8, 0x100, 0
	v_ldexp_f64 v[2:3], v[2:3], s8
	s_cselect_b32 s8, 0xffffff80, 0
	v_rsq_f64_e32 v[8:9], v[2:3]
	v_mul_f64 v[10:11], v[2:3], v[8:9]
	v_mul_f64 v[8:9], v[8:9], 0.5
	v_fma_f64 v[16:17], -v[8:9], v[10:11], 0.5
	v_fma_f64 v[10:11], v[10:11], v[16:17], v[10:11]
	v_fma_f64 v[8:9], v[8:9], v[16:17], v[8:9]
	v_fma_f64 v[16:17], -v[10:11], v[10:11], v[2:3]
	v_fma_f64 v[10:11], v[16:17], v[8:9], v[10:11]
	v_fma_f64 v[16:17], -v[10:11], v[10:11], v[2:3]
	v_fma_f64 v[8:9], v[16:17], v[8:9], v[10:11]
	v_mov_b32_e32 v10, 0x260
	v_cmp_class_f64_e32 vcc, v[2:3], v10
	v_ldexp_f64 v[8:9], v[8:9], s8
	v_cndmask_b32_e32 v3, v9, v3, vcc
	v_cndmask_b32_e32 v2, v8, v2, vcc
	ds_write_b64 v18, v[2:3] offset:1256
.LBB27_103:
	s_or_b64 exec, exec, s[2:3]
	v_mov_b32_e32 v2, 0
	s_waitcnt lgkmcnt(0)
	ds_read_b64 v[2:3], v2 offset:1256
	v_mov_b32_e32 v8, 0x3ff00000
	s_waitcnt lgkmcnt(0)
	v_cmp_neq_f64_e32 vcc, 0, v[2:3]
	v_cndmask_b32_e32 v3, v8, v3, vcc
	s_nor_b64 s[8:9], vcc, s[0:1]
	v_cndmask_b32_e32 v2, 0, v2, vcc
	s_and_saveexec_b64 s[2:3], s[8:9]
	s_cbranch_execz .LBB27_107
; %bb.104:
	v_mbcnt_lo_u32_b32 v2, exec_lo, 0
	v_mbcnt_hi_u32_b32 v2, exec_hi, v2
	v_cmp_eq_u32_e32 vcc, 0, v2
	s_and_saveexec_b64 s[8:9], vcc
	s_cbranch_execz .LBB27_106
; %bb.105:
	v_mov_b32_e32 v2, 0
	v_mov_b32_e32 v3, s18
	global_atomic_smin v2, v3, s[14:15]
.LBB27_106:
	s_or_b64 exec, exec, s[8:9]
	v_mov_b32_e32 v2, 0
	v_mov_b32_e32 v3, 0x3ff00000
.LBB27_107:
	s_or_b64 exec, exec, s[2:3]
	v_cmp_lt_u32_e32 vcc, 5, v1
	s_and_saveexec_b64 s[2:3], vcc
	s_cbranch_execz .LBB27_109
; %bb.108:
	ds_read_b64 v[8:9], v5 offset:40
	ds_read_b64 v[10:11], v15 offset:40
	s_waitcnt lgkmcnt(0)
	v_add_f64 v[8:9], v[8:9], -v[10:11]
	v_div_scale_f64 v[10:11], s[8:9], v[2:3], v[2:3], v[8:9]
	v_rcp_f64_e32 v[16:17], v[10:11]
	v_fma_f64 v[18:19], -v[10:11], v[16:17], 1.0
	v_fma_f64 v[16:17], v[16:17], v[18:19], v[16:17]
	v_div_scale_f64 v[18:19], vcc, v[8:9], v[2:3], v[8:9]
	v_fma_f64 v[20:21], -v[10:11], v[16:17], 1.0
	v_fma_f64 v[16:17], v[16:17], v[20:21], v[16:17]
	v_mul_f64 v[20:21], v[18:19], v[16:17]
	v_fma_f64 v[10:11], -v[10:11], v[20:21], v[18:19]
	v_div_fmas_f64 v[10:11], v[10:11], v[16:17], v[20:21]
	v_div_fixup_f64 v[2:3], v[10:11], v[2:3], v[8:9]
	ds_write_b64 v5, v[2:3] offset:40
	s_waitcnt lgkmcnt(0)
	ds_read_b64 v[8:9], v7 offset:40
	ds_read_b64 v[10:11], v14
	s_waitcnt lgkmcnt(0)
	v_fma_f64 v[2:3], v[2:3], v[8:9], v[10:11]
	ds_write_b64 v14, v[2:3]
.LBB27_109:
	s_or_b64 exec, exec, s[2:3]
	v_cmp_eq_u32_e32 vcc, 6, v1
	s_waitcnt lgkmcnt(0)
	s_and_saveexec_b64 s[2:3], vcc
	s_cbranch_execz .LBB27_111
; %bb.110:
	v_mov_b32_e32 v18, 0
	ds_read2_b64 v[8:11], v18 offset0:166 offset1:222
	s_mov_b32 s8, 0
	s_brev_b32 s9, 8
	s_waitcnt lgkmcnt(0)
	v_add_f64 v[2:3], v[8:9], -v[10:11]
	v_cmp_gt_f64_e32 vcc, 0, v[2:3]
	v_xor_b32_e32 v8, 0x80000000, v3
	v_cndmask_b32_e32 v3, v3, v8, vcc
	v_cmp_gt_f64_e32 vcc, s[8:9], v[2:3]
	s_and_b64 s[8:9], vcc, exec
	s_cselect_b32 s8, 0x100, 0
	v_ldexp_f64 v[2:3], v[2:3], s8
	s_cselect_b32 s8, 0xffffff80, 0
	v_rsq_f64_e32 v[8:9], v[2:3]
	v_mul_f64 v[10:11], v[2:3], v[8:9]
	v_mul_f64 v[8:9], v[8:9], 0.5
	v_fma_f64 v[16:17], -v[8:9], v[10:11], 0.5
	v_fma_f64 v[10:11], v[10:11], v[16:17], v[10:11]
	v_fma_f64 v[8:9], v[8:9], v[16:17], v[8:9]
	v_fma_f64 v[16:17], -v[10:11], v[10:11], v[2:3]
	v_fma_f64 v[10:11], v[16:17], v[8:9], v[10:11]
	v_fma_f64 v[16:17], -v[10:11], v[10:11], v[2:3]
	v_fma_f64 v[8:9], v[16:17], v[8:9], v[10:11]
	v_mov_b32_e32 v10, 0x260
	v_cmp_class_f64_e32 vcc, v[2:3], v10
	v_ldexp_f64 v[8:9], v[8:9], s8
	v_cndmask_b32_e32 v3, v9, v3, vcc
	v_cndmask_b32_e32 v2, v8, v2, vcc
	ds_write_b64 v18, v[2:3] offset:1328
.LBB27_111:
	s_or_b64 exec, exec, s[2:3]
	v_mov_b32_e32 v2, 0
	s_waitcnt lgkmcnt(0)
	ds_read_b64 v[2:3], v2 offset:1328
	v_mov_b32_e32 v8, 0x3ff00000
	s_waitcnt lgkmcnt(0)
	v_cmp_neq_f64_e32 vcc, 0, v[2:3]
	v_cndmask_b32_e32 v3, v8, v3, vcc
	s_nor_b64 s[2:3], vcc, s[0:1]
	v_cndmask_b32_e32 v2, 0, v2, vcc
	s_and_saveexec_b64 s[0:1], s[2:3]
	s_cbranch_execz .LBB27_115
; %bb.112:
	v_mbcnt_lo_u32_b32 v2, exec_lo, 0
	v_mbcnt_hi_u32_b32 v2, exec_hi, v2
	v_cmp_eq_u32_e32 vcc, 0, v2
	s_and_saveexec_b64 s[2:3], vcc
	s_cbranch_execz .LBB27_114
; %bb.113:
	v_mov_b32_e32 v2, 0
	v_mov_b32_e32 v3, s18
	global_atomic_smin v2, v3, s[14:15]
.LBB27_114:
	s_or_b64 exec, exec, s[2:3]
	v_mov_b32_e32 v2, 0
	v_mov_b32_e32 v3, 0x3ff00000
.LBB27_115:
	s_or_b64 exec, exec, s[0:1]
	v_cmp_lt_u32_e32 vcc, 6, v1
	s_and_saveexec_b64 s[0:1], vcc
	s_cbranch_execz .LBB27_117
; %bb.116:
	ds_read_b64 v[8:9], v5 offset:48
	ds_read_b64 v[10:11], v15 offset:48
	s_waitcnt lgkmcnt(0)
	v_add_f64 v[8:9], v[8:9], -v[10:11]
	v_div_scale_f64 v[10:11], s[2:3], v[2:3], v[2:3], v[8:9]
	v_rcp_f64_e32 v[15:16], v[10:11]
	v_fma_f64 v[17:18], -v[10:11], v[15:16], 1.0
	v_fma_f64 v[15:16], v[15:16], v[17:18], v[15:16]
	v_div_scale_f64 v[17:18], vcc, v[8:9], v[2:3], v[8:9]
	v_fma_f64 v[19:20], -v[10:11], v[15:16], 1.0
	v_fma_f64 v[15:16], v[15:16], v[19:20], v[15:16]
	v_mul_f64 v[19:20], v[17:18], v[15:16]
	v_fma_f64 v[10:11], -v[10:11], v[19:20], v[17:18]
	v_div_fmas_f64 v[10:11], v[10:11], v[15:16], v[19:20]
	v_div_fixup_f64 v[2:3], v[10:11], v[2:3], v[8:9]
	ds_write_b64 v5, v[2:3] offset:48
	s_waitcnt lgkmcnt(0)
	ds_read_b64 v[7:8], v7 offset:48
	ds_read_b64 v[9:10], v14
	s_waitcnt lgkmcnt(0)
	v_fma_f64 v[2:3], v[2:3], v[7:8], v[9:10]
	ds_write_b64 v14, v[2:3]
.LBB27_117:
	s_or_b64 exec, exec, s[0:1]
	s_waitcnt lgkmcnt(0)
	ds_read_b64 v[2:3], v4
	s_andn2_b64 vcc, exec, s[4:5]
	s_cbranch_vccnz .LBB27_119
; %bb.118:
	v_mov_b32_e32 v12, v13
.LBB27_119:
	v_add_u32_e32 v4, s30, v12
	v_ashrrev_i32_e32 v5, 31, v4
	v_lshlrev_b64 v[4:5], 3, v[4:5]
	v_mov_b32_e32 v7, s21
	v_add_co_u32_e32 v4, vcc, s20, v4
	v_addc_co_u32_e32 v5, vcc, v7, v5, vcc
	v_cmp_eq_u32_e32 vcc, 0, v6
	s_waitcnt lgkmcnt(0)
	global_store_dwordx2 v[4:5], v[2:3], off
	s_and_saveexec_b64 s[0:1], vcc
	s_cbranch_execz .LBB27_121
; %bb.120:
	s_add_u32 s2, s10, s6
	s_addc_u32 s3, s11, s7
	v_mov_b32_e32 v2, 0
	v_mov_b32_e32 v3, 1
	s_waitcnt vmcnt(0)
	global_store_dword v2, v3, s[2:3]
.LBB27_121:
	s_or_b64 exec, exec, s[0:1]
.LBB27_122:
	s_endpgm
.LBB27_123:
	s_cbranch_execz .LBB27_122
; %bb.124:
	v_or_b32_e32 v0, v0, v1
	v_cmp_eq_u32_e32 vcc, 0, v0
	s_and_saveexec_b64 s[0:1], vcc
	s_cbranch_execz .LBB27_122
; %bb.125:
	v_mbcnt_lo_u32_b32 v0, exec_lo, 0
	v_mbcnt_hi_u32_b32 v0, exec_hi, v0
	v_cmp_eq_u32_e32 vcc, 0, v0
	s_and_saveexec_b64 s[0:1], vcc
	s_cbranch_execz .LBB27_127
; %bb.126:
	s_add_i32 s2, s12, s13
	v_mov_b32_e32 v0, 0
	v_mov_b32_e32 v1, s2
	global_atomic_smin v0, v1, s[14:15]
.LBB27_127:
	s_or_b64 exec, exec, s[0:1]
	s_add_u32 s0, s10, s6
	s_addc_u32 s1, s11, s7
	v_mov_b32_e32 v0, 0
	v_mov_b32_e32 v1, 1
	s_waitcnt vmcnt(0)
	global_store_dword v0, v1, s[0:1]
	s_endpgm
	.section	.rodata,"a",@progbits
	.p2align	6, 0x0
	.amdhsa_kernel _ZN9rocsparseL26bsric0_2_8_unrolled_kernelILi49ELi32ELi7EdEEv20rocsparse_direction_iiPKiS3_PT2_S3_PiS3_S6_21rocsparse_index_base_
		.amdhsa_group_segment_fixed_size 2176
		.amdhsa_private_segment_fixed_size 0
		.amdhsa_kernarg_size 76
		.amdhsa_user_sgpr_count 6
		.amdhsa_user_sgpr_private_segment_buffer 1
		.amdhsa_user_sgpr_dispatch_ptr 0
		.amdhsa_user_sgpr_queue_ptr 0
		.amdhsa_user_sgpr_kernarg_segment_ptr 1
		.amdhsa_user_sgpr_dispatch_id 0
		.amdhsa_user_sgpr_flat_scratch_init 0
		.amdhsa_user_sgpr_private_segment_size 0
		.amdhsa_uses_dynamic_stack 0
		.amdhsa_system_sgpr_private_segment_wavefront_offset 0
		.amdhsa_system_sgpr_workgroup_id_x 1
		.amdhsa_system_sgpr_workgroup_id_y 0
		.amdhsa_system_sgpr_workgroup_id_z 0
		.amdhsa_system_sgpr_workgroup_info 0
		.amdhsa_system_vgpr_workitem_id 1
		.amdhsa_next_free_vgpr 58
		.amdhsa_next_free_sgpr 61
		.amdhsa_reserve_vcc 1
		.amdhsa_reserve_flat_scratch 0
		.amdhsa_float_round_mode_32 0
		.amdhsa_float_round_mode_16_64 0
		.amdhsa_float_denorm_mode_32 3
		.amdhsa_float_denorm_mode_16_64 3
		.amdhsa_dx10_clamp 1
		.amdhsa_ieee_mode 1
		.amdhsa_fp16_overflow 0
		.amdhsa_exception_fp_ieee_invalid_op 0
		.amdhsa_exception_fp_denorm_src 0
		.amdhsa_exception_fp_ieee_div_zero 0
		.amdhsa_exception_fp_ieee_overflow 0
		.amdhsa_exception_fp_ieee_underflow 0
		.amdhsa_exception_fp_ieee_inexact 0
		.amdhsa_exception_int_div_zero 0
	.end_amdhsa_kernel
	.section	.text._ZN9rocsparseL26bsric0_2_8_unrolled_kernelILi49ELi32ELi7EdEEv20rocsparse_direction_iiPKiS3_PT2_S3_PiS3_S6_21rocsparse_index_base_,"axG",@progbits,_ZN9rocsparseL26bsric0_2_8_unrolled_kernelILi49ELi32ELi7EdEEv20rocsparse_direction_iiPKiS3_PT2_S3_PiS3_S6_21rocsparse_index_base_,comdat
.Lfunc_end27:
	.size	_ZN9rocsparseL26bsric0_2_8_unrolled_kernelILi49ELi32ELi7EdEEv20rocsparse_direction_iiPKiS3_PT2_S3_PiS3_S6_21rocsparse_index_base_, .Lfunc_end27-_ZN9rocsparseL26bsric0_2_8_unrolled_kernelILi49ELi32ELi7EdEEv20rocsparse_direction_iiPKiS3_PT2_S3_PiS3_S6_21rocsparse_index_base_
                                        ; -- End function
	.set _ZN9rocsparseL26bsric0_2_8_unrolled_kernelILi49ELi32ELi7EdEEv20rocsparse_direction_iiPKiS3_PT2_S3_PiS3_S6_21rocsparse_index_base_.num_vgpr, 58
	.set _ZN9rocsparseL26bsric0_2_8_unrolled_kernelILi49ELi32ELi7EdEEv20rocsparse_direction_iiPKiS3_PT2_S3_PiS3_S6_21rocsparse_index_base_.num_agpr, 0
	.set _ZN9rocsparseL26bsric0_2_8_unrolled_kernelILi49ELi32ELi7EdEEv20rocsparse_direction_iiPKiS3_PT2_S3_PiS3_S6_21rocsparse_index_base_.numbered_sgpr, 40
	.set _ZN9rocsparseL26bsric0_2_8_unrolled_kernelILi49ELi32ELi7EdEEv20rocsparse_direction_iiPKiS3_PT2_S3_PiS3_S6_21rocsparse_index_base_.num_named_barrier, 0
	.set _ZN9rocsparseL26bsric0_2_8_unrolled_kernelILi49ELi32ELi7EdEEv20rocsparse_direction_iiPKiS3_PT2_S3_PiS3_S6_21rocsparse_index_base_.private_seg_size, 0
	.set _ZN9rocsparseL26bsric0_2_8_unrolled_kernelILi49ELi32ELi7EdEEv20rocsparse_direction_iiPKiS3_PT2_S3_PiS3_S6_21rocsparse_index_base_.uses_vcc, 1
	.set _ZN9rocsparseL26bsric0_2_8_unrolled_kernelILi49ELi32ELi7EdEEv20rocsparse_direction_iiPKiS3_PT2_S3_PiS3_S6_21rocsparse_index_base_.uses_flat_scratch, 0
	.set _ZN9rocsparseL26bsric0_2_8_unrolled_kernelILi49ELi32ELi7EdEEv20rocsparse_direction_iiPKiS3_PT2_S3_PiS3_S6_21rocsparse_index_base_.has_dyn_sized_stack, 0
	.set _ZN9rocsparseL26bsric0_2_8_unrolled_kernelILi49ELi32ELi7EdEEv20rocsparse_direction_iiPKiS3_PT2_S3_PiS3_S6_21rocsparse_index_base_.has_recursion, 0
	.set _ZN9rocsparseL26bsric0_2_8_unrolled_kernelILi49ELi32ELi7EdEEv20rocsparse_direction_iiPKiS3_PT2_S3_PiS3_S6_21rocsparse_index_base_.has_indirect_call, 0
	.section	.AMDGPU.csdata,"",@progbits
; Kernel info:
; codeLenInByte = 8016
; TotalNumSgprs: 44
; NumVgprs: 58
; ScratchSize: 0
; MemoryBound: 1
; FloatMode: 240
; IeeeMode: 1
; LDSByteSize: 2176 bytes/workgroup (compile time only)
; SGPRBlocks: 8
; VGPRBlocks: 14
; NumSGPRsForWavesPerEU: 65
; NumVGPRsForWavesPerEU: 58
; Occupancy: 4
; WaveLimiterHint : 1
; COMPUTE_PGM_RSRC2:SCRATCH_EN: 0
; COMPUTE_PGM_RSRC2:USER_SGPR: 6
; COMPUTE_PGM_RSRC2:TRAP_HANDLER: 0
; COMPUTE_PGM_RSRC2:TGID_X_EN: 1
; COMPUTE_PGM_RSRC2:TGID_Y_EN: 0
; COMPUTE_PGM_RSRC2:TGID_Z_EN: 0
; COMPUTE_PGM_RSRC2:TIDIG_COMP_CNT: 1
	.section	.text._ZN9rocsparseL26bsric0_2_8_unrolled_kernelILi64ELi32ELi8EdEEv20rocsparse_direction_iiPKiS3_PT2_S3_PiS3_S6_21rocsparse_index_base_,"axG",@progbits,_ZN9rocsparseL26bsric0_2_8_unrolled_kernelILi64ELi32ELi8EdEEv20rocsparse_direction_iiPKiS3_PT2_S3_PiS3_S6_21rocsparse_index_base_,comdat
	.globl	_ZN9rocsparseL26bsric0_2_8_unrolled_kernelILi64ELi32ELi8EdEEv20rocsparse_direction_iiPKiS3_PT2_S3_PiS3_S6_21rocsparse_index_base_ ; -- Begin function _ZN9rocsparseL26bsric0_2_8_unrolled_kernelILi64ELi32ELi8EdEEv20rocsparse_direction_iiPKiS3_PT2_S3_PiS3_S6_21rocsparse_index_base_
	.p2align	8
	.type	_ZN9rocsparseL26bsric0_2_8_unrolled_kernelILi64ELi32ELi8EdEEv20rocsparse_direction_iiPKiS3_PT2_S3_PiS3_S6_21rocsparse_index_base_,@function
_ZN9rocsparseL26bsric0_2_8_unrolled_kernelILi64ELi32ELi8EdEEv20rocsparse_direction_iiPKiS3_PT2_S3_PiS3_S6_21rocsparse_index_base_: ; @_ZN9rocsparseL26bsric0_2_8_unrolled_kernelILi64ELi32ELi8EdEEv20rocsparse_direction_iiPKiS3_PT2_S3_PiS3_S6_21rocsparse_index_base_
; %bb.0:
	s_load_dwordx8 s[8:15], s[4:5], 0x28
	s_mov_b32 s7, 0
	s_lshl_b64 s[0:1], s[6:7], 2
	s_waitcnt lgkmcnt(0)
	s_add_u32 s0, s12, s0
	s_addc_u32 s1, s13, s1
	s_load_dword s12, s[0:1], 0x0
	s_waitcnt lgkmcnt(0)
	s_ashr_i32 s13, s12, 31
	s_lshl_b64 s[6:7], s[12:13], 2
	s_add_u32 s0, s8, s6
	s_addc_u32 s1, s9, s7
	s_load_dword s30, s[0:1], 0x0
	s_load_dword s13, s[4:5], 0x48
	s_waitcnt lgkmcnt(0)
	s_cmp_lg_u32 s30, -1
	s_cbranch_scc0 .LBB28_6
; %bb.1:
	s_load_dwordx4 s[16:19], s[4:5], 0x10
	s_load_dwordx2 s[2:3], s[4:5], 0x20
	v_lshlrev_b32_e32 v14, 3, v1
	v_add_u32_e32 v13, v14, v0
	s_waitcnt lgkmcnt(0)
	s_add_u32 s0, s16, s6
	s_addc_u32 s1, s17, s7
	s_load_dword s0, s[0:1], 0x0
	s_waitcnt lgkmcnt(0)
	s_sub_i32 s31, s0, s13
	v_add_u32_e32 v2, s31, v13
	v_cmp_ge_i32_e32 vcc, s30, v2
	s_and_saveexec_b64 s[0:1], vcc
	s_cbranch_execz .LBB28_4
; %bb.2:
	v_lshlrev_b32_e32 v3, 5, v1
	v_lshlrev_b32_e32 v4, 2, v0
	s_movk_i32 s20, 0xa00
	v_add3_u32 v5, v3, v4, s20
	v_ashrrev_i32_e32 v3, 31, v2
	v_lshlrev_b64 v[3:4], 2, v[2:3]
	v_mov_b32_e32 v6, s19
	v_add_co_u32_e32 v3, vcc, s18, v3
	v_addc_co_u32_e32 v4, vcc, v6, v4, vcc
	s_mov_b64 s[20:21], 0
.LBB28_3:                               ; =>This Inner Loop Header: Depth=1
	global_load_dword v6, v[3:4], off
	v_add_co_u32_e32 v3, vcc, 0x100, v3
	v_add_u32_e32 v2, 64, v2
	v_addc_co_u32_e32 v4, vcc, 0, v4, vcc
	v_cmp_lt_i32_e32 vcc, s30, v2
	s_or_b64 s[20:21], vcc, s[20:21]
	s_waitcnt vmcnt(0)
	v_subrev_u32_e32 v6, s13, v6
	ds_write_b32 v5, v6
	v_add_u32_e32 v5, 0x100, v5
	s_andn2_b64 exec, exec, s[20:21]
	s_cbranch_execnz .LBB28_3
.LBB28_4:
	s_or_b64 exec, exec, s[0:1]
	s_movk_i32 s0, 0x48
	v_mov_b32_e32 v2, 0x6c0
	v_mad_u32_u24 v11, v1, s0, v2
	v_mov_b32_e32 v2, 0
	v_lshl_add_u32 v10, v0, 3, v11
	v_mov_b32_e32 v3, v2
	s_cmp_lt_i32 s31, s30
	ds_write_b64 v10, v[2:3]
	s_waitcnt lgkmcnt(0)
	s_cbranch_scc1 .LBB28_8
; %bb.5:
	v_lshl_add_u32 v15, v0, 3, v1
	v_or_b32_e32 v12, v0, v1
	s_load_dword s33, s[4:5], 0x0
	s_cbranch_execz .LBB28_9
	s_branch .LBB28_67
.LBB28_6:
	s_cbranch_execnz .LBB28_134
.LBB28_7:
	s_endpgm
.LBB28_8:
                                        ; implicit-def: $vgpr15
                                        ; implicit-def: $vgpr12
	s_load_dword s33, s[4:5], 0x0
.LBB28_9:
	s_waitcnt lgkmcnt(0)
	s_cmp_lg_u32 s33, 0
	s_cselect_b64 s[4:5], -1, 0
	s_cmp_eq_u32 s33, 0
	v_lshlrev_b32_e32 v16, 3, v0
	s_movk_i32 s0, 0x48
	v_mov_b32_e32 v2, 0x480
	v_mov_b32_e32 v3, 0x240
	v_add_u32_e32 v15, v16, v1
	v_mad_u32_u24 v17, v1, s0, v2
	v_mad_u32_u24 v20, v1, s0, v3
	v_or_b32_e32 v12, v0, v1
	s_cselect_b64 vcc, -1, 0
	v_add_u32_e32 v18, v17, v16
	v_mad_u32_u24 v19, v1, s0, v16
	v_add_u32_e32 v21, v20, v16
	v_mad_u32_u24 v22, v0, s0, v2
	v_cmp_ne_u32_e64 s[0:1], 0, v12
	v_cndmask_b32_e32 v23, v15, v13, vcc
	v_mov_b32_e32 v24, 0
	v_mov_b32_e32 v25, 0x3ff00000
	s_mov_b32 s20, s31
	s_branch .LBB28_12
.LBB28_10:                              ;   in Loop: Header=BB28_12 Depth=1
	s_or_b64 exec, exec, s[24:25]
	v_mov_b32_e32 v6, 0
	v_mov_b32_e32 v7, 0x3ff00000
.LBB28_11:                              ;   in Loop: Header=BB28_12 Depth=1
	s_or_b64 exec, exec, s[22:23]
	ds_read2_b64 v[26:29], v17 offset1:1
	ds_read2_b64 v[30:33], v24 offset0:63 offset1:64
	ds_read_b64 v[8:9], v20 offset:56
	s_add_i32 s20, s20, 1
	s_cmp_ge_i32 s20, s30
	s_waitcnt lgkmcnt(0)
	v_fma_f64 v[8:9], v[30:31], v[26:27], v[8:9]
	v_fma_f64 v[8:9], v[32:33], v[28:29], v[8:9]
	ds_read2_b64 v[26:29], v17 offset0:2 offset1:3
	ds_read2_b64 v[30:33], v24 offset0:65 offset1:66
	s_waitcnt lgkmcnt(0)
	v_fma_f64 v[8:9], v[30:31], v[26:27], v[8:9]
	v_fma_f64 v[8:9], v[32:33], v[28:29], v[8:9]
	ds_read2_b64 v[26:29], v24 offset0:67 offset1:68
	ds_read2_b64 v[30:33], v17 offset0:4 offset1:5
	s_waitcnt lgkmcnt(0)
	v_fma_f64 v[8:9], v[26:27], v[30:31], v[8:9]
	v_fma_f64 v[8:9], v[28:29], v[32:33], v[8:9]
	ds_read_b64 v[26:27], v17 offset:48
	ds_read_b64 v[28:29], v24 offset:552
	s_waitcnt lgkmcnt(0)
	v_fma_f64 v[8:9], v[28:29], v[26:27], v[8:9]
	v_add_f64 v[4:5], v[4:5], -v[8:9]
	v_div_scale_f64 v[8:9], s[22:23], v[6:7], v[6:7], v[4:5]
	s_cselect_b64 s[22:23], -1, 0
	v_rcp_f64_e32 v[26:27], v[8:9]
	v_fma_f64 v[28:29], -v[8:9], v[26:27], 1.0
	v_fma_f64 v[26:27], v[26:27], v[28:29], v[26:27]
	v_div_scale_f64 v[28:29], vcc, v[4:5], v[6:7], v[4:5]
	v_fma_f64 v[30:31], -v[8:9], v[26:27], 1.0
	v_fma_f64 v[26:27], v[26:27], v[30:31], v[26:27]
	v_mul_f64 v[30:31], v[28:29], v[26:27]
	v_fma_f64 v[8:9], -v[8:9], v[30:31], v[28:29]
	v_div_fmas_f64 v[8:9], v[8:9], v[26:27], v[30:31]
	v_div_fixup_f64 v[4:5], v[8:9], v[6:7], v[4:5]
	ds_write_b64 v17, v[4:5] offset:56
	s_waitcnt lgkmcnt(0)
	ds_read_b64 v[6:7], v22 offset:56
	ds_read_b64 v[8:9], v10
	s_waitcnt lgkmcnt(0)
	v_fma_f64 v[4:5], v[4:5], v[6:7], v[8:9]
	ds_write_b64 v10, v[4:5]
	s_waitcnt lgkmcnt(0)
	ds_read_b64 v[4:5], v18
	s_waitcnt lgkmcnt(0)
	global_store_dwordx2 v[2:3], v[4:5], off
	s_waitcnt vmcnt(0)
	buffer_wbinvl1_vol
	s_and_b64 vcc, exec, s[22:23]
	s_cbranch_vccnz .LBB28_67
.LBB28_12:                              ; =>This Loop Header: Depth=1
                                        ;     Child Loop BB28_15 Depth 2
                                        ;     Child Loop BB28_26 Depth 2
	;; [unrolled: 1-line block ×3, first 2 shown]
	s_ashr_i32 s21, s20, 31
	s_lshl_b64 s[22:23], s[20:21], 2
	s_add_u32 s22, s18, s22
	s_addc_u32 s23, s19, s23
	s_load_dword s21, s[22:23], 0x0
	s_waitcnt lgkmcnt(0)
	s_sub_i32 s24, s21, s13
	s_ashr_i32 s25, s24, 31
	s_lshl_b64 s[22:23], s[24:25], 2
	s_add_u32 s26, s8, s22
	s_addc_u32 s27, s9, s23
	s_load_dword s25, s[26:27], 0x0
	s_waitcnt lgkmcnt(0)
	s_cmp_eq_u32 s25, -1
	s_cbranch_scc1 .LBB28_66
; %bb.13:                               ;   in Loop: Header=BB28_12 Depth=1
	v_lshl_add_u32 v2, s20, 6, v23
	v_ashrrev_i32_e32 v3, 31, v2
	v_lshlrev_b64 v[2:3], 3, v[2:3]
	v_mov_b32_e32 v4, s3
	v_add_co_u32_e32 v2, vcc, s2, v2
	v_addc_co_u32_e32 v3, vcc, v4, v3, vcc
	global_load_dwordx2 v[4:5], v[2:3], off
	s_add_u32 s26, s16, s22
	s_addc_u32 s27, s17, s23
	s_load_dword s26, s[26:27], 0x0
	ds_read_b32 v6, v24 offset:2560
	s_mov_b32 s27, 0
	s_waitcnt lgkmcnt(0)
	s_sub_i32 s26, s26, s13
	s_cmp_le_i32 s26, s25
	v_cmp_ge_i32_e32 vcc, s24, v6
	s_cselect_b64 s[28:29], -1, 0
	s_and_b64 s[28:29], s[28:29], vcc
	s_andn2_b64 vcc, exec, s[28:29]
	s_waitcnt vmcnt(0)
	ds_write_b64 v18, v[4:5]
	s_cbranch_vccnz .LBB28_25
; %bb.14:                               ;   in Loop: Header=BB28_12 Depth=1
	s_mov_b32 s34, 0
	s_mov_b32 s35, 0
.LBB28_15:                              ;   Parent Loop BB28_12 Depth=1
                                        ; =>  This Inner Loop Header: Depth=2
	s_ashr_i32 s27, s26, 31
	s_lshl_b64 s[28:29], s[26:27], 2
	s_add_u32 s28, s18, s28
	s_addc_u32 s29, s19, s29
	s_load_dword s27, s[28:29], 0x0
	s_lshl_b32 s28, s35, 2
	v_mov_b32_e32 v4, s28
	ds_read_b32 v4, v4 offset:2560
	s_mov_b64 s[28:29], -1
	s_waitcnt lgkmcnt(0)
	s_sub_i32 s39, s27, s13
                                        ; implicit-def: $sgpr27
                                        ; implicit-def: $sgpr38
                                        ; implicit-def: $sgpr37
	v_cmp_ge_i32_e32 vcc, s39, v4
	v_readfirstlane_b32 s36, v4
	s_cbranch_vccz .LBB28_21
; %bb.16:                               ;   in Loop: Header=BB28_15 Depth=2
	s_cmp_le_i32 s39, s36
                                        ; implicit-def: $sgpr27
                                        ; implicit-def: $sgpr38
                                        ; implicit-def: $sgpr37
	s_cbranch_scc0 .LBB28_18
; %bb.17:                               ;   in Loop: Header=BB28_15 Depth=2
	s_add_i32 s27, s35, s31
	s_lshl_b32 s27, s27, 6
	s_lshl_b32 s28, s34, 2
	v_mov_b32_e32 v4, s28
	v_mov_b32_e32 v5, s27
	s_lshl_b32 s27, s26, 6
	v_mov_b32_e32 v6, s27
	v_add_u32_e32 v4, 0x800, v4
	ds_write2_b32 v4, v6, v5 offset0:64 offset1:96
	s_add_i32 s37, s35, 1
	s_add_i32 s38, s26, 1
	;; [unrolled: 1-line block ×3, first 2 shown]
	s_mov_b64 s[28:29], 0
.LBB28_18:                              ;   in Loop: Header=BB28_15 Depth=2
	s_andn2_b64 vcc, exec, s[28:29]
	s_cbranch_vccnz .LBB28_20
; %bb.19:                               ;   in Loop: Header=BB28_15 Depth=2
	s_add_i32 s37, s35, 1
	s_mov_b32 s27, s34
	s_mov_b32 s38, s26
.LBB28_20:                              ;   in Loop: Header=BB28_15 Depth=2
	s_mov_b64 s[28:29], 0
.LBB28_21:                              ;   in Loop: Header=BB28_15 Depth=2
	s_andn2_b64 vcc, exec, s[28:29]
	s_cbranch_vccnz .LBB28_23
; %bb.22:                               ;   in Loop: Header=BB28_15 Depth=2
	s_add_i32 s38, s26, 1
	s_mov_b32 s37, s35
	s_mov_b32 s27, s34
.LBB28_23:                              ;   in Loop: Header=BB28_15 Depth=2
	s_cmp_le_i32 s38, s25
	s_cselect_b64 s[28:29], -1, 0
	s_cmp_le_i32 s36, s24
	s_cselect_b64 s[34:35], -1, 0
	s_and_b64 s[28:29], s[28:29], s[34:35]
	s_and_b64 vcc, exec, s[28:29]
	s_cbranch_vccz .LBB28_25
; %bb.24:                               ;   in Loop: Header=BB28_15 Depth=2
	s_mov_b32 s34, s27
	s_mov_b32 s26, s38
	;; [unrolled: 1-line block ×3, first 2 shown]
	s_branch .LBB28_15
.LBB28_25:                              ;   in Loop: Header=BB28_12 Depth=1
	s_add_u32 s22, s10, s22
	s_addc_u32 s23, s11, s23
	s_waitcnt lgkmcnt(0)
.LBB28_26:                              ;   Parent Loop BB28_12 Depth=1
                                        ; =>  This Inner Loop Header: Depth=2
	global_load_dword v4, v24, s[22:23] glc
	s_waitcnt vmcnt(0)
	v_cmp_eq_u32_e32 vcc, 0, v4
	s_cbranch_vccnz .LBB28_26
; %bb.27:                               ;   in Loop: Header=BB28_12 Depth=1
	v_lshl_add_u32 v4, s25, 6, v23
	v_ashrrev_i32_e32 v5, 31, v4
	v_lshlrev_b64 v[4:5], 3, v[4:5]
	v_mov_b32_e32 v6, s3
	v_add_co_u32_e32 v4, vcc, s2, v4
	v_addc_co_u32_e32 v5, vcc, v6, v5, vcc
	buffer_wbinvl1_vol
	global_load_dwordx2 v[4:5], v[4:5], off
	v_mov_b32_e32 v8, 0
	v_mov_b32_e32 v9, 0
	s_cmp_lt_i32 s27, 2
	s_waitcnt vmcnt(0)
	ds_write_b64 v19, v[4:5]
	s_waitcnt lgkmcnt(0)
	s_cbranch_scc1 .LBB28_35
; %bb.28:                               ;   in Loop: Header=BB28_12 Depth=1
	v_mov_b32_e32 v4, 0
	s_add_i32 s24, s27, -1
	v_mov_b32_e32 v5, 0
	s_movk_i32 s25, 0x900
.LBB28_29:                              ;   Parent Loop BB28_12 Depth=1
                                        ; =>  This Inner Loop Header: Depth=2
	s_waitcnt lgkmcnt(0)
	v_mov_b32_e32 v6, s25
	ds_read2_b32 v[6:7], v6 offset1:32
	s_mov_b64 s[22:23], -1
	s_and_b64 vcc, exec, s[4:5]
                                        ; implicit-def: $vgpr8_vgpr9
	s_cbranch_vccz .LBB28_32
; %bb.30:                               ;   in Loop: Header=BB28_29 Depth=2
	s_waitcnt lgkmcnt(0)
	v_add_u32_e32 v8, v6, v0
	v_ashrrev_i32_e32 v9, 31, v8
	v_lshlrev_b64 v[26:27], 3, v[8:9]
	v_add_u32_e32 v28, v7, v1
	v_ashrrev_i32_e32 v29, 31, v28
	v_mov_b32_e32 v9, s3
	v_add_co_u32_e32 v26, vcc, s2, v26
	v_lshlrev_b64 v[29:30], 3, v[28:29]
	v_add_u32_e32 v31, 8, v8
	v_addc_co_u32_e32 v27, vcc, v9, v27, vcc
	v_ashrrev_i32_e32 v32, 31, v31
	v_add_co_u32_e32 v29, vcc, s2, v29
	v_lshlrev_b64 v[31:32], 3, v[31:32]
	v_add_u32_e32 v33, 8, v28
	v_addc_co_u32_e32 v30, vcc, v9, v30, vcc
	v_ashrrev_i32_e32 v34, 31, v33
	v_add_co_u32_e32 v31, vcc, s2, v31
	v_lshlrev_b64 v[33:34], 3, v[33:34]
	v_addc_co_u32_e32 v32, vcc, v9, v32, vcc
	v_add_co_u32_e32 v33, vcc, s2, v33
	v_addc_co_u32_e32 v34, vcc, v9, v34, vcc
	global_load_dwordx2 v[35:36], v[26:27], off
	global_load_dwordx2 v[37:38], v[29:30], off
	global_load_dwordx2 v[39:40], v[31:32], off
	global_load_dwordx2 v[41:42], v[33:34], off
	v_add_u32_e32 v26, 16, v8
	v_ashrrev_i32_e32 v27, 31, v26
	v_lshlrev_b64 v[26:27], 3, v[26:27]
	v_add_u32_e32 v29, 16, v28
	v_ashrrev_i32_e32 v30, 31, v29
	v_add_co_u32_e32 v26, vcc, s2, v26
	v_lshlrev_b64 v[29:30], 3, v[29:30]
	v_add_u32_e32 v31, 24, v8
	v_addc_co_u32_e32 v27, vcc, v9, v27, vcc
	v_ashrrev_i32_e32 v32, 31, v31
	v_add_co_u32_e32 v29, vcc, s2, v29
	v_lshlrev_b64 v[31:32], 3, v[31:32]
	v_add_u32_e32 v33, 24, v28
	v_addc_co_u32_e32 v30, vcc, v9, v30, vcc
	v_ashrrev_i32_e32 v34, 31, v33
	v_add_co_u32_e32 v31, vcc, s2, v31
	v_lshlrev_b64 v[33:34], 3, v[33:34]
	v_addc_co_u32_e32 v32, vcc, v9, v32, vcc
	v_add_co_u32_e32 v33, vcc, s2, v33
	v_addc_co_u32_e32 v34, vcc, v9, v34, vcc
	global_load_dwordx2 v[43:44], v[26:27], off
	global_load_dwordx2 v[45:46], v[29:30], off
	global_load_dwordx2 v[47:48], v[31:32], off
	global_load_dwordx2 v[49:50], v[33:34], off
	v_add_u32_e32 v26, 32, v8
	v_ashrrev_i32_e32 v27, 31, v26
	v_lshlrev_b64 v[26:27], 3, v[26:27]
	v_add_u32_e32 v29, 32, v28
	v_ashrrev_i32_e32 v30, 31, v29
	;; [unrolled: 24-line block ×3, first 2 shown]
	v_add_co_u32_e32 v26, vcc, s2, v26
	v_lshlrev_b64 v[29:30], 3, v[29:30]
	v_addc_co_u32_e32 v27, vcc, v9, v27, vcc
	v_add_co_u32_e32 v29, vcc, s2, v29
	v_add_u32_e32 v8, 56, v8
	v_addc_co_u32_e32 v30, vcc, v9, v30, vcc
	v_ashrrev_i32_e32 v9, 31, v8
	global_load_dwordx2 v[31:32], v[26:27], off
	global_load_dwordx2 v[33:34], v[29:30], off
	v_lshlrev_b64 v[8:9], 3, v[8:9]
	v_mov_b32_e32 v26, s3
	v_add_co_u32_e32 v8, vcc, s2, v8
	v_addc_co_u32_e32 v9, vcc, v26, v9, vcc
	v_add_u32_e32 v26, 56, v28
	v_ashrrev_i32_e32 v27, 31, v26
	v_lshlrev_b64 v[26:27], 3, v[26:27]
	v_mov_b32_e32 v28, s3
	v_add_co_u32_e32 v26, vcc, s2, v26
	v_addc_co_u32_e32 v27, vcc, v28, v27, vcc
	global_load_dwordx2 v[28:29], v[8:9], off
	global_load_dwordx2 v[59:60], v[26:27], off
	s_waitcnt vmcnt(14)
	v_fma_f64 v[8:9], v[35:36], v[37:38], v[4:5]
	s_waitcnt vmcnt(12)
	v_fma_f64 v[8:9], v[39:40], v[41:42], v[8:9]
	;; [unrolled: 2-line block ×8, first 2 shown]
	s_cbranch_execz .LBB28_33
.LBB28_31:                              ;   in Loop: Header=BB28_29 Depth=2
	s_add_i32 s24, s24, -1
	s_add_i32 s25, s25, 4
	s_cmp_eq_u32 s24, 0
	s_cbranch_scc0 .LBB28_34
	s_branch .LBB28_35
.LBB28_32:                              ;   in Loop: Header=BB28_29 Depth=2
	s_andn2_b64 vcc, exec, s[22:23]
	s_cbranch_vccnz .LBB28_31
.LBB28_33:                              ;   in Loop: Header=BB28_29 Depth=2
	s_waitcnt lgkmcnt(0)
	v_add_u32_e32 v8, v6, v16
	v_ashrrev_i32_e32 v9, 31, v8
	v_lshlrev_b64 v[8:9], 3, v[8:9]
	v_mov_b32_e32 v6, s3
	v_add_co_u32_e32 v54, vcc, s2, v8
	v_addc_co_u32_e32 v55, vcc, v6, v9, vcc
	v_add_u32_e32 v6, v7, v14
	v_ashrrev_i32_e32 v7, 31, v6
	v_lshlrev_b64 v[6:7], 3, v[6:7]
	v_mov_b32_e32 v8, s3
	v_add_co_u32_e32 v56, vcc, s2, v6
	v_addc_co_u32_e32 v57, vcc, v8, v7, vcc
	global_load_dwordx4 v[6:9], v[56:57], off
	global_load_dwordx4 v[26:29], v[54:55], off
	global_load_dwordx4 v[30:33], v[54:55], off offset:16
	global_load_dwordx4 v[34:37], v[56:57], off offset:16
	;; [unrolled: 1-line block ×6, first 2 shown]
	s_waitcnt vmcnt(6)
	v_fma_f64 v[4:5], v[26:27], v[6:7], v[4:5]
	v_fma_f64 v[4:5], v[28:29], v[8:9], v[4:5]
	s_waitcnt vmcnt(4)
	v_fma_f64 v[4:5], v[30:31], v[34:35], v[4:5]
	v_fma_f64 v[4:5], v[32:33], v[36:37], v[4:5]
	;; [unrolled: 3-line block ×4, first 2 shown]
	s_add_i32 s24, s24, -1
	s_add_i32 s25, s25, 4
	s_cmp_eq_u32 s24, 0
	s_cbranch_scc1 .LBB28_35
.LBB28_34:                              ;   in Loop: Header=BB28_29 Depth=2
	v_mov_b32_e32 v4, v8
	v_mov_b32_e32 v5, v9
	s_branch .LBB28_29
.LBB28_35:                              ;   in Loop: Header=BB28_12 Depth=1
	ds_write_b64 v21, v[8:9]
	s_waitcnt lgkmcnt(0)
	ds_read_b64 v[6:7], v24
	ds_read_b64 v[4:5], v17
	s_waitcnt lgkmcnt(1)
	v_cmp_neq_f64_e32 vcc, 0, v[6:7]
	v_cndmask_b32_e32 v7, v25, v7, vcc
	s_nor_b64 s[24:25], vcc, s[0:1]
	v_cndmask_b32_e32 v6, 0, v6, vcc
	s_and_saveexec_b64 s[22:23], s[24:25]
	s_cbranch_execz .LBB28_39
; %bb.36:                               ;   in Loop: Header=BB28_12 Depth=1
	v_mbcnt_lo_u32_b32 v6, exec_lo, 0
	v_mbcnt_hi_u32_b32 v6, exec_hi, v6
	v_cmp_eq_u32_e32 vcc, 0, v6
	s_and_saveexec_b64 s[24:25], vcc
	s_cbranch_execz .LBB28_38
; %bb.37:                               ;   in Loop: Header=BB28_12 Depth=1
	v_mov_b32_e32 v6, s21
	global_atomic_smin v24, v6, s[14:15]
.LBB28_38:                              ;   in Loop: Header=BB28_12 Depth=1
	s_or_b64 exec, exec, s[24:25]
	v_mov_b32_e32 v6, 0
	v_mov_b32_e32 v7, 0x3ff00000
.LBB28_39:                              ;   in Loop: Header=BB28_12 Depth=1
	s_or_b64 exec, exec, s[22:23]
	ds_read_b64 v[8:9], v20
	s_waitcnt lgkmcnt(0)
	v_add_f64 v[4:5], v[4:5], -v[8:9]
	v_div_scale_f64 v[8:9], s[22:23], v[6:7], v[6:7], v[4:5]
	v_rcp_f64_e32 v[26:27], v[8:9]
	v_fma_f64 v[28:29], -v[8:9], v[26:27], 1.0
	v_fma_f64 v[26:27], v[26:27], v[28:29], v[26:27]
	v_div_scale_f64 v[28:29], vcc, v[4:5], v[6:7], v[4:5]
	v_fma_f64 v[30:31], -v[8:9], v[26:27], 1.0
	v_fma_f64 v[26:27], v[26:27], v[30:31], v[26:27]
	v_mul_f64 v[30:31], v[28:29], v[26:27]
	v_fma_f64 v[8:9], -v[8:9], v[30:31], v[28:29]
	v_div_fmas_f64 v[8:9], v[8:9], v[26:27], v[30:31]
	v_div_fixup_f64 v[4:5], v[8:9], v[6:7], v[4:5]
	ds_write_b64 v17, v[4:5]
	s_waitcnt lgkmcnt(0)
	ds_read_b64 v[6:7], v22
	ds_read_b64 v[8:9], v10
	s_waitcnt lgkmcnt(0)
	v_fma_f64 v[4:5], v[4:5], v[6:7], v[8:9]
	ds_write_b64 v10, v[4:5]
	s_waitcnt lgkmcnt(0)
	ds_read_b64 v[6:7], v24 offset:80
	ds_read_b64 v[4:5], v17 offset:8
	s_waitcnt lgkmcnt(1)
	v_cmp_neq_f64_e32 vcc, 0, v[6:7]
	v_cndmask_b32_e32 v7, v25, v7, vcc
	s_nor_b64 s[24:25], vcc, s[0:1]
	v_cndmask_b32_e32 v6, 0, v6, vcc
	s_and_saveexec_b64 s[22:23], s[24:25]
	s_cbranch_execz .LBB28_43
; %bb.40:                               ;   in Loop: Header=BB28_12 Depth=1
	v_mbcnt_lo_u32_b32 v6, exec_lo, 0
	v_mbcnt_hi_u32_b32 v6, exec_hi, v6
	v_cmp_eq_u32_e32 vcc, 0, v6
	s_and_saveexec_b64 s[24:25], vcc
	s_cbranch_execz .LBB28_42
; %bb.41:                               ;   in Loop: Header=BB28_12 Depth=1
	v_mov_b32_e32 v6, s21
	global_atomic_smin v24, v6, s[14:15]
.LBB28_42:                              ;   in Loop: Header=BB28_12 Depth=1
	s_or_b64 exec, exec, s[24:25]
	v_mov_b32_e32 v6, 0
	v_mov_b32_e32 v7, 0x3ff00000
.LBB28_43:                              ;   in Loop: Header=BB28_12 Depth=1
	s_or_b64 exec, exec, s[22:23]
	ds_read_b64 v[8:9], v24 offset:72
	ds_read_b64 v[26:27], v17
	ds_read_b64 v[28:29], v20 offset:8
	s_waitcnt lgkmcnt(0)
	v_fma_f64 v[8:9], v[8:9], v[26:27], v[28:29]
	v_add_f64 v[4:5], v[4:5], -v[8:9]
	v_div_scale_f64 v[8:9], s[22:23], v[6:7], v[6:7], v[4:5]
	v_rcp_f64_e32 v[26:27], v[8:9]
	v_fma_f64 v[28:29], -v[8:9], v[26:27], 1.0
	v_fma_f64 v[26:27], v[26:27], v[28:29], v[26:27]
	v_div_scale_f64 v[28:29], vcc, v[4:5], v[6:7], v[4:5]
	v_fma_f64 v[30:31], -v[8:9], v[26:27], 1.0
	v_fma_f64 v[26:27], v[26:27], v[30:31], v[26:27]
	v_mul_f64 v[30:31], v[28:29], v[26:27]
	v_fma_f64 v[8:9], -v[8:9], v[30:31], v[28:29]
	v_div_fmas_f64 v[8:9], v[8:9], v[26:27], v[30:31]
	v_div_fixup_f64 v[4:5], v[8:9], v[6:7], v[4:5]
	ds_write_b64 v17, v[4:5] offset:8
	s_waitcnt lgkmcnt(0)
	ds_read_b64 v[6:7], v22 offset:8
	ds_read_b64 v[8:9], v10
	s_waitcnt lgkmcnt(0)
	v_fma_f64 v[4:5], v[4:5], v[6:7], v[8:9]
	ds_write_b64 v10, v[4:5]
	s_waitcnt lgkmcnt(0)
	ds_read_b64 v[6:7], v24 offset:160
	ds_read_b64 v[4:5], v17 offset:16
	s_waitcnt lgkmcnt(1)
	v_cmp_neq_f64_e32 vcc, 0, v[6:7]
	v_cndmask_b32_e32 v7, v25, v7, vcc
	s_nor_b64 s[24:25], vcc, s[0:1]
	v_cndmask_b32_e32 v6, 0, v6, vcc
	s_and_saveexec_b64 s[22:23], s[24:25]
	s_cbranch_execz .LBB28_47
; %bb.44:                               ;   in Loop: Header=BB28_12 Depth=1
	v_mbcnt_lo_u32_b32 v6, exec_lo, 0
	v_mbcnt_hi_u32_b32 v6, exec_hi, v6
	v_cmp_eq_u32_e32 vcc, 0, v6
	s_and_saveexec_b64 s[24:25], vcc
	s_cbranch_execz .LBB28_46
; %bb.45:                               ;   in Loop: Header=BB28_12 Depth=1
	v_mov_b32_e32 v6, s21
	global_atomic_smin v24, v6, s[14:15]
.LBB28_46:                              ;   in Loop: Header=BB28_12 Depth=1
	s_or_b64 exec, exec, s[24:25]
	v_mov_b32_e32 v6, 0
	v_mov_b32_e32 v7, 0x3ff00000
.LBB28_47:                              ;   in Loop: Header=BB28_12 Depth=1
	s_or_b64 exec, exec, s[22:23]
	ds_read_b128 v[26:29], v24 offset:144
	ds_read2_b64 v[30:33], v17 offset1:1
	ds_read_b64 v[8:9], v20 offset:16
	s_waitcnt lgkmcnt(0)
	v_fma_f64 v[8:9], v[26:27], v[30:31], v[8:9]
	v_fma_f64 v[8:9], v[28:29], v[32:33], v[8:9]
	v_add_f64 v[4:5], v[4:5], -v[8:9]
	v_div_scale_f64 v[8:9], s[22:23], v[6:7], v[6:7], v[4:5]
	v_rcp_f64_e32 v[26:27], v[8:9]
	v_fma_f64 v[28:29], -v[8:9], v[26:27], 1.0
	v_fma_f64 v[26:27], v[26:27], v[28:29], v[26:27]
	v_div_scale_f64 v[28:29], vcc, v[4:5], v[6:7], v[4:5]
	v_fma_f64 v[30:31], -v[8:9], v[26:27], 1.0
	v_fma_f64 v[26:27], v[26:27], v[30:31], v[26:27]
	v_mul_f64 v[30:31], v[28:29], v[26:27]
	v_fma_f64 v[8:9], -v[8:9], v[30:31], v[28:29]
	v_div_fmas_f64 v[8:9], v[8:9], v[26:27], v[30:31]
	v_div_fixup_f64 v[4:5], v[8:9], v[6:7], v[4:5]
	ds_write_b64 v17, v[4:5] offset:16
	s_waitcnt lgkmcnt(0)
	ds_read_b64 v[6:7], v22 offset:16
	ds_read_b64 v[8:9], v10
	s_waitcnt lgkmcnt(0)
	v_fma_f64 v[4:5], v[4:5], v[6:7], v[8:9]
	ds_write_b64 v10, v[4:5]
	s_waitcnt lgkmcnt(0)
	ds_read_b64 v[6:7], v24 offset:240
	ds_read_b64 v[4:5], v17 offset:24
	s_waitcnt lgkmcnt(1)
	v_cmp_neq_f64_e32 vcc, 0, v[6:7]
	v_cndmask_b32_e32 v7, v25, v7, vcc
	s_nor_b64 s[24:25], vcc, s[0:1]
	v_cndmask_b32_e32 v6, 0, v6, vcc
	s_and_saveexec_b64 s[22:23], s[24:25]
	s_cbranch_execz .LBB28_51
; %bb.48:                               ;   in Loop: Header=BB28_12 Depth=1
	v_mbcnt_lo_u32_b32 v6, exec_lo, 0
	v_mbcnt_hi_u32_b32 v6, exec_hi, v6
	v_cmp_eq_u32_e32 vcc, 0, v6
	s_and_saveexec_b64 s[24:25], vcc
	s_cbranch_execz .LBB28_50
; %bb.49:                               ;   in Loop: Header=BB28_12 Depth=1
	v_mov_b32_e32 v6, s21
	global_atomic_smin v24, v6, s[14:15]
.LBB28_50:                              ;   in Loop: Header=BB28_12 Depth=1
	s_or_b64 exec, exec, s[24:25]
	v_mov_b32_e32 v6, 0
	v_mov_b32_e32 v7, 0x3ff00000
.LBB28_51:                              ;   in Loop: Header=BB28_12 Depth=1
	s_or_b64 exec, exec, s[22:23]
	ds_read2_b64 v[26:29], v17 offset1:1
	ds_read2_b64 v[30:33], v24 offset0:27 offset1:28
	ds_read_b64 v[8:9], v20 offset:24
	s_waitcnt lgkmcnt(0)
	v_fma_f64 v[8:9], v[30:31], v[26:27], v[8:9]
	v_fma_f64 v[8:9], v[32:33], v[28:29], v[8:9]
	ds_read_b64 v[26:27], v17 offset:16
	ds_read_b64 v[28:29], v24 offset:232
	s_waitcnt lgkmcnt(0)
	v_fma_f64 v[8:9], v[28:29], v[26:27], v[8:9]
	v_add_f64 v[4:5], v[4:5], -v[8:9]
	v_div_scale_f64 v[8:9], s[22:23], v[6:7], v[6:7], v[4:5]
	v_rcp_f64_e32 v[26:27], v[8:9]
	v_fma_f64 v[28:29], -v[8:9], v[26:27], 1.0
	v_fma_f64 v[26:27], v[26:27], v[28:29], v[26:27]
	v_div_scale_f64 v[28:29], vcc, v[4:5], v[6:7], v[4:5]
	v_fma_f64 v[30:31], -v[8:9], v[26:27], 1.0
	v_fma_f64 v[26:27], v[26:27], v[30:31], v[26:27]
	v_mul_f64 v[30:31], v[28:29], v[26:27]
	v_fma_f64 v[8:9], -v[8:9], v[30:31], v[28:29]
	v_div_fmas_f64 v[8:9], v[8:9], v[26:27], v[30:31]
	v_div_fixup_f64 v[4:5], v[8:9], v[6:7], v[4:5]
	ds_write_b64 v17, v[4:5] offset:24
	s_waitcnt lgkmcnt(0)
	ds_read_b64 v[6:7], v22 offset:24
	ds_read_b64 v[8:9], v10
	s_waitcnt lgkmcnt(0)
	v_fma_f64 v[4:5], v[4:5], v[6:7], v[8:9]
	ds_write_b64 v10, v[4:5]
	s_waitcnt lgkmcnt(0)
	ds_read_b64 v[6:7], v24 offset:320
	ds_read_b64 v[4:5], v17 offset:32
	s_waitcnt lgkmcnt(1)
	v_cmp_neq_f64_e32 vcc, 0, v[6:7]
	v_cndmask_b32_e32 v7, v25, v7, vcc
	s_nor_b64 s[24:25], vcc, s[0:1]
	v_cndmask_b32_e32 v6, 0, v6, vcc
	s_and_saveexec_b64 s[22:23], s[24:25]
	s_cbranch_execz .LBB28_55
; %bb.52:                               ;   in Loop: Header=BB28_12 Depth=1
	v_mbcnt_lo_u32_b32 v6, exec_lo, 0
	v_mbcnt_hi_u32_b32 v6, exec_hi, v6
	v_cmp_eq_u32_e32 vcc, 0, v6
	s_and_saveexec_b64 s[24:25], vcc
	s_cbranch_execz .LBB28_54
; %bb.53:                               ;   in Loop: Header=BB28_12 Depth=1
	v_mov_b32_e32 v6, s21
	global_atomic_smin v24, v6, s[14:15]
.LBB28_54:                              ;   in Loop: Header=BB28_12 Depth=1
	s_or_b64 exec, exec, s[24:25]
	v_mov_b32_e32 v6, 0
	v_mov_b32_e32 v7, 0x3ff00000
.LBB28_55:                              ;   in Loop: Header=BB28_12 Depth=1
	s_or_b64 exec, exec, s[22:23]
	ds_read2_b64 v[26:29], v17 offset1:1
	ds_read_b128 v[30:33], v24 offset:288
	ds_read_b64 v[8:9], v20 offset:32
	s_waitcnt lgkmcnt(0)
	v_fma_f64 v[8:9], v[30:31], v[26:27], v[8:9]
	v_fma_f64 v[8:9], v[32:33], v[28:29], v[8:9]
	ds_read2_b64 v[26:29], v17 offset0:2 offset1:3
	ds_read_b128 v[30:33], v24 offset:304
	s_waitcnt lgkmcnt(0)
	v_fma_f64 v[8:9], v[30:31], v[26:27], v[8:9]
	v_fma_f64 v[8:9], v[32:33], v[28:29], v[8:9]
	v_add_f64 v[4:5], v[4:5], -v[8:9]
	v_div_scale_f64 v[8:9], s[22:23], v[6:7], v[6:7], v[4:5]
	v_rcp_f64_e32 v[26:27], v[8:9]
	v_fma_f64 v[28:29], -v[8:9], v[26:27], 1.0
	v_fma_f64 v[26:27], v[26:27], v[28:29], v[26:27]
	v_div_scale_f64 v[28:29], vcc, v[4:5], v[6:7], v[4:5]
	v_fma_f64 v[30:31], -v[8:9], v[26:27], 1.0
	v_fma_f64 v[26:27], v[26:27], v[30:31], v[26:27]
	v_mul_f64 v[30:31], v[28:29], v[26:27]
	v_fma_f64 v[8:9], -v[8:9], v[30:31], v[28:29]
	v_div_fmas_f64 v[8:9], v[8:9], v[26:27], v[30:31]
	v_div_fixup_f64 v[4:5], v[8:9], v[6:7], v[4:5]
	ds_write_b64 v17, v[4:5] offset:32
	s_waitcnt lgkmcnt(0)
	ds_read_b64 v[6:7], v22 offset:32
	ds_read_b64 v[8:9], v10
	s_waitcnt lgkmcnt(0)
	v_fma_f64 v[4:5], v[4:5], v[6:7], v[8:9]
	ds_write_b64 v10, v[4:5]
	s_waitcnt lgkmcnt(0)
	ds_read_b64 v[6:7], v24 offset:400
	ds_read_b64 v[4:5], v17 offset:40
	s_waitcnt lgkmcnt(1)
	v_cmp_neq_f64_e32 vcc, 0, v[6:7]
	v_cndmask_b32_e32 v7, v25, v7, vcc
	s_nor_b64 s[24:25], vcc, s[0:1]
	v_cndmask_b32_e32 v6, 0, v6, vcc
	s_and_saveexec_b64 s[22:23], s[24:25]
	s_cbranch_execz .LBB28_59
; %bb.56:                               ;   in Loop: Header=BB28_12 Depth=1
	v_mbcnt_lo_u32_b32 v6, exec_lo, 0
	v_mbcnt_hi_u32_b32 v6, exec_hi, v6
	v_cmp_eq_u32_e32 vcc, 0, v6
	s_and_saveexec_b64 s[24:25], vcc
	s_cbranch_execz .LBB28_58
; %bb.57:                               ;   in Loop: Header=BB28_12 Depth=1
	v_mov_b32_e32 v6, s21
	global_atomic_smin v24, v6, s[14:15]
.LBB28_58:                              ;   in Loop: Header=BB28_12 Depth=1
	s_or_b64 exec, exec, s[24:25]
	v_mov_b32_e32 v6, 0
	v_mov_b32_e32 v7, 0x3ff00000
.LBB28_59:                              ;   in Loop: Header=BB28_12 Depth=1
	s_or_b64 exec, exec, s[22:23]
	ds_read2_b64 v[26:29], v24 offset0:45 offset1:46
	ds_read2_b64 v[30:33], v17 offset1:1
	ds_read_b64 v[8:9], v20 offset:40
	s_waitcnt lgkmcnt(0)
	v_fma_f64 v[8:9], v[26:27], v[30:31], v[8:9]
	v_fma_f64 v[8:9], v[28:29], v[32:33], v[8:9]
	ds_read2_b64 v[26:29], v24 offset0:47 offset1:48
	ds_read2_b64 v[30:33], v17 offset0:2 offset1:3
	s_waitcnt lgkmcnt(0)
	v_fma_f64 v[8:9], v[26:27], v[30:31], v[8:9]
	v_fma_f64 v[8:9], v[28:29], v[32:33], v[8:9]
	ds_read_b64 v[26:27], v17 offset:32
	ds_read_b64 v[28:29], v24 offset:392
	s_waitcnt lgkmcnt(0)
	v_fma_f64 v[8:9], v[28:29], v[26:27], v[8:9]
	v_add_f64 v[4:5], v[4:5], -v[8:9]
	v_div_scale_f64 v[8:9], s[22:23], v[6:7], v[6:7], v[4:5]
	v_rcp_f64_e32 v[26:27], v[8:9]
	v_fma_f64 v[28:29], -v[8:9], v[26:27], 1.0
	v_fma_f64 v[26:27], v[26:27], v[28:29], v[26:27]
	v_div_scale_f64 v[28:29], vcc, v[4:5], v[6:7], v[4:5]
	v_fma_f64 v[30:31], -v[8:9], v[26:27], 1.0
	v_fma_f64 v[26:27], v[26:27], v[30:31], v[26:27]
	v_mul_f64 v[30:31], v[28:29], v[26:27]
	v_fma_f64 v[8:9], -v[8:9], v[30:31], v[28:29]
	v_div_fmas_f64 v[8:9], v[8:9], v[26:27], v[30:31]
	v_div_fixup_f64 v[4:5], v[8:9], v[6:7], v[4:5]
	ds_write_b64 v17, v[4:5] offset:40
	s_waitcnt lgkmcnt(0)
	ds_read_b64 v[6:7], v22 offset:40
	ds_read_b64 v[8:9], v10
	s_waitcnt lgkmcnt(0)
	v_fma_f64 v[4:5], v[4:5], v[6:7], v[8:9]
	ds_write_b64 v10, v[4:5]
	s_waitcnt lgkmcnt(0)
	ds_read_b64 v[6:7], v24 offset:480
	ds_read_b64 v[4:5], v17 offset:48
	s_waitcnt lgkmcnt(1)
	v_cmp_neq_f64_e32 vcc, 0, v[6:7]
	v_cndmask_b32_e32 v7, v25, v7, vcc
	s_nor_b64 s[24:25], vcc, s[0:1]
	v_cndmask_b32_e32 v6, 0, v6, vcc
	s_and_saveexec_b64 s[22:23], s[24:25]
	s_cbranch_execz .LBB28_63
; %bb.60:                               ;   in Loop: Header=BB28_12 Depth=1
	v_mbcnt_lo_u32_b32 v6, exec_lo, 0
	v_mbcnt_hi_u32_b32 v6, exec_hi, v6
	v_cmp_eq_u32_e32 vcc, 0, v6
	s_and_saveexec_b64 s[24:25], vcc
	s_cbranch_execz .LBB28_62
; %bb.61:                               ;   in Loop: Header=BB28_12 Depth=1
	v_mov_b32_e32 v6, s21
	global_atomic_smin v24, v6, s[14:15]
.LBB28_62:                              ;   in Loop: Header=BB28_12 Depth=1
	s_or_b64 exec, exec, s[24:25]
	v_mov_b32_e32 v6, 0
	v_mov_b32_e32 v7, 0x3ff00000
.LBB28_63:                              ;   in Loop: Header=BB28_12 Depth=1
	s_or_b64 exec, exec, s[22:23]
	ds_read2_b64 v[26:29], v17 offset1:1
	ds_read_b64 v[8:9], v20 offset:48
	ds_read_b128 v[30:33], v24 offset:432
	ds_read_b128 v[34:37], v24 offset:448
	s_waitcnt lgkmcnt(1)
	v_fma_f64 v[8:9], v[30:31], v[26:27], v[8:9]
	v_fma_f64 v[8:9], v[32:33], v[28:29], v[8:9]
	ds_read2_b64 v[26:29], v17 offset0:2 offset1:3
	s_waitcnt lgkmcnt(0)
	v_fma_f64 v[8:9], v[34:35], v[26:27], v[8:9]
	v_fma_f64 v[8:9], v[36:37], v[28:29], v[8:9]
	ds_read2_b64 v[26:29], v17 offset0:4 offset1:5
	ds_read_b128 v[30:33], v24 offset:464
	s_waitcnt lgkmcnt(0)
	v_fma_f64 v[8:9], v[30:31], v[26:27], v[8:9]
	v_fma_f64 v[8:9], v[32:33], v[28:29], v[8:9]
	v_add_f64 v[4:5], v[4:5], -v[8:9]
	v_div_scale_f64 v[8:9], s[22:23], v[6:7], v[6:7], v[4:5]
	v_rcp_f64_e32 v[26:27], v[8:9]
	v_fma_f64 v[28:29], -v[8:9], v[26:27], 1.0
	v_fma_f64 v[26:27], v[26:27], v[28:29], v[26:27]
	v_div_scale_f64 v[28:29], vcc, v[4:5], v[6:7], v[4:5]
	v_fma_f64 v[30:31], -v[8:9], v[26:27], 1.0
	v_fma_f64 v[26:27], v[26:27], v[30:31], v[26:27]
	v_mul_f64 v[30:31], v[28:29], v[26:27]
	v_fma_f64 v[8:9], -v[8:9], v[30:31], v[28:29]
	v_div_fmas_f64 v[8:9], v[8:9], v[26:27], v[30:31]
	v_div_fixup_f64 v[4:5], v[8:9], v[6:7], v[4:5]
	ds_write_b64 v17, v[4:5] offset:48
	s_waitcnt lgkmcnt(0)
	ds_read_b64 v[6:7], v22 offset:48
	ds_read_b64 v[8:9], v10
	s_waitcnt lgkmcnt(0)
	v_fma_f64 v[4:5], v[4:5], v[6:7], v[8:9]
	ds_write_b64 v10, v[4:5]
	s_waitcnt lgkmcnt(0)
	ds_read_b64 v[6:7], v24 offset:560
	ds_read_b64 v[4:5], v17 offset:56
	s_waitcnt lgkmcnt(1)
	v_cmp_neq_f64_e32 vcc, 0, v[6:7]
	v_cndmask_b32_e32 v7, v25, v7, vcc
	s_nor_b64 s[24:25], vcc, s[0:1]
	v_cndmask_b32_e32 v6, 0, v6, vcc
	s_and_saveexec_b64 s[22:23], s[24:25]
	s_cbranch_execz .LBB28_11
; %bb.64:                               ;   in Loop: Header=BB28_12 Depth=1
	v_mbcnt_lo_u32_b32 v6, exec_lo, 0
	v_mbcnt_hi_u32_b32 v6, exec_hi, v6
	v_cmp_eq_u32_e32 vcc, 0, v6
	s_and_saveexec_b64 s[24:25], vcc
	s_cbranch_execz .LBB28_10
; %bb.65:                               ;   in Loop: Header=BB28_12 Depth=1
	v_mov_b32_e32 v6, s21
	global_atomic_smin v24, v6, s[14:15]
	s_branch .LBB28_10
.LBB28_66:                              ;   in Loop: Header=BB28_12 Depth=1
                                        ; implicit-def: $sgpr20
	s_cbranch_execz .LBB28_12
.LBB28_67:
	s_waitcnt lgkmcnt(0)
	s_cmp_eq_u32 s33, 0
	s_cselect_b64 vcc, -1, 0
	v_cndmask_b32_e32 v2, v15, v13, vcc
	v_lshl_add_u32 v2, s30, 6, v2
	v_ashrrev_i32_e32 v3, 31, v2
	v_lshlrev_b64 v[2:3], 3, v[2:3]
	v_mov_b32_e32 v4, s3
	v_add_co_u32_e32 v2, vcc, s2, v2
	v_addc_co_u32_e32 v3, vcc, v4, v3, vcc
	global_load_dwordx2 v[4:5], v[2:3], off
	s_movk_i32 s0, 0x48
	v_mov_b32_e32 v6, 0x480
	v_mad_u32_u24 v7, v1, s0, v6
	v_cmp_ne_u32_e32 vcc, 0, v1
	v_lshl_add_u32 v6, v0, 3, v7
	v_cmp_eq_u32_e64 s[0:1], 0, v1
	s_waitcnt vmcnt(0)
	ds_write_b64 v6, v[4:5]
	s_waitcnt lgkmcnt(0)
	s_and_saveexec_b64 s[2:3], s[0:1]
	s_cbranch_execz .LBB28_69
; %bb.68:
	v_mov_b32_e32 v17, 0
	ds_read2_b64 v[13:16], v17 offset0:144 offset1:216
	s_mov_b32 s4, 0
	s_brev_b32 s5, 8
	s_waitcnt lgkmcnt(0)
	v_add_f64 v[4:5], v[13:14], -v[15:16]
	v_cmp_gt_f64_e64 s[0:1], 0, v[4:5]
	v_xor_b32_e32 v8, 0x80000000, v5
	v_cndmask_b32_e64 v5, v5, v8, s[0:1]
	v_cmp_gt_f64_e64 s[0:1], s[4:5], v[4:5]
	s_and_b64 s[0:1], s[0:1], exec
	s_cselect_b32 s0, 0x100, 0
	v_ldexp_f64 v[4:5], v[4:5], s0
	s_cselect_b32 s0, 0xffffff80, 0
	v_rsq_f64_e32 v[8:9], v[4:5]
	v_mul_f64 v[13:14], v[4:5], v[8:9]
	v_mul_f64 v[8:9], v[8:9], 0.5
	v_fma_f64 v[15:16], -v[8:9], v[13:14], 0.5
	v_fma_f64 v[13:14], v[13:14], v[15:16], v[13:14]
	v_fma_f64 v[8:9], v[8:9], v[15:16], v[8:9]
	v_fma_f64 v[15:16], -v[13:14], v[13:14], v[4:5]
	v_fma_f64 v[13:14], v[15:16], v[8:9], v[13:14]
	v_fma_f64 v[15:16], -v[13:14], v[13:14], v[4:5]
	v_fma_f64 v[8:9], v[15:16], v[8:9], v[13:14]
	v_mov_b32_e32 v13, 0x260
	v_ldexp_f64 v[8:9], v[8:9], s0
	v_cmp_class_f64_e64 s[0:1], v[4:5], v13
	v_cndmask_b32_e64 v5, v9, v5, s[0:1]
	v_cndmask_b32_e64 v4, v8, v4, s[0:1]
	ds_write_b64 v17, v[4:5] offset:1152
.LBB28_69:
	s_or_b64 exec, exec, s[2:3]
	v_mov_b32_e32 v4, 0
	s_waitcnt lgkmcnt(0)
	ds_read_b64 v[4:5], v4 offset:1152
	v_mov_b32_e32 v8, 0x3ff00000
	v_cmp_ne_u32_e64 s[0:1], 0, v12
	s_add_i32 s16, s12, s13
	s_waitcnt lgkmcnt(0)
	v_cmp_neq_f64_e64 s[2:3], 0, v[4:5]
	v_cndmask_b32_e64 v5, v8, v5, s[2:3]
	s_nor_b64 s[8:9], s[2:3], s[0:1]
	v_cndmask_b32_e64 v4, 0, v4, s[2:3]
	s_and_saveexec_b64 s[4:5], s[8:9]
	s_cbranch_execz .LBB28_73
; %bb.70:
	v_mbcnt_lo_u32_b32 v4, exec_lo, 0
	v_mbcnt_hi_u32_b32 v4, exec_hi, v4
	v_cmp_eq_u32_e64 s[2:3], 0, v4
	s_and_saveexec_b64 s[8:9], s[2:3]
	s_cbranch_execz .LBB28_72
; %bb.71:
	v_mov_b32_e32 v4, 0
	v_mov_b32_e32 v5, s16
	global_atomic_smin v4, v5, s[14:15]
.LBB28_72:
	s_or_b64 exec, exec, s[8:9]
	v_mov_b32_e32 v4, 0
	v_mov_b32_e32 v5, 0x3ff00000
.LBB28_73:
	s_or_b64 exec, exec, s[4:5]
	s_movk_i32 s2, 0x48
	v_mov_b32_e32 v8, 0x480
	v_mad_u32_u24 v8, v0, s2, v8
	s_and_saveexec_b64 s[2:3], vcc
	s_cbranch_execz .LBB28_75
; %bb.74:
	ds_read_b64 v[13:14], v7
	ds_read_b64 v[15:16], v11
	s_waitcnt lgkmcnt(0)
	v_add_f64 v[13:14], v[13:14], -v[15:16]
	v_div_scale_f64 v[15:16], s[4:5], v[4:5], v[4:5], v[13:14]
	v_rcp_f64_e32 v[17:18], v[15:16]
	v_fma_f64 v[19:20], -v[15:16], v[17:18], 1.0
	v_fma_f64 v[17:18], v[17:18], v[19:20], v[17:18]
	v_div_scale_f64 v[19:20], vcc, v[13:14], v[4:5], v[13:14]
	v_fma_f64 v[21:22], -v[15:16], v[17:18], 1.0
	v_fma_f64 v[17:18], v[17:18], v[21:22], v[17:18]
	v_mul_f64 v[21:22], v[19:20], v[17:18]
	v_fma_f64 v[15:16], -v[15:16], v[21:22], v[19:20]
	v_div_fmas_f64 v[15:16], v[15:16], v[17:18], v[21:22]
	v_div_fixup_f64 v[4:5], v[15:16], v[4:5], v[13:14]
	ds_write_b64 v7, v[4:5]
	s_waitcnt lgkmcnt(0)
	ds_read_b64 v[13:14], v8
	ds_read_b64 v[15:16], v10
	s_waitcnt lgkmcnt(0)
	v_fma_f64 v[4:5], v[4:5], v[13:14], v[15:16]
	ds_write_b64 v10, v[4:5]
.LBB28_75:
	s_or_b64 exec, exec, s[2:3]
	v_cmp_eq_u32_e32 vcc, 1, v1
	s_waitcnt lgkmcnt(0)
	s_and_saveexec_b64 s[2:3], vcc
	s_cbranch_execz .LBB28_77
; %bb.76:
	v_mov_b32_e32 v9, 0
	ds_read2_b64 v[13:16], v9 offset0:154 offset1:226
	s_mov_b32 s4, 0
	s_brev_b32 s5, 8
	s_waitcnt lgkmcnt(0)
	v_add_f64 v[4:5], v[13:14], -v[15:16]
	v_cmp_gt_f64_e32 vcc, 0, v[4:5]
	v_xor_b32_e32 v13, 0x80000000, v5
	v_cndmask_b32_e32 v5, v5, v13, vcc
	v_cmp_gt_f64_e32 vcc, s[4:5], v[4:5]
	s_and_b64 s[4:5], vcc, exec
	s_cselect_b32 s4, 0x100, 0
	v_ldexp_f64 v[4:5], v[4:5], s4
	s_cselect_b32 s4, 0xffffff80, 0
	v_rsq_f64_e32 v[13:14], v[4:5]
	v_mul_f64 v[15:16], v[4:5], v[13:14]
	v_mul_f64 v[13:14], v[13:14], 0.5
	v_fma_f64 v[17:18], -v[13:14], v[15:16], 0.5
	v_fma_f64 v[15:16], v[15:16], v[17:18], v[15:16]
	v_fma_f64 v[13:14], v[13:14], v[17:18], v[13:14]
	v_fma_f64 v[17:18], -v[15:16], v[15:16], v[4:5]
	v_fma_f64 v[15:16], v[17:18], v[13:14], v[15:16]
	v_fma_f64 v[17:18], -v[15:16], v[15:16], v[4:5]
	v_fma_f64 v[13:14], v[17:18], v[13:14], v[15:16]
	v_mov_b32_e32 v15, 0x260
	v_cmp_class_f64_e32 vcc, v[4:5], v15
	v_ldexp_f64 v[13:14], v[13:14], s4
	v_cndmask_b32_e32 v5, v14, v5, vcc
	v_cndmask_b32_e32 v4, v13, v4, vcc
	ds_write_b64 v9, v[4:5] offset:1232
.LBB28_77:
	s_or_b64 exec, exec, s[2:3]
	v_mov_b32_e32 v4, 0
	s_waitcnt lgkmcnt(0)
	ds_read_b64 v[4:5], v4 offset:1232
	v_mov_b32_e32 v9, 0x3ff00000
	s_waitcnt lgkmcnt(0)
	v_cmp_neq_f64_e32 vcc, 0, v[4:5]
	v_cndmask_b32_e32 v5, v9, v5, vcc
	s_nor_b64 s[4:5], vcc, s[0:1]
	v_cndmask_b32_e32 v4, 0, v4, vcc
	s_and_saveexec_b64 s[2:3], s[4:5]
	s_cbranch_execz .LBB28_81
; %bb.78:
	v_mbcnt_lo_u32_b32 v4, exec_lo, 0
	v_mbcnt_hi_u32_b32 v4, exec_hi, v4
	v_cmp_eq_u32_e32 vcc, 0, v4
	s_and_saveexec_b64 s[4:5], vcc
	s_cbranch_execz .LBB28_80
; %bb.79:
	v_mov_b32_e32 v4, 0
	v_mov_b32_e32 v5, s16
	global_atomic_smin v4, v5, s[14:15]
.LBB28_80:
	s_or_b64 exec, exec, s[4:5]
	v_mov_b32_e32 v4, 0
	v_mov_b32_e32 v5, 0x3ff00000
.LBB28_81:
	s_or_b64 exec, exec, s[2:3]
	v_cmp_lt_u32_e32 vcc, 1, v1
	s_and_saveexec_b64 s[2:3], vcc
	s_cbranch_execz .LBB28_83
; %bb.82:
	ds_read_b64 v[13:14], v7 offset:8
	ds_read_b64 v[15:16], v11 offset:8
	s_waitcnt lgkmcnt(0)
	v_add_f64 v[13:14], v[13:14], -v[15:16]
	v_div_scale_f64 v[15:16], s[4:5], v[4:5], v[4:5], v[13:14]
	v_rcp_f64_e32 v[17:18], v[15:16]
	v_fma_f64 v[19:20], -v[15:16], v[17:18], 1.0
	v_fma_f64 v[17:18], v[17:18], v[19:20], v[17:18]
	v_div_scale_f64 v[19:20], vcc, v[13:14], v[4:5], v[13:14]
	v_fma_f64 v[21:22], -v[15:16], v[17:18], 1.0
	v_fma_f64 v[17:18], v[17:18], v[21:22], v[17:18]
	v_mul_f64 v[21:22], v[19:20], v[17:18]
	v_fma_f64 v[15:16], -v[15:16], v[21:22], v[19:20]
	v_div_fmas_f64 v[15:16], v[15:16], v[17:18], v[21:22]
	v_div_fixup_f64 v[4:5], v[15:16], v[4:5], v[13:14]
	ds_write_b64 v7, v[4:5] offset:8
	s_waitcnt lgkmcnt(0)
	ds_read_b64 v[13:14], v8 offset:8
	ds_read_b64 v[15:16], v10
	s_waitcnt lgkmcnt(0)
	v_fma_f64 v[4:5], v[4:5], v[13:14], v[15:16]
	ds_write_b64 v10, v[4:5]
.LBB28_83:
	s_or_b64 exec, exec, s[2:3]
	v_cmp_eq_u32_e32 vcc, 2, v1
	s_waitcnt lgkmcnt(0)
	s_and_saveexec_b64 s[2:3], vcc
	s_cbranch_execz .LBB28_85
; %bb.84:
	v_mov_b32_e32 v9, 0
	ds_read2_b64 v[13:16], v9 offset0:164 offset1:236
	s_mov_b32 s4, 0
	s_brev_b32 s5, 8
	s_waitcnt lgkmcnt(0)
	v_add_f64 v[4:5], v[13:14], -v[15:16]
	v_cmp_gt_f64_e32 vcc, 0, v[4:5]
	v_xor_b32_e32 v13, 0x80000000, v5
	v_cndmask_b32_e32 v5, v5, v13, vcc
	v_cmp_gt_f64_e32 vcc, s[4:5], v[4:5]
	s_and_b64 s[4:5], vcc, exec
	s_cselect_b32 s4, 0x100, 0
	v_ldexp_f64 v[4:5], v[4:5], s4
	s_cselect_b32 s4, 0xffffff80, 0
	v_rsq_f64_e32 v[13:14], v[4:5]
	v_mul_f64 v[15:16], v[4:5], v[13:14]
	v_mul_f64 v[13:14], v[13:14], 0.5
	v_fma_f64 v[17:18], -v[13:14], v[15:16], 0.5
	v_fma_f64 v[15:16], v[15:16], v[17:18], v[15:16]
	v_fma_f64 v[13:14], v[13:14], v[17:18], v[13:14]
	v_fma_f64 v[17:18], -v[15:16], v[15:16], v[4:5]
	v_fma_f64 v[15:16], v[17:18], v[13:14], v[15:16]
	v_fma_f64 v[17:18], -v[15:16], v[15:16], v[4:5]
	v_fma_f64 v[13:14], v[17:18], v[13:14], v[15:16]
	v_mov_b32_e32 v15, 0x260
	v_cmp_class_f64_e32 vcc, v[4:5], v15
	v_ldexp_f64 v[13:14], v[13:14], s4
	v_cndmask_b32_e32 v5, v14, v5, vcc
	v_cndmask_b32_e32 v4, v13, v4, vcc
	ds_write_b64 v9, v[4:5] offset:1312
.LBB28_85:
	s_or_b64 exec, exec, s[2:3]
	v_mov_b32_e32 v4, 0
	s_waitcnt lgkmcnt(0)
	ds_read_b64 v[4:5], v4 offset:1312
	v_mov_b32_e32 v9, 0x3ff00000
	s_waitcnt lgkmcnt(0)
	v_cmp_neq_f64_e32 vcc, 0, v[4:5]
	v_cndmask_b32_e32 v5, v9, v5, vcc
	s_nor_b64 s[4:5], vcc, s[0:1]
	v_cndmask_b32_e32 v4, 0, v4, vcc
	s_and_saveexec_b64 s[2:3], s[4:5]
	s_cbranch_execz .LBB28_89
; %bb.86:
	v_mbcnt_lo_u32_b32 v4, exec_lo, 0
	v_mbcnt_hi_u32_b32 v4, exec_hi, v4
	v_cmp_eq_u32_e32 vcc, 0, v4
	s_and_saveexec_b64 s[4:5], vcc
	s_cbranch_execz .LBB28_88
; %bb.87:
	v_mov_b32_e32 v4, 0
	v_mov_b32_e32 v5, s16
	global_atomic_smin v4, v5, s[14:15]
.LBB28_88:
	s_or_b64 exec, exec, s[4:5]
	v_mov_b32_e32 v4, 0
	v_mov_b32_e32 v5, 0x3ff00000
.LBB28_89:
	s_or_b64 exec, exec, s[2:3]
	v_cmp_lt_u32_e32 vcc, 2, v1
	s_and_saveexec_b64 s[2:3], vcc
	s_cbranch_execz .LBB28_91
; %bb.90:
	ds_read_b64 v[13:14], v7 offset:16
	ds_read_b64 v[15:16], v11 offset:16
	s_waitcnt lgkmcnt(0)
	v_add_f64 v[13:14], v[13:14], -v[15:16]
	v_div_scale_f64 v[15:16], s[4:5], v[4:5], v[4:5], v[13:14]
	v_rcp_f64_e32 v[17:18], v[15:16]
	v_fma_f64 v[19:20], -v[15:16], v[17:18], 1.0
	v_fma_f64 v[17:18], v[17:18], v[19:20], v[17:18]
	v_div_scale_f64 v[19:20], vcc, v[13:14], v[4:5], v[13:14]
	v_fma_f64 v[21:22], -v[15:16], v[17:18], 1.0
	v_fma_f64 v[17:18], v[17:18], v[21:22], v[17:18]
	v_mul_f64 v[21:22], v[19:20], v[17:18]
	v_fma_f64 v[15:16], -v[15:16], v[21:22], v[19:20]
	v_div_fmas_f64 v[15:16], v[15:16], v[17:18], v[21:22]
	v_div_fixup_f64 v[4:5], v[15:16], v[4:5], v[13:14]
	ds_write_b64 v7, v[4:5] offset:16
	s_waitcnt lgkmcnt(0)
	ds_read_b64 v[13:14], v8 offset:16
	ds_read_b64 v[15:16], v10
	s_waitcnt lgkmcnt(0)
	v_fma_f64 v[4:5], v[4:5], v[13:14], v[15:16]
	ds_write_b64 v10, v[4:5]
.LBB28_91:
	s_or_b64 exec, exec, s[2:3]
	v_cmp_eq_u32_e32 vcc, 3, v1
	s_waitcnt lgkmcnt(0)
	s_and_saveexec_b64 s[2:3], vcc
	s_cbranch_execz .LBB28_93
; %bb.92:
	v_mov_b32_e32 v9, 0
	ds_read2_b64 v[13:16], v9 offset0:174 offset1:246
	s_mov_b32 s4, 0
	s_brev_b32 s5, 8
	s_waitcnt lgkmcnt(0)
	v_add_f64 v[4:5], v[13:14], -v[15:16]
	v_cmp_gt_f64_e32 vcc, 0, v[4:5]
	v_xor_b32_e32 v13, 0x80000000, v5
	v_cndmask_b32_e32 v5, v5, v13, vcc
	v_cmp_gt_f64_e32 vcc, s[4:5], v[4:5]
	s_and_b64 s[4:5], vcc, exec
	s_cselect_b32 s4, 0x100, 0
	v_ldexp_f64 v[4:5], v[4:5], s4
	s_cselect_b32 s4, 0xffffff80, 0
	v_rsq_f64_e32 v[13:14], v[4:5]
	v_mul_f64 v[15:16], v[4:5], v[13:14]
	v_mul_f64 v[13:14], v[13:14], 0.5
	v_fma_f64 v[17:18], -v[13:14], v[15:16], 0.5
	v_fma_f64 v[15:16], v[15:16], v[17:18], v[15:16]
	v_fma_f64 v[13:14], v[13:14], v[17:18], v[13:14]
	v_fma_f64 v[17:18], -v[15:16], v[15:16], v[4:5]
	v_fma_f64 v[15:16], v[17:18], v[13:14], v[15:16]
	v_fma_f64 v[17:18], -v[15:16], v[15:16], v[4:5]
	v_fma_f64 v[13:14], v[17:18], v[13:14], v[15:16]
	v_mov_b32_e32 v15, 0x260
	v_cmp_class_f64_e32 vcc, v[4:5], v15
	v_ldexp_f64 v[13:14], v[13:14], s4
	v_cndmask_b32_e32 v5, v14, v5, vcc
	v_cndmask_b32_e32 v4, v13, v4, vcc
	ds_write_b64 v9, v[4:5] offset:1392
.LBB28_93:
	s_or_b64 exec, exec, s[2:3]
	v_mov_b32_e32 v4, 0
	s_waitcnt lgkmcnt(0)
	ds_read_b64 v[4:5], v4 offset:1392
	v_mov_b32_e32 v9, 0x3ff00000
	s_waitcnt lgkmcnt(0)
	v_cmp_neq_f64_e32 vcc, 0, v[4:5]
	v_cndmask_b32_e32 v5, v9, v5, vcc
	s_nor_b64 s[4:5], vcc, s[0:1]
	v_cndmask_b32_e32 v4, 0, v4, vcc
	s_and_saveexec_b64 s[2:3], s[4:5]
	s_cbranch_execz .LBB28_97
; %bb.94:
	v_mbcnt_lo_u32_b32 v4, exec_lo, 0
	v_mbcnt_hi_u32_b32 v4, exec_hi, v4
	v_cmp_eq_u32_e32 vcc, 0, v4
	s_and_saveexec_b64 s[4:5], vcc
	s_cbranch_execz .LBB28_96
; %bb.95:
	v_mov_b32_e32 v4, 0
	v_mov_b32_e32 v5, s16
	global_atomic_smin v4, v5, s[14:15]
.LBB28_96:
	s_or_b64 exec, exec, s[4:5]
	v_mov_b32_e32 v4, 0
	v_mov_b32_e32 v5, 0x3ff00000
.LBB28_97:
	s_or_b64 exec, exec, s[2:3]
	v_cmp_lt_u32_e32 vcc, 3, v1
	s_and_saveexec_b64 s[2:3], vcc
	s_cbranch_execz .LBB28_99
; %bb.98:
	ds_read_b64 v[13:14], v7 offset:24
	ds_read_b64 v[15:16], v11 offset:24
	s_waitcnt lgkmcnt(0)
	v_add_f64 v[13:14], v[13:14], -v[15:16]
	v_div_scale_f64 v[15:16], s[4:5], v[4:5], v[4:5], v[13:14]
	v_rcp_f64_e32 v[17:18], v[15:16]
	v_fma_f64 v[19:20], -v[15:16], v[17:18], 1.0
	v_fma_f64 v[17:18], v[17:18], v[19:20], v[17:18]
	v_div_scale_f64 v[19:20], vcc, v[13:14], v[4:5], v[13:14]
	v_fma_f64 v[21:22], -v[15:16], v[17:18], 1.0
	v_fma_f64 v[17:18], v[17:18], v[21:22], v[17:18]
	v_mul_f64 v[21:22], v[19:20], v[17:18]
	v_fma_f64 v[15:16], -v[15:16], v[21:22], v[19:20]
	v_div_fmas_f64 v[15:16], v[15:16], v[17:18], v[21:22]
	v_div_fixup_f64 v[4:5], v[15:16], v[4:5], v[13:14]
	ds_write_b64 v7, v[4:5] offset:24
	s_waitcnt lgkmcnt(0)
	ds_read_b64 v[13:14], v8 offset:24
	ds_read_b64 v[15:16], v10
	s_waitcnt lgkmcnt(0)
	v_fma_f64 v[4:5], v[4:5], v[13:14], v[15:16]
	ds_write_b64 v10, v[4:5]
.LBB28_99:
	s_or_b64 exec, exec, s[2:3]
	v_cmp_eq_u32_e32 vcc, 4, v1
	s_waitcnt lgkmcnt(0)
	s_and_saveexec_b64 s[2:3], vcc
	s_cbranch_execz .LBB28_101
; %bb.100:
	s_movk_i32 s4, 0x400
	v_add_u32_e64 v4, s4, 0
	ds_read2_b64 v[13:16], v4 offset0:56 offset1:128
	s_mov_b32 s4, 0
	s_brev_b32 s5, 8
	s_waitcnt lgkmcnt(0)
	v_add_f64 v[4:5], v[13:14], -v[15:16]
	v_cmp_gt_f64_e32 vcc, 0, v[4:5]
	v_xor_b32_e32 v9, 0x80000000, v5
	v_cndmask_b32_e32 v5, v5, v9, vcc
	v_cmp_gt_f64_e32 vcc, s[4:5], v[4:5]
	v_mov_b32_e32 v9, 0x260
	s_and_b64 s[4:5], vcc, exec
	s_cselect_b32 s4, 0x100, 0
	v_ldexp_f64 v[4:5], v[4:5], s4
	s_cselect_b32 s4, 0xffffff80, 0
	v_rsq_f64_e32 v[13:14], v[4:5]
	v_cmp_class_f64_e32 vcc, v[4:5], v9
	v_mov_b32_e32 v9, 0
	v_mul_f64 v[15:16], v[4:5], v[13:14]
	v_mul_f64 v[13:14], v[13:14], 0.5
	v_fma_f64 v[17:18], -v[13:14], v[15:16], 0.5
	v_fma_f64 v[15:16], v[15:16], v[17:18], v[15:16]
	v_fma_f64 v[13:14], v[13:14], v[17:18], v[13:14]
	v_fma_f64 v[17:18], -v[15:16], v[15:16], v[4:5]
	v_fma_f64 v[15:16], v[17:18], v[13:14], v[15:16]
	v_fma_f64 v[17:18], -v[15:16], v[15:16], v[4:5]
	v_fma_f64 v[13:14], v[17:18], v[13:14], v[15:16]
	v_ldexp_f64 v[13:14], v[13:14], s4
	v_cndmask_b32_e32 v5, v14, v5, vcc
	v_cndmask_b32_e32 v4, v13, v4, vcc
	ds_write_b64 v9, v[4:5] offset:1472
.LBB28_101:
	s_or_b64 exec, exec, s[2:3]
	v_mov_b32_e32 v4, 0
	s_waitcnt lgkmcnt(0)
	ds_read_b64 v[4:5], v4 offset:1472
	v_mov_b32_e32 v9, 0x3ff00000
	s_waitcnt lgkmcnt(0)
	v_cmp_neq_f64_e32 vcc, 0, v[4:5]
	v_cndmask_b32_e32 v5, v9, v5, vcc
	s_nor_b64 s[4:5], vcc, s[0:1]
	v_cndmask_b32_e32 v4, 0, v4, vcc
	s_and_saveexec_b64 s[2:3], s[4:5]
	s_cbranch_execz .LBB28_105
; %bb.102:
	v_mbcnt_lo_u32_b32 v4, exec_lo, 0
	v_mbcnt_hi_u32_b32 v4, exec_hi, v4
	v_cmp_eq_u32_e32 vcc, 0, v4
	s_and_saveexec_b64 s[4:5], vcc
	s_cbranch_execz .LBB28_104
; %bb.103:
	v_mov_b32_e32 v4, 0
	v_mov_b32_e32 v5, s16
	global_atomic_smin v4, v5, s[14:15]
.LBB28_104:
	s_or_b64 exec, exec, s[4:5]
	v_mov_b32_e32 v4, 0
	v_mov_b32_e32 v5, 0x3ff00000
.LBB28_105:
	s_or_b64 exec, exec, s[2:3]
	v_cmp_lt_u32_e32 vcc, 4, v1
	s_and_saveexec_b64 s[2:3], vcc
	s_cbranch_execz .LBB28_107
; %bb.106:
	ds_read_b64 v[13:14], v7 offset:32
	ds_read_b64 v[15:16], v11 offset:32
	s_waitcnt lgkmcnt(0)
	v_add_f64 v[13:14], v[13:14], -v[15:16]
	v_div_scale_f64 v[15:16], s[4:5], v[4:5], v[4:5], v[13:14]
	v_rcp_f64_e32 v[17:18], v[15:16]
	v_fma_f64 v[19:20], -v[15:16], v[17:18], 1.0
	v_fma_f64 v[17:18], v[17:18], v[19:20], v[17:18]
	v_div_scale_f64 v[19:20], vcc, v[13:14], v[4:5], v[13:14]
	v_fma_f64 v[21:22], -v[15:16], v[17:18], 1.0
	v_fma_f64 v[17:18], v[17:18], v[21:22], v[17:18]
	v_mul_f64 v[21:22], v[19:20], v[17:18]
	v_fma_f64 v[15:16], -v[15:16], v[21:22], v[19:20]
	v_div_fmas_f64 v[15:16], v[15:16], v[17:18], v[21:22]
	v_div_fixup_f64 v[4:5], v[15:16], v[4:5], v[13:14]
	ds_write_b64 v7, v[4:5] offset:32
	s_waitcnt lgkmcnt(0)
	ds_read_b64 v[13:14], v8 offset:32
	ds_read_b64 v[15:16], v10
	s_waitcnt lgkmcnt(0)
	v_fma_f64 v[4:5], v[4:5], v[13:14], v[15:16]
	ds_write_b64 v10, v[4:5]
.LBB28_107:
	s_or_b64 exec, exec, s[2:3]
	v_cmp_eq_u32_e32 vcc, 5, v1
	s_waitcnt lgkmcnt(0)
	s_and_saveexec_b64 s[2:3], vcc
	s_cbranch_execz .LBB28_109
; %bb.108:
	s_movk_i32 s4, 0x400
	v_add_u32_e64 v4, s4, 0
	ds_read2_b64 v[13:16], v4 offset0:66 offset1:138
	s_mov_b32 s4, 0
	s_brev_b32 s5, 8
	s_waitcnt lgkmcnt(0)
	v_add_f64 v[4:5], v[13:14], -v[15:16]
	v_cmp_gt_f64_e32 vcc, 0, v[4:5]
	v_xor_b32_e32 v9, 0x80000000, v5
	v_cndmask_b32_e32 v5, v5, v9, vcc
	v_cmp_gt_f64_e32 vcc, s[4:5], v[4:5]
	v_mov_b32_e32 v9, 0x260
	s_and_b64 s[4:5], vcc, exec
	s_cselect_b32 s4, 0x100, 0
	v_ldexp_f64 v[4:5], v[4:5], s4
	s_cselect_b32 s4, 0xffffff80, 0
	v_rsq_f64_e32 v[13:14], v[4:5]
	v_cmp_class_f64_e32 vcc, v[4:5], v9
	v_mov_b32_e32 v9, 0
	v_mul_f64 v[15:16], v[4:5], v[13:14]
	v_mul_f64 v[13:14], v[13:14], 0.5
	v_fma_f64 v[17:18], -v[13:14], v[15:16], 0.5
	v_fma_f64 v[15:16], v[15:16], v[17:18], v[15:16]
	v_fma_f64 v[13:14], v[13:14], v[17:18], v[13:14]
	v_fma_f64 v[17:18], -v[15:16], v[15:16], v[4:5]
	v_fma_f64 v[15:16], v[17:18], v[13:14], v[15:16]
	v_fma_f64 v[17:18], -v[15:16], v[15:16], v[4:5]
	v_fma_f64 v[13:14], v[17:18], v[13:14], v[15:16]
	v_ldexp_f64 v[13:14], v[13:14], s4
	v_cndmask_b32_e32 v5, v14, v5, vcc
	v_cndmask_b32_e32 v4, v13, v4, vcc
	ds_write_b64 v9, v[4:5] offset:1552
.LBB28_109:
	s_or_b64 exec, exec, s[2:3]
	v_mov_b32_e32 v4, 0
	s_waitcnt lgkmcnt(0)
	ds_read_b64 v[4:5], v4 offset:1552
	v_mov_b32_e32 v9, 0x3ff00000
	s_waitcnt lgkmcnt(0)
	v_cmp_neq_f64_e32 vcc, 0, v[4:5]
	v_cndmask_b32_e32 v5, v9, v5, vcc
	s_nor_b64 s[4:5], vcc, s[0:1]
	v_cndmask_b32_e32 v4, 0, v4, vcc
	s_and_saveexec_b64 s[2:3], s[4:5]
	s_cbranch_execz .LBB28_113
; %bb.110:
	v_mbcnt_lo_u32_b32 v4, exec_lo, 0
	v_mbcnt_hi_u32_b32 v4, exec_hi, v4
	v_cmp_eq_u32_e32 vcc, 0, v4
	s_and_saveexec_b64 s[4:5], vcc
	s_cbranch_execz .LBB28_112
; %bb.111:
	v_mov_b32_e32 v4, 0
	v_mov_b32_e32 v5, s16
	global_atomic_smin v4, v5, s[14:15]
.LBB28_112:
	s_or_b64 exec, exec, s[4:5]
	v_mov_b32_e32 v4, 0
	v_mov_b32_e32 v5, 0x3ff00000
.LBB28_113:
	s_or_b64 exec, exec, s[2:3]
	v_cmp_lt_u32_e32 vcc, 5, v1
	s_and_saveexec_b64 s[2:3], vcc
	s_cbranch_execz .LBB28_115
; %bb.114:
	ds_read_b64 v[13:14], v7 offset:40
	ds_read_b64 v[15:16], v11 offset:40
	s_waitcnt lgkmcnt(0)
	v_add_f64 v[13:14], v[13:14], -v[15:16]
	v_div_scale_f64 v[15:16], s[4:5], v[4:5], v[4:5], v[13:14]
	v_rcp_f64_e32 v[17:18], v[15:16]
	v_fma_f64 v[19:20], -v[15:16], v[17:18], 1.0
	v_fma_f64 v[17:18], v[17:18], v[19:20], v[17:18]
	v_div_scale_f64 v[19:20], vcc, v[13:14], v[4:5], v[13:14]
	v_fma_f64 v[21:22], -v[15:16], v[17:18], 1.0
	v_fma_f64 v[17:18], v[17:18], v[21:22], v[17:18]
	v_mul_f64 v[21:22], v[19:20], v[17:18]
	v_fma_f64 v[15:16], -v[15:16], v[21:22], v[19:20]
	v_div_fmas_f64 v[15:16], v[15:16], v[17:18], v[21:22]
	v_div_fixup_f64 v[4:5], v[15:16], v[4:5], v[13:14]
	ds_write_b64 v7, v[4:5] offset:40
	s_waitcnt lgkmcnt(0)
	ds_read_b64 v[13:14], v8 offset:40
	ds_read_b64 v[15:16], v10
	s_waitcnt lgkmcnt(0)
	v_fma_f64 v[4:5], v[4:5], v[13:14], v[15:16]
	ds_write_b64 v10, v[4:5]
.LBB28_115:
	s_or_b64 exec, exec, s[2:3]
	v_cmp_eq_u32_e32 vcc, 6, v1
	s_waitcnt lgkmcnt(0)
	s_and_saveexec_b64 s[2:3], vcc
	s_cbranch_execz .LBB28_117
; %bb.116:
	s_movk_i32 s4, 0x400
	v_add_u32_e64 v4, s4, 0
	ds_read2_b64 v[13:16], v4 offset0:76 offset1:148
	s_mov_b32 s4, 0
	s_brev_b32 s5, 8
	s_waitcnt lgkmcnt(0)
	v_add_f64 v[4:5], v[13:14], -v[15:16]
	v_cmp_gt_f64_e32 vcc, 0, v[4:5]
	v_xor_b32_e32 v9, 0x80000000, v5
	v_cndmask_b32_e32 v5, v5, v9, vcc
	v_cmp_gt_f64_e32 vcc, s[4:5], v[4:5]
	v_mov_b32_e32 v9, 0x260
	s_and_b64 s[4:5], vcc, exec
	s_cselect_b32 s4, 0x100, 0
	v_ldexp_f64 v[4:5], v[4:5], s4
	s_cselect_b32 s4, 0xffffff80, 0
	v_rsq_f64_e32 v[13:14], v[4:5]
	v_cmp_class_f64_e32 vcc, v[4:5], v9
	v_mov_b32_e32 v9, 0
	v_mul_f64 v[15:16], v[4:5], v[13:14]
	v_mul_f64 v[13:14], v[13:14], 0.5
	v_fma_f64 v[17:18], -v[13:14], v[15:16], 0.5
	v_fma_f64 v[15:16], v[15:16], v[17:18], v[15:16]
	v_fma_f64 v[13:14], v[13:14], v[17:18], v[13:14]
	v_fma_f64 v[17:18], -v[15:16], v[15:16], v[4:5]
	v_fma_f64 v[15:16], v[17:18], v[13:14], v[15:16]
	v_fma_f64 v[17:18], -v[15:16], v[15:16], v[4:5]
	v_fma_f64 v[13:14], v[17:18], v[13:14], v[15:16]
	v_ldexp_f64 v[13:14], v[13:14], s4
	v_cndmask_b32_e32 v5, v14, v5, vcc
	v_cndmask_b32_e32 v4, v13, v4, vcc
	ds_write_b64 v9, v[4:5] offset:1632
.LBB28_117:
	s_or_b64 exec, exec, s[2:3]
	v_mov_b32_e32 v4, 0
	s_waitcnt lgkmcnt(0)
	ds_read_b64 v[4:5], v4 offset:1632
	v_mov_b32_e32 v9, 0x3ff00000
	s_waitcnt lgkmcnt(0)
	v_cmp_neq_f64_e32 vcc, 0, v[4:5]
	v_cndmask_b32_e32 v5, v9, v5, vcc
	s_nor_b64 s[4:5], vcc, s[0:1]
	v_cndmask_b32_e32 v4, 0, v4, vcc
	s_and_saveexec_b64 s[2:3], s[4:5]
	s_cbranch_execz .LBB28_121
; %bb.118:
	v_mbcnt_lo_u32_b32 v4, exec_lo, 0
	v_mbcnt_hi_u32_b32 v4, exec_hi, v4
	v_cmp_eq_u32_e32 vcc, 0, v4
	s_and_saveexec_b64 s[4:5], vcc
	s_cbranch_execz .LBB28_120
; %bb.119:
	v_mov_b32_e32 v4, 0
	v_mov_b32_e32 v5, s16
	global_atomic_smin v4, v5, s[14:15]
.LBB28_120:
	s_or_b64 exec, exec, s[4:5]
	v_mov_b32_e32 v4, 0
	v_mov_b32_e32 v5, 0x3ff00000
.LBB28_121:
	s_or_b64 exec, exec, s[2:3]
	v_cmp_lt_u32_e32 vcc, 6, v1
	s_and_saveexec_b64 s[2:3], vcc
	s_cbranch_execz .LBB28_123
; %bb.122:
	ds_read_b64 v[13:14], v7 offset:48
	ds_read_b64 v[15:16], v11 offset:48
	s_waitcnt lgkmcnt(0)
	v_add_f64 v[13:14], v[13:14], -v[15:16]
	v_div_scale_f64 v[15:16], s[4:5], v[4:5], v[4:5], v[13:14]
	v_rcp_f64_e32 v[17:18], v[15:16]
	v_fma_f64 v[19:20], -v[15:16], v[17:18], 1.0
	v_fma_f64 v[17:18], v[17:18], v[19:20], v[17:18]
	v_div_scale_f64 v[19:20], vcc, v[13:14], v[4:5], v[13:14]
	v_fma_f64 v[21:22], -v[15:16], v[17:18], 1.0
	v_fma_f64 v[17:18], v[17:18], v[21:22], v[17:18]
	v_mul_f64 v[21:22], v[19:20], v[17:18]
	v_fma_f64 v[15:16], -v[15:16], v[21:22], v[19:20]
	v_div_fmas_f64 v[15:16], v[15:16], v[17:18], v[21:22]
	v_div_fixup_f64 v[4:5], v[15:16], v[4:5], v[13:14]
	ds_write_b64 v7, v[4:5] offset:48
	s_waitcnt lgkmcnt(0)
	ds_read_b64 v[13:14], v8 offset:48
	ds_read_b64 v[15:16], v10
	s_waitcnt lgkmcnt(0)
	v_fma_f64 v[4:5], v[4:5], v[13:14], v[15:16]
	ds_write_b64 v10, v[4:5]
.LBB28_123:
	s_or_b64 exec, exec, s[2:3]
	v_cmp_eq_u32_e32 vcc, 7, v1
	s_waitcnt lgkmcnt(0)
	s_and_saveexec_b64 s[2:3], vcc
	s_cbranch_execz .LBB28_125
; %bb.124:
	s_movk_i32 s4, 0x400
	v_add_u32_e64 v4, s4, 0
	ds_read2_b64 v[13:16], v4 offset0:86 offset1:158
	s_mov_b32 s4, 0
	s_brev_b32 s5, 8
	s_waitcnt lgkmcnt(0)
	v_add_f64 v[4:5], v[13:14], -v[15:16]
	v_cmp_gt_f64_e32 vcc, 0, v[4:5]
	v_xor_b32_e32 v9, 0x80000000, v5
	v_cndmask_b32_e32 v5, v5, v9, vcc
	v_cmp_gt_f64_e32 vcc, s[4:5], v[4:5]
	v_mov_b32_e32 v9, 0x260
	s_and_b64 s[4:5], vcc, exec
	s_cselect_b32 s4, 0x100, 0
	v_ldexp_f64 v[4:5], v[4:5], s4
	s_cselect_b32 s4, 0xffffff80, 0
	v_rsq_f64_e32 v[13:14], v[4:5]
	v_cmp_class_f64_e32 vcc, v[4:5], v9
	v_mov_b32_e32 v9, 0
	v_mul_f64 v[15:16], v[4:5], v[13:14]
	v_mul_f64 v[13:14], v[13:14], 0.5
	v_fma_f64 v[17:18], -v[13:14], v[15:16], 0.5
	v_fma_f64 v[15:16], v[15:16], v[17:18], v[15:16]
	v_fma_f64 v[13:14], v[13:14], v[17:18], v[13:14]
	v_fma_f64 v[17:18], -v[15:16], v[15:16], v[4:5]
	v_fma_f64 v[15:16], v[17:18], v[13:14], v[15:16]
	v_fma_f64 v[17:18], -v[15:16], v[15:16], v[4:5]
	v_fma_f64 v[13:14], v[17:18], v[13:14], v[15:16]
	v_ldexp_f64 v[13:14], v[13:14], s4
	v_cndmask_b32_e32 v5, v14, v5, vcc
	v_cndmask_b32_e32 v4, v13, v4, vcc
	ds_write_b64 v9, v[4:5] offset:1712
.LBB28_125:
	s_or_b64 exec, exec, s[2:3]
	v_mov_b32_e32 v4, 0
	s_waitcnt lgkmcnt(0)
	ds_read_b64 v[4:5], v4 offset:1712
	v_mov_b32_e32 v9, 0x3ff00000
	s_waitcnt lgkmcnt(0)
	v_cmp_neq_f64_e32 vcc, 0, v[4:5]
	v_cndmask_b32_e32 v5, v9, v5, vcc
	s_nor_b64 s[2:3], vcc, s[0:1]
	v_cndmask_b32_e32 v4, 0, v4, vcc
	s_and_saveexec_b64 s[0:1], s[2:3]
	s_cbranch_execz .LBB28_129
; %bb.126:
	v_mbcnt_lo_u32_b32 v4, exec_lo, 0
	v_mbcnt_hi_u32_b32 v4, exec_hi, v4
	v_cmp_eq_u32_e32 vcc, 0, v4
	s_and_saveexec_b64 s[2:3], vcc
	s_cbranch_execz .LBB28_128
; %bb.127:
	v_mov_b32_e32 v4, 0
	v_mov_b32_e32 v5, s16
	global_atomic_smin v4, v5, s[14:15]
.LBB28_128:
	s_or_b64 exec, exec, s[2:3]
	v_mov_b32_e32 v4, 0
	v_mov_b32_e32 v5, 0x3ff00000
.LBB28_129:
	s_or_b64 exec, exec, s[0:1]
	v_cmp_lt_u32_e32 vcc, 7, v1
	s_and_saveexec_b64 s[0:1], vcc
	s_cbranch_execz .LBB28_131
; %bb.130:
	ds_read_b64 v[13:14], v7 offset:56
	ds_read_b64 v[15:16], v11 offset:56
	s_waitcnt lgkmcnt(0)
	v_add_f64 v[13:14], v[13:14], -v[15:16]
	v_div_scale_f64 v[15:16], s[2:3], v[4:5], v[4:5], v[13:14]
	v_rcp_f64_e32 v[17:18], v[15:16]
	v_fma_f64 v[19:20], -v[15:16], v[17:18], 1.0
	v_fma_f64 v[17:18], v[17:18], v[19:20], v[17:18]
	v_div_scale_f64 v[19:20], vcc, v[13:14], v[4:5], v[13:14]
	v_fma_f64 v[21:22], -v[15:16], v[17:18], 1.0
	v_fma_f64 v[17:18], v[17:18], v[21:22], v[17:18]
	v_mul_f64 v[21:22], v[19:20], v[17:18]
	v_fma_f64 v[15:16], -v[15:16], v[21:22], v[19:20]
	v_div_fmas_f64 v[15:16], v[15:16], v[17:18], v[21:22]
	v_div_fixup_f64 v[4:5], v[15:16], v[4:5], v[13:14]
	ds_write_b64 v7, v[4:5] offset:56
	s_waitcnt lgkmcnt(0)
	ds_read_b64 v[7:8], v8 offset:56
	ds_read_b64 v[13:14], v10
	s_waitcnt lgkmcnt(0)
	v_fma_f64 v[4:5], v[4:5], v[7:8], v[13:14]
	ds_write_b64 v10, v[4:5]
.LBB28_131:
	s_or_b64 exec, exec, s[0:1]
	s_waitcnt lgkmcnt(0)
	ds_read_b64 v[4:5], v6
	v_cmp_eq_u32_e32 vcc, 0, v12
	s_waitcnt lgkmcnt(0)
	global_store_dwordx2 v[2:3], v[4:5], off
	s_and_saveexec_b64 s[0:1], vcc
	s_cbranch_execz .LBB28_133
; %bb.132:
	s_add_u32 s2, s10, s6
	s_addc_u32 s3, s11, s7
	v_mov_b32_e32 v2, 0
	v_mov_b32_e32 v3, 1
	s_waitcnt vmcnt(0)
	global_store_dword v2, v3, s[2:3]
.LBB28_133:
	s_or_b64 exec, exec, s[0:1]
	s_branch .LBB28_7
.LBB28_134:
	v_or_b32_e32 v0, v0, v1
	v_cmp_eq_u32_e32 vcc, 0, v0
	s_and_saveexec_b64 s[0:1], vcc
	s_cbranch_execz .LBB28_7
; %bb.135:
	v_mbcnt_lo_u32_b32 v0, exec_lo, 0
	v_mbcnt_hi_u32_b32 v0, exec_hi, v0
	v_cmp_eq_u32_e32 vcc, 0, v0
	s_and_saveexec_b64 s[0:1], vcc
	s_cbranch_execz .LBB28_137
; %bb.136:
	s_add_i32 s2, s12, s13
	v_mov_b32_e32 v0, 0
	v_mov_b32_e32 v1, s2
	global_atomic_smin v0, v1, s[14:15]
.LBB28_137:
	s_or_b64 exec, exec, s[0:1]
	s_add_u32 s0, s10, s6
	s_addc_u32 s1, s11, s7
	v_mov_b32_e32 v0, 0
	v_mov_b32_e32 v1, 1
	s_waitcnt vmcnt(0)
	global_store_dword v0, v1, s[0:1]
	s_endpgm
	.section	.rodata,"a",@progbits
	.p2align	6, 0x0
	.amdhsa_kernel _ZN9rocsparseL26bsric0_2_8_unrolled_kernelILi64ELi32ELi8EdEEv20rocsparse_direction_iiPKiS3_PT2_S3_PiS3_S6_21rocsparse_index_base_
		.amdhsa_group_segment_fixed_size 2688
		.amdhsa_private_segment_fixed_size 0
		.amdhsa_kernarg_size 76
		.amdhsa_user_sgpr_count 6
		.amdhsa_user_sgpr_private_segment_buffer 1
		.amdhsa_user_sgpr_dispatch_ptr 0
		.amdhsa_user_sgpr_queue_ptr 0
		.amdhsa_user_sgpr_kernarg_segment_ptr 1
		.amdhsa_user_sgpr_dispatch_id 0
		.amdhsa_user_sgpr_flat_scratch_init 0
		.amdhsa_user_sgpr_private_segment_size 0
		.amdhsa_uses_dynamic_stack 0
		.amdhsa_system_sgpr_private_segment_wavefront_offset 0
		.amdhsa_system_sgpr_workgroup_id_x 1
		.amdhsa_system_sgpr_workgroup_id_y 0
		.amdhsa_system_sgpr_workgroup_id_z 0
		.amdhsa_system_sgpr_workgroup_info 0
		.amdhsa_system_vgpr_workitem_id 1
		.amdhsa_next_free_vgpr 61
		.amdhsa_next_free_sgpr 93
		.amdhsa_reserve_vcc 1
		.amdhsa_reserve_flat_scratch 0
		.amdhsa_float_round_mode_32 0
		.amdhsa_float_round_mode_16_64 0
		.amdhsa_float_denorm_mode_32 3
		.amdhsa_float_denorm_mode_16_64 3
		.amdhsa_dx10_clamp 1
		.amdhsa_ieee_mode 1
		.amdhsa_fp16_overflow 0
		.amdhsa_exception_fp_ieee_invalid_op 0
		.amdhsa_exception_fp_denorm_src 0
		.amdhsa_exception_fp_ieee_div_zero 0
		.amdhsa_exception_fp_ieee_overflow 0
		.amdhsa_exception_fp_ieee_underflow 0
		.amdhsa_exception_fp_ieee_inexact 0
		.amdhsa_exception_int_div_zero 0
	.end_amdhsa_kernel
	.section	.text._ZN9rocsparseL26bsric0_2_8_unrolled_kernelILi64ELi32ELi8EdEEv20rocsparse_direction_iiPKiS3_PT2_S3_PiS3_S6_21rocsparse_index_base_,"axG",@progbits,_ZN9rocsparseL26bsric0_2_8_unrolled_kernelILi64ELi32ELi8EdEEv20rocsparse_direction_iiPKiS3_PT2_S3_PiS3_S6_21rocsparse_index_base_,comdat
.Lfunc_end28:
	.size	_ZN9rocsparseL26bsric0_2_8_unrolled_kernelILi64ELi32ELi8EdEEv20rocsparse_direction_iiPKiS3_PT2_S3_PiS3_S6_21rocsparse_index_base_, .Lfunc_end28-_ZN9rocsparseL26bsric0_2_8_unrolled_kernelILi64ELi32ELi8EdEEv20rocsparse_direction_iiPKiS3_PT2_S3_PiS3_S6_21rocsparse_index_base_
                                        ; -- End function
	.set _ZN9rocsparseL26bsric0_2_8_unrolled_kernelILi64ELi32ELi8EdEEv20rocsparse_direction_iiPKiS3_PT2_S3_PiS3_S6_21rocsparse_index_base_.num_vgpr, 61
	.set _ZN9rocsparseL26bsric0_2_8_unrolled_kernelILi64ELi32ELi8EdEEv20rocsparse_direction_iiPKiS3_PT2_S3_PiS3_S6_21rocsparse_index_base_.num_agpr, 0
	.set _ZN9rocsparseL26bsric0_2_8_unrolled_kernelILi64ELi32ELi8EdEEv20rocsparse_direction_iiPKiS3_PT2_S3_PiS3_S6_21rocsparse_index_base_.numbered_sgpr, 40
	.set _ZN9rocsparseL26bsric0_2_8_unrolled_kernelILi64ELi32ELi8EdEEv20rocsparse_direction_iiPKiS3_PT2_S3_PiS3_S6_21rocsparse_index_base_.num_named_barrier, 0
	.set _ZN9rocsparseL26bsric0_2_8_unrolled_kernelILi64ELi32ELi8EdEEv20rocsparse_direction_iiPKiS3_PT2_S3_PiS3_S6_21rocsparse_index_base_.private_seg_size, 0
	.set _ZN9rocsparseL26bsric0_2_8_unrolled_kernelILi64ELi32ELi8EdEEv20rocsparse_direction_iiPKiS3_PT2_S3_PiS3_S6_21rocsparse_index_base_.uses_vcc, 1
	.set _ZN9rocsparseL26bsric0_2_8_unrolled_kernelILi64ELi32ELi8EdEEv20rocsparse_direction_iiPKiS3_PT2_S3_PiS3_S6_21rocsparse_index_base_.uses_flat_scratch, 0
	.set _ZN9rocsparseL26bsric0_2_8_unrolled_kernelILi64ELi32ELi8EdEEv20rocsparse_direction_iiPKiS3_PT2_S3_PiS3_S6_21rocsparse_index_base_.has_dyn_sized_stack, 0
	.set _ZN9rocsparseL26bsric0_2_8_unrolled_kernelILi64ELi32ELi8EdEEv20rocsparse_direction_iiPKiS3_PT2_S3_PiS3_S6_21rocsparse_index_base_.has_recursion, 0
	.set _ZN9rocsparseL26bsric0_2_8_unrolled_kernelILi64ELi32ELi8EdEEv20rocsparse_direction_iiPKiS3_PT2_S3_PiS3_S6_21rocsparse_index_base_.has_indirect_call, 0
	.section	.AMDGPU.csdata,"",@progbits
; Kernel info:
; codeLenInByte = 9036
; TotalNumSgprs: 44
; NumVgprs: 61
; ScratchSize: 0
; MemoryBound: 1
; FloatMode: 240
; IeeeMode: 1
; LDSByteSize: 2688 bytes/workgroup (compile time only)
; SGPRBlocks: 12
; VGPRBlocks: 15
; NumSGPRsForWavesPerEU: 97
; NumVGPRsForWavesPerEU: 61
; Occupancy: 4
; WaveLimiterHint : 1
; COMPUTE_PGM_RSRC2:SCRATCH_EN: 0
; COMPUTE_PGM_RSRC2:USER_SGPR: 6
; COMPUTE_PGM_RSRC2:TRAP_HANDLER: 0
; COMPUTE_PGM_RSRC2:TGID_X_EN: 1
; COMPUTE_PGM_RSRC2:TGID_Y_EN: 0
; COMPUTE_PGM_RSRC2:TGID_Z_EN: 0
; COMPUTE_PGM_RSRC2:TIDIG_COMP_CNT: 1
	.section	.text._ZN9rocsparseL18bsric0_9_16_kernelILi64ELi32ELi16EdEEv20rocsparse_direction_iiPKiS3_PT2_S3_PiS3_S6_21rocsparse_index_base_,"axG",@progbits,_ZN9rocsparseL18bsric0_9_16_kernelILi64ELi32ELi16EdEEv20rocsparse_direction_iiPKiS3_PT2_S3_PiS3_S6_21rocsparse_index_base_,comdat
	.globl	_ZN9rocsparseL18bsric0_9_16_kernelILi64ELi32ELi16EdEEv20rocsparse_direction_iiPKiS3_PT2_S3_PiS3_S6_21rocsparse_index_base_ ; -- Begin function _ZN9rocsparseL18bsric0_9_16_kernelILi64ELi32ELi16EdEEv20rocsparse_direction_iiPKiS3_PT2_S3_PiS3_S6_21rocsparse_index_base_
	.p2align	8
	.type	_ZN9rocsparseL18bsric0_9_16_kernelILi64ELi32ELi16EdEEv20rocsparse_direction_iiPKiS3_PT2_S3_PiS3_S6_21rocsparse_index_base_,@function
_ZN9rocsparseL18bsric0_9_16_kernelILi64ELi32ELi16EdEEv20rocsparse_direction_iiPKiS3_PT2_S3_PiS3_S6_21rocsparse_index_base_: ; @_ZN9rocsparseL18bsric0_9_16_kernelILi64ELi32ELi16EdEEv20rocsparse_direction_iiPKiS3_PT2_S3_PiS3_S6_21rocsparse_index_base_
; %bb.0:
	s_load_dwordx8 s[8:15], s[4:5], 0x28
	s_mov_b32 s7, 0
	s_lshl_b64 s[0:1], s[6:7], 2
	s_waitcnt lgkmcnt(0)
	s_add_u32 s0, s12, s0
	s_addc_u32 s1, s13, s1
	s_load_dword s12, s[0:1], 0x0
	s_waitcnt lgkmcnt(0)
	s_ashr_i32 s13, s12, 31
	s_lshl_b64 s[6:7], s[12:13], 2
	s_add_u32 s0, s8, s6
	s_addc_u32 s1, s9, s7
	s_load_dword s33, s[0:1], 0x0
	s_load_dword s13, s[4:5], 0x48
	s_waitcnt lgkmcnt(0)
	s_cmp_lg_u32 s33, -1
	s_cbranch_scc0 .LBB29_128
; %bb.1:
	s_load_dwordx4 s[16:19], s[4:5], 0x10
	s_load_dwordx2 s[20:21], s[4:5], 0x20
	v_lshlrev_b32_e32 v2, 2, v1
	s_waitcnt lgkmcnt(0)
	s_add_u32 s0, s16, s6
	s_addc_u32 s1, s17, s7
	s_load_dword s0, s[0:1], 0x0
	s_waitcnt lgkmcnt(0)
	s_sub_i32 s46, s0, s13
	v_add3_u32 v2, v2, v0, s46
	v_cmp_ge_i32_e32 vcc, s33, v2
	s_and_saveexec_b64 s[0:1], vcc
	s_cbranch_execz .LBB29_4
; %bb.2:
	v_lshlrev_b32_e32 v3, 4, v1
	v_lshlrev_b32_e32 v4, 2, v0
	s_movk_i32 s2, 0x2300
	v_add3_u32 v4, v3, v4, s2
	s_mov_b64 s[2:3], 0
	v_mov_b32_e32 v5, s19
.LBB29_3:                               ; =>This Inner Loop Header: Depth=1
	v_ashrrev_i32_e32 v3, 31, v2
	v_lshlrev_b64 v[6:7], 2, v[2:3]
	v_add_u32_e32 v2, 64, v2
	v_add_co_u32_e32 v6, vcc, s18, v6
	v_addc_co_u32_e32 v7, vcc, v5, v7, vcc
	global_load_dword v3, v[6:7], off
	v_cmp_lt_i32_e32 vcc, s33, v2
	s_or_b64 s[2:3], vcc, s[2:3]
	s_waitcnt vmcnt(0)
	v_subrev_u32_e32 v3, s13, v3
	ds_write_b32 v4, v3
	v_add_u32_e32 v4, 0x100, v4
	s_andn2_b64 exec, exec, s[2:3]
	s_cbranch_execnz .LBB29_3
.LBB29_4:
	s_or_b64 exec, exec, s[0:1]
	v_cmp_gt_u32_e32 vcc, 16, v0
	v_lshlrev_b32_e32 v13, 3, v0
	s_and_saveexec_b64 s[0:1], vcc
	s_cbranch_execz .LBB29_7
; %bb.5:
	v_mul_u32_u24_e32 v2, 0x88, v1
	s_movk_i32 s2, 0x1980
	v_add3_u32 v5, v2, v13, s2
	v_mov_b32_e32 v2, 0
	v_add_u32_e32 v4, -4, v0
	s_mov_b64 s[2:3], 0
	v_mov_b32_e32 v3, v2
.LBB29_6:                               ; =>This Inner Loop Header: Depth=1
	v_add_u32_e32 v4, 4, v4
	v_cmp_lt_u32_e32 vcc, 11, v4
	ds_write_b64 v5, v[2:3]
	s_or_b64 s[2:3], vcc, s[2:3]
	v_add_u32_e32 v5, 32, v5
	s_andn2_b64 exec, exec, s[2:3]
	s_cbranch_execnz .LBB29_6
.LBB29_7:
	s_or_b64 exec, exec, s[0:1]
	s_load_dword s44, s[4:5], 0x8
	s_load_dword s45, s[4:5], 0x0
	s_cmp_ge_i32 s46, s33
	s_waitcnt lgkmcnt(0)
	v_cmp_gt_i32_e64 s[0:1], s44, v0
	s_cbranch_scc1 .LBB29_89
; %bb.8:
	s_movk_i32 s26, 0x88
	v_mov_b32_e32 v3, 0x880
	v_mad_u32_u24 v15, v1, s26, v3
	v_or_b32_e32 v3, v0, v1
	s_mul_i32 s27, s44, s46
	v_cmp_ne_u32_e64 s[4:5], 0, v3
	v_add_u32_e32 v3, s27, v1
	v_mul_lo_u32 v16, s44, v1
	v_mul_lo_u32 v20, s44, v3
	;; [unrolled: 1-line block ×3, first 2 shown]
	s_cmp_lg_u32 s45, 0
	s_cselect_b64 s[22:23], -1, 0
	v_mov_b32_e32 v2, 0x1100
	s_cmp_gt_i32 s44, 0
	v_mad_u32_u24 v17, v1, s26, v13
	v_cmp_gt_i32_e64 s[2:3], s44, v1
	v_mad_u32_u24 v14, v1, s26, v2
	s_mul_i32 s47, s44, s44
	s_cselect_b64 s[24:25], -1, 0
	v_add_u32_e32 v18, 0x880, v17
	s_lshl_b32 s48, s44, 2
	v_add_u32_e32 v21, 0x1980, v17
	v_mad_u32_u24 v22, v0, s26, v2
	v_add_u32_e32 v23, 0x1100, v17
	v_mov_b32_e32 v2, 0
	v_mov_b32_e32 v24, 0x3ff00000
	s_mov_b32 s26, s46
	s_branch .LBB29_10
.LBB29_9:                               ;   in Loop: Header=BB29_10 Depth=1
	s_or_b64 exec, exec, s[28:29]
	s_add_i32 s26, s26, 1
	s_cmp_ge_i32 s26, s33
	s_waitcnt vmcnt(0)
	buffer_wbinvl1_vol
	v_add_u32_e32 v20, s47, v20
	s_cselect_b64 s[28:29], -1, 0
	s_and_b64 vcc, exec, s[28:29]
	s_cbranch_vccnz .LBB29_89
.LBB29_10:                              ; =>This Loop Header: Depth=1
                                        ;     Child Loop BB29_14 Depth 2
                                        ;     Child Loop BB29_26 Depth 2
	;; [unrolled: 1-line block ×5, first 2 shown]
                                        ;       Child Loop BB29_56 Depth 3
                                        ;     Child Loop BB29_70 Depth 2
                                        ;       Child Loop BB29_75 Depth 3
                                        ;       Child Loop BB29_78 Depth 3
                                        ;     Child Loop BB29_84 Depth 2
	s_ashr_i32 s27, s26, 31
	s_lshl_b64 s[28:29], s[26:27], 2
	s_add_u32 s28, s18, s28
	s_addc_u32 s29, s19, s29
	s_load_dword s49, s[28:29], 0x0
	s_waitcnt lgkmcnt(0)
	s_sub_i32 s30, s49, s13
	s_ashr_i32 s31, s30, 31
	s_lshl_b64 s[28:29], s[30:31], 2
	s_add_u32 s34, s8, s28
	s_addc_u32 s35, s9, s29
	s_load_dword s31, s[34:35], 0x0
	s_waitcnt lgkmcnt(0)
	s_cmp_eq_u32 s31, -1
	s_cbranch_scc1 .LBB29_88
; %bb.11:                               ;   in Loop: Header=BB29_10 Depth=1
	s_add_u32 s34, s16, s28
	s_addc_u32 s35, s17, s29
	s_load_dword s50, s[34:35], 0x0
	s_mul_i32 s27, s26, s44
	s_and_saveexec_b64 s[34:35], s[0:1]
	s_cbranch_execz .LBB29_24
; %bb.12:                               ;   in Loop: Header=BB29_10 Depth=1
	s_mov_b64 s[36:37], 0
	v_mov_b32_e32 v6, v18
	v_mov_b32_e32 v7, v0
	s_branch .LBB29_14
.LBB29_13:                              ;   in Loop: Header=BB29_14 Depth=2
	s_or_b64 exec, exec, s[40:41]
	v_add_u32_e32 v7, 4, v7
	v_mov_b32_e32 v3, v2
	v_cmp_le_i32_e32 vcc, s44, v7
	s_waitcnt vmcnt(0)
	ds_write_b64 v6, v[4:5] offset:2176
	ds_write_b64 v6, v[2:3]
	s_or_b64 s[36:37], vcc, s[36:37]
	v_add_u32_e32 v6, 32, v6
	s_andn2_b64 exec, exec, s[36:37]
	s_cbranch_execz .LBB29_24
.LBB29_14:                              ;   Parent Loop BB29_10 Depth=1
                                        ; =>  This Inner Loop Header: Depth=2
	s_and_b64 vcc, exec, s[22:23]
	s_cbranch_vccz .LBB29_21
; %bb.15:                               ;   in Loop: Header=BB29_14 Depth=2
	s_mov_b64 s[40:41], 0
	s_mov_b64 s[38:39], 0
                                        ; implicit-def: $vgpr3
	s_and_saveexec_b64 s[42:43], s[2:3]
	s_xor_b64 s[42:43], exec, s[42:43]
; %bb.16:                               ;   in Loop: Header=BB29_14 Depth=2
	v_add_u32_e32 v3, s27, v7
	s_mov_b64 s[38:39], exec
	v_mad_u64_u32 v[3:4], s[52:53], v3, s44, v[1:2]
; %bb.17:                               ;   in Loop: Header=BB29_14 Depth=2
	s_or_b64 exec, exec, s[42:43]
	s_and_b64 vcc, exec, s[40:41]
	s_cbranch_vccz .LBB29_22
.LBB29_18:                              ;   in Loop: Header=BB29_14 Depth=2
                                        ; implicit-def: $vgpr3
	s_and_saveexec_b64 s[40:41], s[2:3]
; %bb.19:                               ;   in Loop: Header=BB29_14 Depth=2
	v_add_u32_e32 v3, v20, v7
	s_or_b64 s[38:39], s[38:39], exec
; %bb.20:                               ;   in Loop: Header=BB29_14 Depth=2
	s_or_b64 exec, exec, s[40:41]
	v_mov_b32_e32 v4, 0
	v_mov_b32_e32 v5, 0
	s_and_saveexec_b64 s[40:41], s[38:39]
	s_cbranch_execz .LBB29_13
	s_branch .LBB29_23
.LBB29_21:                              ;   in Loop: Header=BB29_14 Depth=2
	s_mov_b64 s[38:39], 0
                                        ; implicit-def: $vgpr3
	s_cbranch_execnz .LBB29_18
.LBB29_22:                              ;   in Loop: Header=BB29_14 Depth=2
	v_mov_b32_e32 v4, 0
	v_mov_b32_e32 v5, 0
	s_and_saveexec_b64 s[40:41], s[38:39]
	s_cbranch_execz .LBB29_13
.LBB29_23:                              ;   in Loop: Header=BB29_14 Depth=2
	v_ashrrev_i32_e32 v4, 31, v3
	v_lshlrev_b64 v[3:4], 3, v[3:4]
	v_mov_b32_e32 v5, s21
	v_add_co_u32_e32 v3, vcc, s20, v3
	v_addc_co_u32_e32 v4, vcc, v5, v4, vcc
	global_load_dwordx2 v[4:5], v[3:4], off
	s_branch .LBB29_13
.LBB29_24:                              ;   in Loop: Header=BB29_10 Depth=1
	s_or_b64 exec, exec, s[34:35]
	ds_read_b32 v3, v2 offset:8960
	s_waitcnt lgkmcnt(0)
	s_sub_i32 s34, s50, s13
	s_cmp_le_i32 s34, s31
	s_cselect_b64 s[36:37], -1, 0
	s_mov_b32 s40, 0
	v_cmp_ge_i32_e32 vcc, s30, v3
	s_and_b64 s[36:37], s[36:37], vcc
	s_andn2_b64 vcc, exec, s[36:37]
	s_cbranch_vccnz .LBB29_36
; %bb.25:                               ;   in Loop: Header=BB29_10 Depth=1
	s_mov_b32 s38, 0
	s_mov_b32 s39, 0
.LBB29_26:                              ;   Parent Loop BB29_10 Depth=1
                                        ; =>  This Inner Loop Header: Depth=2
	s_ashr_i32 s35, s34, 31
	s_lshl_b64 s[36:37], s[34:35], 2
	s_add_u32 s36, s18, s36
	s_addc_u32 s37, s19, s37
	s_load_dword s35, s[36:37], 0x0
	s_lshl_b32 s36, s39, 2
	v_mov_b32_e32 v3, s36
	ds_read_b32 v3, v3 offset:8960
	s_mov_b64 s[36:37], -1
	s_waitcnt lgkmcnt(0)
	s_sub_i32 s43, s35, s13
                                        ; implicit-def: $sgpr40
                                        ; implicit-def: $sgpr42
                                        ; implicit-def: $sgpr41
	v_cmp_ge_i32_e32 vcc, s43, v3
	v_readfirstlane_b32 s35, v3
	s_cbranch_vccz .LBB29_32
; %bb.27:                               ;   in Loop: Header=BB29_26 Depth=2
	s_cmp_le_i32 s43, s35
                                        ; implicit-def: $sgpr40
                                        ; implicit-def: $sgpr42
                                        ; implicit-def: $sgpr41
	s_cbranch_scc0 .LBB29_29
; %bb.28:                               ;   in Loop: Header=BB29_26 Depth=2
	s_add_i32 s36, s39, s46
	s_mul_i32 s36, s36, s47
	s_lshl_b32 s37, s38, 2
	v_mov_b32_e32 v3, s37
	v_mov_b32_e32 v4, s36
	s_mul_i32 s36, s34, s47
	v_mov_b32_e32 v5, s36
	v_add_u32_e32 v3, 0x2000, v3
	ds_write2_b32 v3, v5, v4 offset0:128 offset1:160
	s_add_i32 s41, s39, 1
	s_add_i32 s42, s34, 1
	;; [unrolled: 1-line block ×3, first 2 shown]
	s_mov_b64 s[36:37], 0
.LBB29_29:                              ;   in Loop: Header=BB29_26 Depth=2
	s_andn2_b64 vcc, exec, s[36:37]
	s_cbranch_vccnz .LBB29_31
; %bb.30:                               ;   in Loop: Header=BB29_26 Depth=2
	s_add_i32 s41, s39, 1
	s_mov_b32 s40, s38
	s_mov_b32 s42, s34
.LBB29_31:                              ;   in Loop: Header=BB29_26 Depth=2
	s_mov_b64 s[36:37], 0
.LBB29_32:                              ;   in Loop: Header=BB29_26 Depth=2
	s_andn2_b64 vcc, exec, s[36:37]
	s_cbranch_vccnz .LBB29_34
; %bb.33:                               ;   in Loop: Header=BB29_26 Depth=2
	s_add_i32 s42, s34, 1
	s_mov_b32 s41, s39
	s_mov_b32 s40, s38
.LBB29_34:                              ;   in Loop: Header=BB29_26 Depth=2
	s_cmp_le_i32 s42, s31
	s_cselect_b64 s[36:37], -1, 0
	s_cmp_le_i32 s35, s30
	s_cselect_b64 s[34:35], -1, 0
	s_and_b64 s[34:35], s[36:37], s[34:35]
	s_and_b64 vcc, exec, s[34:35]
	s_cbranch_vccz .LBB29_36
; %bb.35:                               ;   in Loop: Header=BB29_26 Depth=2
	s_mov_b32 s38, s40
	s_mov_b32 s34, s42
	;; [unrolled: 1-line block ×3, first 2 shown]
	s_branch .LBB29_26
.LBB29_36:                              ;   in Loop: Header=BB29_10 Depth=1
	s_add_u32 s28, s10, s28
	s_addc_u32 s29, s11, s29
	s_waitcnt lgkmcnt(0)
.LBB29_37:                              ;   Parent Loop BB29_10 Depth=1
                                        ; =>  This Inner Loop Header: Depth=2
	global_load_dword v3, v2, s[28:29] glc
	s_waitcnt vmcnt(0)
	v_cmp_eq_u32_e32 vcc, 0, v3
	s_cbranch_vccnz .LBB29_37
; %bb.38:                               ;   in Loop: Header=BB29_10 Depth=1
	buffer_wbinvl1_vol
	s_and_saveexec_b64 s[28:29], s[0:1]
	s_cbranch_execz .LBB29_51
; %bb.39:                               ;   in Loop: Header=BB29_10 Depth=1
	s_mul_i32 s41, s31, s44
	v_add_u32_e32 v3, s41, v1
	v_mul_lo_u32 v6, v3, s44
	s_mov_b64 s[30:31], 0
	v_mov_b32_e32 v7, v17
	v_mov_b32_e32 v8, v0
	s_branch .LBB29_41
.LBB29_40:                              ;   in Loop: Header=BB29_41 Depth=2
	s_or_b64 exec, exec, s[36:37]
	v_add_u32_e32 v8, 4, v8
	v_cmp_le_i32_e32 vcc, s44, v8
	s_waitcnt vmcnt(0)
	ds_write_b64 v7, v[4:5]
	s_or_b64 s[30:31], vcc, s[30:31]
	v_add_u32_e32 v7, 32, v7
	s_andn2_b64 exec, exec, s[30:31]
	s_cbranch_execz .LBB29_51
.LBB29_41:                              ;   Parent Loop BB29_10 Depth=1
                                        ; =>  This Inner Loop Header: Depth=2
	s_and_b64 vcc, exec, s[22:23]
	s_cbranch_vccz .LBB29_48
; %bb.42:                               ;   in Loop: Header=BB29_41 Depth=2
	s_mov_b64 s[36:37], 0
	s_mov_b64 s[34:35], 0
                                        ; implicit-def: $vgpr3
	s_and_saveexec_b64 s[38:39], s[2:3]
	s_xor_b64 s[38:39], exec, s[38:39]
; %bb.43:                               ;   in Loop: Header=BB29_41 Depth=2
	v_add_u32_e32 v3, s41, v8
	s_mov_b64 s[34:35], exec
	v_mad_u64_u32 v[3:4], s[42:43], v3, s44, v[1:2]
; %bb.44:                               ;   in Loop: Header=BB29_41 Depth=2
	s_or_b64 exec, exec, s[38:39]
	s_and_b64 vcc, exec, s[36:37]
	s_cbranch_vccz .LBB29_49
.LBB29_45:                              ;   in Loop: Header=BB29_41 Depth=2
                                        ; implicit-def: $vgpr3
	s_and_saveexec_b64 s[36:37], s[2:3]
; %bb.46:                               ;   in Loop: Header=BB29_41 Depth=2
	v_add_u32_e32 v3, v6, v8
	s_or_b64 s[34:35], s[34:35], exec
; %bb.47:                               ;   in Loop: Header=BB29_41 Depth=2
	s_or_b64 exec, exec, s[36:37]
	v_mov_b32_e32 v4, 0
	v_mov_b32_e32 v5, 0
	s_and_saveexec_b64 s[36:37], s[34:35]
	s_cbranch_execz .LBB29_40
	s_branch .LBB29_50
.LBB29_48:                              ;   in Loop: Header=BB29_41 Depth=2
	s_mov_b64 s[34:35], 0
                                        ; implicit-def: $vgpr3
	s_cbranch_execnz .LBB29_45
.LBB29_49:                              ;   in Loop: Header=BB29_41 Depth=2
	v_mov_b32_e32 v4, 0
	v_mov_b32_e32 v5, 0
	s_and_saveexec_b64 s[36:37], s[34:35]
	s_cbranch_execz .LBB29_40
.LBB29_50:                              ;   in Loop: Header=BB29_41 Depth=2
	v_ashrrev_i32_e32 v4, 31, v3
	v_lshlrev_b64 v[3:4], 3, v[3:4]
	v_mov_b32_e32 v5, s21
	v_add_co_u32_e32 v3, vcc, s20, v3
	v_addc_co_u32_e32 v4, vcc, v5, v4, vcc
	global_load_dwordx2 v[4:5], v[3:4], off
	s_branch .LBB29_40
.LBB29_51:                              ;   in Loop: Header=BB29_10 Depth=1
	s_or_b64 exec, exec, s[28:29]
	s_cmp_lt_i32 s40, 2
	s_cbranch_scc1 .LBB29_67
; %bb.52:                               ;   in Loop: Header=BB29_10 Depth=1
	s_add_i32 s36, s40, -2
	s_mov_b32 s37, 0
	s_branch .LBB29_54
.LBB29_53:                              ;   in Loop: Header=BB29_54 Depth=2
	s_or_b64 exec, exec, s[28:29]
	s_add_i32 s28, s37, 1
	s_cmp_eq_u32 s37, s36
	s_mov_b32 s37, s28
	s_cbranch_scc1 .LBB29_67
.LBB29_54:                              ;   Parent Loop BB29_10 Depth=1
                                        ; =>  This Loop Header: Depth=2
                                        ;       Child Loop BB29_56 Depth 3
	s_and_saveexec_b64 s[28:29], s[0:1]
	s_cbranch_execz .LBB29_53
; %bb.55:                               ;   in Loop: Header=BB29_54 Depth=2
	s_lshl_b32 s30, s37, 2
	v_mov_b32_e32 v3, s30
	v_add_u32_e32 v3, 0x2000, v3
	ds_read2_b32 v[3:4], v3 offset0:128 offset1:160
	s_mov_b64 s[30:31], 0
	v_mov_b32_e32 v29, v0
	s_waitcnt lgkmcnt(0)
	v_add_u32_e32 v25, v4, v16
	v_add_u32_e32 v26, v1, v4
	;; [unrolled: 1-line block ×4, first 2 shown]
.LBB29_56:                              ;   Parent Loop BB29_10 Depth=1
                                        ;     Parent Loop BB29_54 Depth=2
                                        ; =>    This Inner Loop Header: Depth=3
	v_mov_b32_e32 v7, 0
	v_mov_b32_e32 v8, 0
	s_mov_b32 s38, 0
	v_mov_b32_e32 v3, v27
	v_mov_b32_e32 v5, v26
	s_and_b64 vcc, exec, s[22:23]
	s_cbranch_vccnz .LBB29_59
	s_branch .LBB29_58
.LBB29_57:                              ;   in Loop: Header=BB29_56 Depth=3
	v_mov_b32_e32 v7, v9
	v_mov_b32_e32 v8, v10
	s_and_b64 vcc, exec, s[22:23]
	s_cbranch_vccnz .LBB29_59
.LBB29_58:                              ;   in Loop: Header=BB29_56 Depth=3
                                        ; implicit-def: $vgpr9_vgpr10
	s_cbranch_execz .LBB29_65
	s_branch .LBB29_62
.LBB29_59:                              ;   in Loop: Header=BB29_56 Depth=3
	v_ashrrev_i32_e32 v4, 31, v3
	v_lshlrev_b64 v[9:10], 3, v[3:4]
	v_mov_b32_e32 v4, s21
	v_add_co_u32_e32 v9, vcc, s20, v9
	v_addc_co_u32_e32 v10, vcc, v4, v10, vcc
	global_load_dwordx2 v[9:10], v[9:10], off
	v_mov_b32_e32 v11, 0
	v_mov_b32_e32 v12, 0
	s_and_saveexec_b64 s[34:35], s[2:3]
	s_cbranch_execz .LBB29_61
; %bb.60:                               ;   in Loop: Header=BB29_56 Depth=3
	v_ashrrev_i32_e32 v6, 31, v5
	v_lshlrev_b64 v[11:12], 3, v[5:6]
	v_mov_b32_e32 v4, s21
	v_add_co_u32_e32 v11, vcc, s20, v11
	v_addc_co_u32_e32 v12, vcc, v4, v12, vcc
	global_load_dwordx2 v[11:12], v[11:12], off
.LBB29_61:                              ;   in Loop: Header=BB29_56 Depth=3
	s_or_b64 exec, exec, s[34:35]
	s_waitcnt vmcnt(0)
	v_fma_f64 v[9:10], v[9:10], v[11:12], v[7:8]
	s_branch .LBB29_65
.LBB29_62:                              ;   in Loop: Header=BB29_56 Depth=3
	v_add_u32_e32 v9, s38, v28
	v_ashrrev_i32_e32 v10, 31, v9
	v_lshlrev_b64 v[9:10], 3, v[9:10]
	v_mov_b32_e32 v4, s21
	v_add_co_u32_e32 v9, vcc, s20, v9
	v_addc_co_u32_e32 v10, vcc, v4, v10, vcc
	global_load_dwordx2 v[9:10], v[9:10], off
	v_mov_b32_e32 v11, 0
	v_mov_b32_e32 v12, 0
	s_and_saveexec_b64 s[34:35], s[2:3]
	s_cbranch_execz .LBB29_64
; %bb.63:                               ;   in Loop: Header=BB29_56 Depth=3
	v_add_u32_e32 v11, s38, v25
	v_ashrrev_i32_e32 v12, 31, v11
	v_lshlrev_b64 v[11:12], 3, v[11:12]
	v_mov_b32_e32 v4, s21
	v_add_co_u32_e32 v11, vcc, s20, v11
	v_addc_co_u32_e32 v12, vcc, v4, v12, vcc
	global_load_dwordx2 v[11:12], v[11:12], off
.LBB29_64:                              ;   in Loop: Header=BB29_56 Depth=3
	s_or_b64 exec, exec, s[34:35]
	s_waitcnt vmcnt(0)
	v_fma_f64 v[9:10], v[9:10], v[11:12], v[7:8]
.LBB29_65:                              ;   in Loop: Header=BB29_56 Depth=3
	s_add_i32 s38, s38, 1
	v_add_u32_e32 v5, s44, v5
	s_cmp_eq_u32 s44, s38
	v_add_u32_e32 v3, s44, v3
	s_cbranch_scc0 .LBB29_57
; %bb.66:                               ;   in Loop: Header=BB29_56 Depth=3
	v_lshl_add_u32 v5, v29, 3, v15
	ds_read_b64 v[3:4], v5
	v_add_u32_e32 v29, 4, v29
	v_cmp_le_i32_e32 vcc, s44, v29
	v_add_u32_e32 v27, 4, v27
	s_or_b64 s[30:31], vcc, s[30:31]
	s_waitcnt lgkmcnt(0)
	v_add_f64 v[3:4], v[9:10], v[3:4]
	v_add_u32_e32 v28, s48, v28
	ds_write_b64 v5, v[3:4]
	s_andn2_b64 exec, exec, s[30:31]
	s_cbranch_execnz .LBB29_56
	s_branch .LBB29_53
.LBB29_67:                              ;   in Loop: Header=BB29_10 Depth=1
	s_andn2_b64 vcc, exec, s[24:25]
	s_waitcnt lgkmcnt(0)
	s_cbranch_vccnz .LBB29_79
; %bb.68:                               ;   in Loop: Header=BB29_10 Depth=1
	s_mov_b32 s34, 0
	v_mov_b32_e32 v9, v22
	s_mov_b32 s35, 0
	s_branch .LBB29_70
.LBB29_69:                              ;   in Loop: Header=BB29_70 Depth=2
	s_or_b64 exec, exec, s[28:29]
	s_add_i32 s35, s35, 1
	s_addk_i32 s34, 0x88
	s_cmp_eq_u32 s35, s44
	v_add_u32_e32 v9, 8, v9
	s_waitcnt lgkmcnt(0)
	s_cbranch_scc1 .LBB29_79
.LBB29_70:                              ;   Parent Loop BB29_10 Depth=1
                                        ; =>  This Loop Header: Depth=2
                                        ;       Child Loop BB29_75 Depth 3
                                        ;       Child Loop BB29_78 Depth 3
	s_lshl_b32 s28, s35, 3
	s_mul_i32 s29, s35, 0x88
	s_add_i32 s29, s29, s28
	v_mov_b32_e32 v3, s29
	ds_read_b64 v[5:6], v3
	v_add_u32_e32 v10, s28, v14
	ds_read_b64 v[3:4], v10
	s_waitcnt lgkmcnt(1)
	v_cmp_neq_f64_e32 vcc, 0, v[5:6]
	v_cndmask_b32_e32 v6, v24, v6, vcc
	s_nor_b64 s[30:31], vcc, s[4:5]
	v_cndmask_b32_e32 v5, 0, v5, vcc
	s_and_saveexec_b64 s[28:29], s[30:31]
	s_cbranch_execz .LBB29_74
; %bb.71:                               ;   in Loop: Header=BB29_70 Depth=2
	v_mbcnt_lo_u32_b32 v5, exec_lo, 0
	v_mbcnt_hi_u32_b32 v5, exec_hi, v5
	v_cmp_eq_u32_e32 vcc, 0, v5
	s_and_saveexec_b64 s[30:31], vcc
	s_cbranch_execz .LBB29_73
; %bb.72:                               ;   in Loop: Header=BB29_70 Depth=2
	v_mov_b32_e32 v5, s49
	global_atomic_smin v2, v5, s[14:15]
.LBB29_73:                              ;   in Loop: Header=BB29_70 Depth=2
	s_or_b64 exec, exec, s[30:31]
	v_mov_b32_e32 v5, 0
	v_mov_b32_e32 v6, 0x3ff00000
.LBB29_74:                              ;   in Loop: Header=BB29_70 Depth=2
	s_or_b64 exec, exec, s[28:29]
	v_lshl_add_u32 v7, s35, 3, v15
	ds_read_b64 v[7:8], v7
	s_cmp_eq_u32 s35, 0
	v_mov_b32_e32 v11, v14
	s_mov_b32 s28, s34
	s_mov_b32 s29, s35
	s_cbranch_scc1 .LBB29_76
.LBB29_75:                              ;   Parent Loop BB29_10 Depth=1
                                        ;     Parent Loop BB29_70 Depth=2
                                        ; =>    This Inner Loop Header: Depth=3
	v_mov_b32_e32 v12, s28
	ds_read_b64 v[25:26], v11
	ds_read_b64 v[27:28], v12
	s_add_i32 s29, s29, -1
	s_add_i32 s28, s28, 8
	s_cmp_eq_u32 s29, 0
	v_add_u32_e32 v11, 8, v11
	s_waitcnt lgkmcnt(0)
	v_fma_f64 v[7:8], v[27:28], v[25:26], v[7:8]
	s_cbranch_scc0 .LBB29_75
.LBB29_76:                              ;   in Loop: Header=BB29_70 Depth=2
	s_waitcnt lgkmcnt(0)
	v_add_f64 v[3:4], v[3:4], -v[7:8]
	v_div_scale_f64 v[7:8], s[28:29], v[5:6], v[5:6], v[3:4]
	v_rcp_f64_e32 v[11:12], v[7:8]
	v_fma_f64 v[25:26], -v[7:8], v[11:12], 1.0
	v_fma_f64 v[11:12], v[11:12], v[25:26], v[11:12]
	v_div_scale_f64 v[25:26], vcc, v[3:4], v[5:6], v[3:4]
	v_fma_f64 v[27:28], -v[7:8], v[11:12], 1.0
	v_fma_f64 v[11:12], v[11:12], v[27:28], v[11:12]
	v_mul_f64 v[27:28], v[25:26], v[11:12]
	v_fma_f64 v[7:8], -v[7:8], v[27:28], v[25:26]
	v_div_fmas_f64 v[7:8], v[7:8], v[11:12], v[27:28]
	v_div_fixup_f64 v[3:4], v[7:8], v[5:6], v[3:4]
	ds_write_b64 v10, v[3:4]
	s_waitcnt lgkmcnt(0)
	s_and_saveexec_b64 s[28:29], s[0:1]
	s_cbranch_execz .LBB29_69
; %bb.77:                               ;   in Loop: Header=BB29_70 Depth=2
	s_mov_b64 s[30:31], 0
	v_mov_b32_e32 v5, v9
	v_mov_b32_e32 v6, v21
	;; [unrolled: 1-line block ×3, first 2 shown]
.LBB29_78:                              ;   Parent Loop BB29_10 Depth=1
                                        ;     Parent Loop BB29_70 Depth=2
                                        ; =>    This Inner Loop Header: Depth=3
	ds_read_b64 v[10:11], v5
	ds_read_b64 v[25:26], v6
	v_add_u32_e32 v7, 4, v7
	v_cmp_le_i32_e32 vcc, s44, v7
	s_or_b64 s[30:31], vcc, s[30:31]
	v_add_u32_e32 v5, 0x220, v5
	s_waitcnt lgkmcnt(0)
	v_fma_f64 v[10:11], v[3:4], v[10:11], v[25:26]
	ds_write_b64 v6, v[10:11]
	v_add_u32_e32 v6, 32, v6
	s_andn2_b64 exec, exec, s[30:31]
	s_cbranch_execnz .LBB29_78
	s_branch .LBB29_69
.LBB29_79:                              ;   in Loop: Header=BB29_10 Depth=1
	s_and_saveexec_b64 s[28:29], s[0:1]
	s_cbranch_execz .LBB29_9
; %bb.80:                               ;   in Loop: Header=BB29_10 Depth=1
	s_mov_b64 s[30:31], 0
	v_mov_b32_e32 v7, v23
	v_mov_b32_e32 v8, v0
	s_branch .LBB29_84
.LBB29_81:                              ;   in Loop: Header=BB29_84 Depth=2
	v_add_u32_e32 v5, v20, v8
.LBB29_82:                              ;   in Loop: Header=BB29_84 Depth=2
	v_ashrrev_i32_e32 v6, 31, v5
	v_lshlrev_b64 v[5:6], 3, v[5:6]
	v_mov_b32_e32 v9, s21
	v_add_co_u32_e32 v5, vcc, s20, v5
	v_addc_co_u32_e32 v6, vcc, v9, v6, vcc
	s_waitcnt lgkmcnt(0)
	global_store_dwordx2 v[5:6], v[3:4], off
.LBB29_83:                              ;   in Loop: Header=BB29_84 Depth=2
	s_or_b64 exec, exec, s[34:35]
	v_add_u32_e32 v8, 4, v8
	v_cmp_le_i32_e32 vcc, s44, v8
	s_or_b64 s[30:31], vcc, s[30:31]
	v_add_u32_e32 v7, 32, v7
	s_andn2_b64 exec, exec, s[30:31]
	s_cbranch_execz .LBB29_9
.LBB29_84:                              ;   Parent Loop BB29_10 Depth=1
                                        ; =>  This Inner Loop Header: Depth=2
	s_and_saveexec_b64 s[34:35], s[2:3]
	s_cbranch_execz .LBB29_83
; %bb.85:                               ;   in Loop: Header=BB29_84 Depth=2
	ds_read_b64 v[3:4], v7
	s_and_b64 vcc, exec, s[22:23]
	s_cbranch_vccz .LBB29_87
; %bb.86:                               ;   in Loop: Header=BB29_84 Depth=2
	v_add_u32_e32 v5, s27, v8
	v_mad_u64_u32 v[5:6], s[36:37], v5, s44, v[1:2]
	s_cbranch_execnz .LBB29_82
	s_branch .LBB29_81
.LBB29_87:                              ;   in Loop: Header=BB29_84 Depth=2
                                        ; implicit-def: $vgpr5
	s_branch .LBB29_81
.LBB29_88:                              ;   in Loop: Header=BB29_10 Depth=1
                                        ; implicit-def: $sgpr26
                                        ; implicit-def: $vgpr20
	s_cbranch_execz .LBB29_10
.LBB29_89:
	v_cmp_gt_i32_e64 s[0:1], s44, v0
	s_and_saveexec_b64 s[4:5], s[0:1]
	s_cbranch_execz .LBB29_102
; %bb.90:
	s_mul_i32 s26, s33, s44
	v_add_u32_e32 v2, s26, v1
	v_mul_lo_u32 v5, v2, s44
	s_cmp_lg_u32 s45, 0
	v_mul_u32_u24_e32 v2, 0x88, v1
	s_movk_i32 s16, 0x1100
	s_cselect_b64 s[8:9], -1, 0
	v_cmp_gt_i32_e64 s[2:3], s44, v1
	v_add3_u32 v6, v2, v13, s16
	s_mov_b64 s[16:17], 0
	v_mov_b32_e32 v7, v0
	s_branch .LBB29_92
.LBB29_91:                              ;   in Loop: Header=BB29_92 Depth=1
	s_or_b64 exec, exec, s[22:23]
	v_add_u32_e32 v7, 4, v7
	v_cmp_le_i32_e32 vcc, s44, v7
	s_waitcnt vmcnt(0)
	ds_write_b64 v6, v[3:4]
	s_or_b64 s[16:17], vcc, s[16:17]
	v_add_u32_e32 v6, 32, v6
	s_andn2_b64 exec, exec, s[16:17]
	s_cbranch_execz .LBB29_102
.LBB29_92:                              ; =>This Inner Loop Header: Depth=1
	s_and_b64 vcc, exec, s[8:9]
	s_cbranch_vccz .LBB29_99
; %bb.93:                               ;   in Loop: Header=BB29_92 Depth=1
	s_mov_b64 s[22:23], 0
	s_mov_b64 s[18:19], 0
                                        ; implicit-def: $vgpr2
	s_and_saveexec_b64 s[24:25], s[2:3]
	s_xor_b64 s[24:25], exec, s[24:25]
; %bb.94:                               ;   in Loop: Header=BB29_92 Depth=1
	v_add_u32_e32 v2, s26, v7
	s_mov_b64 s[18:19], exec
	v_mad_u64_u32 v[2:3], s[28:29], v2, s44, v[1:2]
; %bb.95:                               ;   in Loop: Header=BB29_92 Depth=1
	s_or_b64 exec, exec, s[24:25]
	s_and_b64 vcc, exec, s[22:23]
	s_cbranch_vccz .LBB29_100
.LBB29_96:                              ;   in Loop: Header=BB29_92 Depth=1
                                        ; implicit-def: $vgpr2
	s_and_saveexec_b64 s[22:23], s[2:3]
; %bb.97:                               ;   in Loop: Header=BB29_92 Depth=1
	v_add_u32_e32 v2, v5, v7
	s_or_b64 s[18:19], s[18:19], exec
; %bb.98:                               ;   in Loop: Header=BB29_92 Depth=1
	s_or_b64 exec, exec, s[22:23]
	v_mov_b32_e32 v3, 0
	v_mov_b32_e32 v4, 0
	s_and_saveexec_b64 s[22:23], s[18:19]
	s_cbranch_execz .LBB29_91
	s_branch .LBB29_101
.LBB29_99:                              ;   in Loop: Header=BB29_92 Depth=1
	s_mov_b64 s[18:19], 0
                                        ; implicit-def: $vgpr2
	s_cbranch_execnz .LBB29_96
.LBB29_100:                             ;   in Loop: Header=BB29_92 Depth=1
	v_mov_b32_e32 v3, 0
	v_mov_b32_e32 v4, 0
	s_and_saveexec_b64 s[22:23], s[18:19]
	s_cbranch_execz .LBB29_91
.LBB29_101:                             ;   in Loop: Header=BB29_92 Depth=1
	v_ashrrev_i32_e32 v3, 31, v2
	v_lshlrev_b64 v[2:3], 3, v[2:3]
	v_mov_b32_e32 v4, s21
	v_add_co_u32_e32 v2, vcc, s20, v2
	v_addc_co_u32_e32 v3, vcc, v4, v3, vcc
	global_load_dwordx2 v[3:4], v[2:3], off
	s_branch .LBB29_91
.LBB29_102:
	s_or_b64 exec, exec, s[4:5]
	s_cmp_lt_i32 s44, 1
	s_waitcnt lgkmcnt(0)
	s_cbranch_scc1 .LBB29_115
; %bb.103:
	v_or_b32_e32 v4, v0, v1
	s_movk_i32 s4, 0x88
	v_mov_b32_e32 v2, 0x1100
	v_mul_u32_u24_e32 v3, 0x88, v1
	v_cmp_ne_u32_e64 s[2:3], 0, v4
	s_movk_i32 s5, 0x1980
	v_mov_b32_e32 v4, 0x1980
	v_mad_u32_u24 v6, v1, s4, v2
	v_mad_u32_u24 v7, v1, s4, v4
	v_lshlrev_b32_e32 v4, 3, v1
	v_add3_u32 v10, v3, v13, s5
	v_mad_u32_u24 v11, v0, s4, v2
	s_mov_b32 s4, 0
	s_mov_b32 s18, 0
	s_add_i32 s19, s12, s13
	v_add_u32_e32 v8, v6, v4
	v_add_u32_e32 v9, v7, v4
	s_brev_b32 s5, 8
	v_mov_b32_e32 v12, 0x260
	v_mov_b32_e32 v14, 0x3ff00000
	;; [unrolled: 1-line block ×5, first 2 shown]
	s_branch .LBB29_105
.LBB29_104:                             ;   in Loop: Header=BB29_105 Depth=1
	s_or_b64 exec, exec, s[8:9]
	s_add_i32 s18, s18, 1
	s_cmp_eq_u32 s18, s44
	v_add_u32_e32 v11, 8, v11
	s_waitcnt lgkmcnt(0)
	s_cbranch_scc1 .LBB29_115
.LBB29_105:                             ; =>This Loop Header: Depth=1
                                        ;     Child Loop BB29_114 Depth 2
	v_cmp_eq_u32_e32 vcc, s18, v1
	s_and_saveexec_b64 s[8:9], vcc
	s_cbranch_execz .LBB29_107
; %bb.106:                              ;   in Loop: Header=BB29_105 Depth=1
	ds_read_b64 v[2:3], v8
	ds_read_b64 v[4:5], v9
	s_waitcnt lgkmcnt(0)
	v_add_f64 v[2:3], v[2:3], -v[4:5]
	v_cmp_gt_f64_e32 vcc, 0, v[2:3]
	v_xor_b32_e32 v4, 0x80000000, v3
	v_cndmask_b32_e32 v3, v3, v4, vcc
	v_cmp_gt_f64_e32 vcc, s[4:5], v[2:3]
	v_cndmask_b32_e32 v4, 0, v16, vcc
	v_ldexp_f64 v[2:3], v[2:3], v4
	v_rsq_f64_e32 v[4:5], v[2:3]
	v_mul_f64 v[18:19], v[2:3], v[4:5]
	v_mul_f64 v[4:5], v[4:5], 0.5
	v_fma_f64 v[20:21], -v[4:5], v[18:19], 0.5
	v_fma_f64 v[18:19], v[18:19], v[20:21], v[18:19]
	v_fma_f64 v[4:5], v[4:5], v[20:21], v[4:5]
	v_fma_f64 v[20:21], -v[18:19], v[18:19], v[2:3]
	v_fma_f64 v[18:19], v[20:21], v[4:5], v[18:19]
	v_fma_f64 v[20:21], -v[18:19], v[18:19], v[2:3]
	v_fma_f64 v[4:5], v[20:21], v[4:5], v[18:19]
	v_cndmask_b32_e32 v18, 0, v17, vcc
	v_cmp_class_f64_e32 vcc, v[2:3], v12
	v_ldexp_f64 v[4:5], v[4:5], v18
	v_cndmask_b32_e32 v3, v5, v3, vcc
	v_cndmask_b32_e32 v2, v4, v2, vcc
	ds_write_b64 v8, v[2:3]
.LBB29_107:                             ;   in Loop: Header=BB29_105 Depth=1
	s_or_b64 exec, exec, s[8:9]
	s_lshl_b32 s8, s18, 3
	s_mul_i32 s9, s18, 0x88
	s_add_i32 s9, s9, s8
	v_mov_b32_e32 v2, s9
	s_waitcnt lgkmcnt(0)
	ds_read_b64 v[4:5], v2 offset:4352
	v_add_u32_e32 v18, s8, v6
	ds_read_b64 v[2:3], v18
	s_waitcnt lgkmcnt(1)
	v_cmp_neq_f64_e32 vcc, 0, v[4:5]
	v_cndmask_b32_e32 v5, v14, v5, vcc
	s_nor_b64 s[16:17], vcc, s[2:3]
	v_cndmask_b32_e32 v4, 0, v4, vcc
	s_and_saveexec_b64 s[8:9], s[16:17]
	s_cbranch_execz .LBB29_111
; %bb.108:                              ;   in Loop: Header=BB29_105 Depth=1
	v_mbcnt_lo_u32_b32 v4, exec_lo, 0
	v_mbcnt_hi_u32_b32 v4, exec_hi, v4
	v_cmp_eq_u32_e32 vcc, 0, v4
	s_and_saveexec_b64 s[16:17], vcc
	s_cbranch_execz .LBB29_110
; %bb.109:                              ;   in Loop: Header=BB29_105 Depth=1
	v_mov_b32_e32 v4, s19
	global_atomic_smin v15, v4, s[14:15]
.LBB29_110:                             ;   in Loop: Header=BB29_105 Depth=1
	s_or_b64 exec, exec, s[16:17]
	v_mov_b32_e32 v4, 0
	v_mov_b32_e32 v5, 0x3ff00000
.LBB29_111:                             ;   in Loop: Header=BB29_105 Depth=1
	s_or_b64 exec, exec, s[8:9]
	v_cmp_lt_u32_e32 vcc, s18, v1
	s_and_saveexec_b64 s[8:9], vcc
	s_cbranch_execz .LBB29_104
; %bb.112:                              ;   in Loop: Header=BB29_105 Depth=1
	v_lshl_add_u32 v19, s18, 3, v7
	ds_read_b64 v[19:20], v19
	s_waitcnt lgkmcnt(0)
	v_add_f64 v[2:3], v[2:3], -v[19:20]
	v_div_scale_f64 v[19:20], s[16:17], v[4:5], v[4:5], v[2:3]
	v_rcp_f64_e32 v[21:22], v[19:20]
	v_fma_f64 v[23:24], -v[19:20], v[21:22], 1.0
	v_fma_f64 v[21:22], v[21:22], v[23:24], v[21:22]
	v_div_scale_f64 v[23:24], vcc, v[2:3], v[4:5], v[2:3]
	v_fma_f64 v[25:26], -v[19:20], v[21:22], 1.0
	v_fma_f64 v[21:22], v[21:22], v[25:26], v[21:22]
	v_mul_f64 v[25:26], v[23:24], v[21:22]
	v_fma_f64 v[19:20], -v[19:20], v[25:26], v[23:24]
	v_div_fmas_f64 v[19:20], v[19:20], v[21:22], v[25:26]
	v_div_fixup_f64 v[2:3], v[19:20], v[4:5], v[2:3]
	ds_write_b64 v18, v[2:3]
	s_waitcnt lgkmcnt(0)
	s_and_b64 exec, exec, s[0:1]
	s_cbranch_execz .LBB29_104
; %bb.113:                              ;   in Loop: Header=BB29_105 Depth=1
	s_mov_b64 s[16:17], 0
	v_mov_b32_e32 v4, v11
	v_mov_b32_e32 v5, v10
	;; [unrolled: 1-line block ×3, first 2 shown]
.LBB29_114:                             ;   Parent Loop BB29_105 Depth=1
                                        ; =>  This Inner Loop Header: Depth=2
	ds_read_b64 v[19:20], v4
	ds_read_b64 v[21:22], v5
	v_add_u32_e32 v18, 4, v18
	v_cmp_le_i32_e32 vcc, s44, v18
	s_or_b64 s[16:17], vcc, s[16:17]
	v_add_u32_e32 v4, 0x220, v4
	s_waitcnt lgkmcnt(0)
	v_fma_f64 v[19:20], v[2:3], v[19:20], v[21:22]
	ds_write_b64 v5, v[19:20]
	v_add_u32_e32 v5, 32, v5
	s_andn2_b64 exec, exec, s[16:17]
	s_cbranch_execnz .LBB29_114
	s_branch .LBB29_104
.LBB29_115:
	s_and_saveexec_b64 s[2:3], s[0:1]
	s_cbranch_execz .LBB29_124
; %bb.116:
	s_mul_i32 s33, s33, s44
	v_add_u32_e32 v2, s33, v1
	v_mul_lo_u32 v6, v2, s44
	s_cmp_lg_u32 s45, 0
	v_mul_u32_u24_e32 v2, 0x88, v1
	s_movk_i32 s8, 0x1100
	v_cmp_gt_i32_e64 s[0:1], s44, v1
	s_cselect_b64 s[4:5], -1, 0
	v_add3_u32 v7, v2, v13, s8
	s_mov_b64 s[8:9], 0
	v_mov_b32_e32 v8, v0
	s_branch .LBB29_120
.LBB29_117:                             ;   in Loop: Header=BB29_120 Depth=1
	v_add_u32_e32 v4, v6, v8
.LBB29_118:                             ;   in Loop: Header=BB29_120 Depth=1
	v_ashrrev_i32_e32 v5, 31, v4
	v_lshlrev_b64 v[4:5], 3, v[4:5]
	v_mov_b32_e32 v9, s21
	v_add_co_u32_e32 v4, vcc, s20, v4
	v_addc_co_u32_e32 v5, vcc, v9, v5, vcc
	s_waitcnt lgkmcnt(0)
	global_store_dwordx2 v[4:5], v[2:3], off
.LBB29_119:                             ;   in Loop: Header=BB29_120 Depth=1
	s_or_b64 exec, exec, s[16:17]
	v_add_u32_e32 v8, 4, v8
	v_cmp_le_i32_e32 vcc, s44, v8
	s_or_b64 s[8:9], vcc, s[8:9]
	v_add_u32_e32 v7, 32, v7
	s_andn2_b64 exec, exec, s[8:9]
	s_cbranch_execz .LBB29_124
.LBB29_120:                             ; =>This Inner Loop Header: Depth=1
	s_and_saveexec_b64 s[16:17], s[0:1]
	s_cbranch_execz .LBB29_119
; %bb.121:                              ;   in Loop: Header=BB29_120 Depth=1
	ds_read_b64 v[2:3], v7
	s_and_b64 vcc, exec, s[4:5]
	s_cbranch_vccz .LBB29_123
; %bb.122:                              ;   in Loop: Header=BB29_120 Depth=1
	v_add_u32_e32 v4, s33, v8
	s_waitcnt lgkmcnt(0)
	v_mad_u64_u32 v[4:5], s[18:19], v4, s44, v[1:2]
	s_cbranch_execnz .LBB29_118
	s_branch .LBB29_117
.LBB29_123:                             ;   in Loop: Header=BB29_120 Depth=1
                                        ; implicit-def: $vgpr4
	s_branch .LBB29_117
.LBB29_124:
	s_or_b64 exec, exec, s[2:3]
	v_or_b32_e32 v2, v0, v1
	v_cmp_eq_u32_e32 vcc, 0, v2
	s_and_saveexec_b64 s[0:1], vcc
	s_cbranch_execz .LBB29_126
; %bb.125:
	s_add_u32 s2, s10, s6
	s_addc_u32 s3, s11, s7
	v_mov_b32_e32 v2, 0
	v_mov_b32_e32 v3, 1
	s_waitcnt vmcnt(0)
	global_store_dword v2, v3, s[2:3]
.LBB29_126:
	s_or_b64 exec, exec, s[0:1]
.LBB29_127:
	s_endpgm
.LBB29_128:
	s_cbranch_execz .LBB29_127
; %bb.129:
	v_or_b32_e32 v0, v0, v1
	v_cmp_eq_u32_e32 vcc, 0, v0
	s_and_saveexec_b64 s[0:1], vcc
	s_cbranch_execz .LBB29_127
; %bb.130:
	v_mbcnt_lo_u32_b32 v0, exec_lo, 0
	v_mbcnt_hi_u32_b32 v0, exec_hi, v0
	v_cmp_eq_u32_e32 vcc, 0, v0
	s_and_saveexec_b64 s[0:1], vcc
	s_cbranch_execz .LBB29_132
; %bb.131:
	s_add_i32 s2, s12, s13
	v_mov_b32_e32 v0, 0
	v_mov_b32_e32 v1, s2
	global_atomic_smin v0, v1, s[14:15]
.LBB29_132:
	s_or_b64 exec, exec, s[0:1]
	s_add_u32 s0, s10, s6
	s_addc_u32 s1, s11, s7
	v_mov_b32_e32 v0, 0
	v_mov_b32_e32 v1, 1
	s_waitcnt vmcnt(0)
	global_store_dword v0, v1, s[0:1]
	s_endpgm
	.section	.rodata,"a",@progbits
	.p2align	6, 0x0
	.amdhsa_kernel _ZN9rocsparseL18bsric0_9_16_kernelILi64ELi32ELi16EdEEv20rocsparse_direction_iiPKiS3_PT2_S3_PiS3_S6_21rocsparse_index_base_
		.amdhsa_group_segment_fixed_size 9088
		.amdhsa_private_segment_fixed_size 0
		.amdhsa_kernarg_size 76
		.amdhsa_user_sgpr_count 6
		.amdhsa_user_sgpr_private_segment_buffer 1
		.amdhsa_user_sgpr_dispatch_ptr 0
		.amdhsa_user_sgpr_queue_ptr 0
		.amdhsa_user_sgpr_kernarg_segment_ptr 1
		.amdhsa_user_sgpr_dispatch_id 0
		.amdhsa_user_sgpr_flat_scratch_init 0
		.amdhsa_user_sgpr_private_segment_size 0
		.amdhsa_uses_dynamic_stack 0
		.amdhsa_system_sgpr_private_segment_wavefront_offset 0
		.amdhsa_system_sgpr_workgroup_id_x 1
		.amdhsa_system_sgpr_workgroup_id_y 0
		.amdhsa_system_sgpr_workgroup_id_z 0
		.amdhsa_system_sgpr_workgroup_info 0
		.amdhsa_system_vgpr_workitem_id 1
		.amdhsa_next_free_vgpr 85
		.amdhsa_next_free_sgpr 98
		.amdhsa_reserve_vcc 1
		.amdhsa_reserve_flat_scratch 0
		.amdhsa_float_round_mode_32 0
		.amdhsa_float_round_mode_16_64 0
		.amdhsa_float_denorm_mode_32 3
		.amdhsa_float_denorm_mode_16_64 3
		.amdhsa_dx10_clamp 1
		.amdhsa_ieee_mode 1
		.amdhsa_fp16_overflow 0
		.amdhsa_exception_fp_ieee_invalid_op 0
		.amdhsa_exception_fp_denorm_src 0
		.amdhsa_exception_fp_ieee_div_zero 0
		.amdhsa_exception_fp_ieee_overflow 0
		.amdhsa_exception_fp_ieee_underflow 0
		.amdhsa_exception_fp_ieee_inexact 0
		.amdhsa_exception_int_div_zero 0
	.end_amdhsa_kernel
	.section	.text._ZN9rocsparseL18bsric0_9_16_kernelILi64ELi32ELi16EdEEv20rocsparse_direction_iiPKiS3_PT2_S3_PiS3_S6_21rocsparse_index_base_,"axG",@progbits,_ZN9rocsparseL18bsric0_9_16_kernelILi64ELi32ELi16EdEEv20rocsparse_direction_iiPKiS3_PT2_S3_PiS3_S6_21rocsparse_index_base_,comdat
.Lfunc_end29:
	.size	_ZN9rocsparseL18bsric0_9_16_kernelILi64ELi32ELi16EdEEv20rocsparse_direction_iiPKiS3_PT2_S3_PiS3_S6_21rocsparse_index_base_, .Lfunc_end29-_ZN9rocsparseL18bsric0_9_16_kernelILi64ELi32ELi16EdEEv20rocsparse_direction_iiPKiS3_PT2_S3_PiS3_S6_21rocsparse_index_base_
                                        ; -- End function
	.set _ZN9rocsparseL18bsric0_9_16_kernelILi64ELi32ELi16EdEEv20rocsparse_direction_iiPKiS3_PT2_S3_PiS3_S6_21rocsparse_index_base_.num_vgpr, 30
	.set _ZN9rocsparseL18bsric0_9_16_kernelILi64ELi32ELi16EdEEv20rocsparse_direction_iiPKiS3_PT2_S3_PiS3_S6_21rocsparse_index_base_.num_agpr, 0
	.set _ZN9rocsparseL18bsric0_9_16_kernelILi64ELi32ELi16EdEEv20rocsparse_direction_iiPKiS3_PT2_S3_PiS3_S6_21rocsparse_index_base_.numbered_sgpr, 54
	.set _ZN9rocsparseL18bsric0_9_16_kernelILi64ELi32ELi16EdEEv20rocsparse_direction_iiPKiS3_PT2_S3_PiS3_S6_21rocsparse_index_base_.num_named_barrier, 0
	.set _ZN9rocsparseL18bsric0_9_16_kernelILi64ELi32ELi16EdEEv20rocsparse_direction_iiPKiS3_PT2_S3_PiS3_S6_21rocsparse_index_base_.private_seg_size, 0
	.set _ZN9rocsparseL18bsric0_9_16_kernelILi64ELi32ELi16EdEEv20rocsparse_direction_iiPKiS3_PT2_S3_PiS3_S6_21rocsparse_index_base_.uses_vcc, 1
	.set _ZN9rocsparseL18bsric0_9_16_kernelILi64ELi32ELi16EdEEv20rocsparse_direction_iiPKiS3_PT2_S3_PiS3_S6_21rocsparse_index_base_.uses_flat_scratch, 0
	.set _ZN9rocsparseL18bsric0_9_16_kernelILi64ELi32ELi16EdEEv20rocsparse_direction_iiPKiS3_PT2_S3_PiS3_S6_21rocsparse_index_base_.has_dyn_sized_stack, 0
	.set _ZN9rocsparseL18bsric0_9_16_kernelILi64ELi32ELi16EdEEv20rocsparse_direction_iiPKiS3_PT2_S3_PiS3_S6_21rocsparse_index_base_.has_recursion, 0
	.set _ZN9rocsparseL18bsric0_9_16_kernelILi64ELi32ELi16EdEEv20rocsparse_direction_iiPKiS3_PT2_S3_PiS3_S6_21rocsparse_index_base_.has_indirect_call, 0
	.section	.AMDGPU.csdata,"",@progbits
; Kernel info:
; codeLenInByte = 3872
; TotalNumSgprs: 58
; NumVgprs: 30
; ScratchSize: 0
; MemoryBound: 0
; FloatMode: 240
; IeeeMode: 1
; LDSByteSize: 9088 bytes/workgroup (compile time only)
; SGPRBlocks: 12
; VGPRBlocks: 21
; NumSGPRsForWavesPerEU: 102
; NumVGPRsForWavesPerEU: 85
; Occupancy: 2
; WaveLimiterHint : 1
; COMPUTE_PGM_RSRC2:SCRATCH_EN: 0
; COMPUTE_PGM_RSRC2:USER_SGPR: 6
; COMPUTE_PGM_RSRC2:TRAP_HANDLER: 0
; COMPUTE_PGM_RSRC2:TGID_X_EN: 1
; COMPUTE_PGM_RSRC2:TGID_Y_EN: 0
; COMPUTE_PGM_RSRC2:TGID_Z_EN: 0
; COMPUTE_PGM_RSRC2:TIDIG_COMP_CNT: 1
	.section	.text._ZN9rocsparseL19bsric0_17_32_kernelILi64ELi32ELi32EdEEv20rocsparse_direction_iiPKiS3_PT2_S3_PiS3_S6_21rocsparse_index_base_,"axG",@progbits,_ZN9rocsparseL19bsric0_17_32_kernelILi64ELi32ELi32EdEEv20rocsparse_direction_iiPKiS3_PT2_S3_PiS3_S6_21rocsparse_index_base_,comdat
	.globl	_ZN9rocsparseL19bsric0_17_32_kernelILi64ELi32ELi32EdEEv20rocsparse_direction_iiPKiS3_PT2_S3_PiS3_S6_21rocsparse_index_base_ ; -- Begin function _ZN9rocsparseL19bsric0_17_32_kernelILi64ELi32ELi32EdEEv20rocsparse_direction_iiPKiS3_PT2_S3_PiS3_S6_21rocsparse_index_base_
	.p2align	8
	.type	_ZN9rocsparseL19bsric0_17_32_kernelILi64ELi32ELi32EdEEv20rocsparse_direction_iiPKiS3_PT2_S3_PiS3_S6_21rocsparse_index_base_,@function
_ZN9rocsparseL19bsric0_17_32_kernelILi64ELi32ELi32EdEEv20rocsparse_direction_iiPKiS3_PT2_S3_PiS3_S6_21rocsparse_index_base_: ; @_ZN9rocsparseL19bsric0_17_32_kernelILi64ELi32ELi32EdEEv20rocsparse_direction_iiPKiS3_PT2_S3_PiS3_S6_21rocsparse_index_base_
; %bb.0:
	s_load_dwordx8 s[8:15], s[4:5], 0x28
	s_mov_b32 s7, 0
	s_lshl_b64 s[0:1], s[6:7], 2
	s_waitcnt lgkmcnt(0)
	s_add_u32 s0, s12, s0
	s_addc_u32 s1, s13, s1
	s_load_dword s12, s[0:1], 0x0
	s_waitcnt lgkmcnt(0)
	s_ashr_i32 s13, s12, 31
	s_lshl_b64 s[6:7], s[12:13], 2
	s_add_u32 s0, s8, s6
	s_addc_u32 s1, s9, s7
	s_load_dword s33, s[0:1], 0x0
	s_load_dword s13, s[4:5], 0x48
	s_waitcnt lgkmcnt(0)
	s_cmp_lg_u32 s33, -1
	s_cbranch_scc0 .LBB30_118
; %bb.1:
	s_load_dwordx4 s[16:19], s[4:5], 0x10
	s_load_dwordx2 s[20:21], s[4:5], 0x20
	v_lshlrev_b32_e32 v2, 1, v1
	s_waitcnt lgkmcnt(0)
	s_add_u32 s0, s16, s6
	s_addc_u32 s1, s17, s7
	s_load_dword s0, s[0:1], 0x0
	s_waitcnt lgkmcnt(0)
	s_sub_i32 s48, s0, s13
	v_add3_u32 v2, v2, v0, s48
	v_cmp_ge_i32_e32 vcc, s33, v2
	s_and_saveexec_b64 s[0:1], vcc
	s_cbranch_execz .LBB30_4
; %bb.2:
	v_lshlrev_b32_e32 v3, 2, v0
	v_lshl_add_u32 v3, v1, 3, v3
	v_or_b32_e32 v4, 0x6400, v3
	s_mov_b64 s[2:3], 0
	v_mov_b32_e32 v5, s19
.LBB30_3:                               ; =>This Inner Loop Header: Depth=1
	v_ashrrev_i32_e32 v3, 31, v2
	v_lshlrev_b64 v[6:7], 2, v[2:3]
	v_add_u32_e32 v2, 64, v2
	v_add_co_u32_e32 v6, vcc, s18, v6
	v_addc_co_u32_e32 v7, vcc, v5, v7, vcc
	global_load_dword v3, v[6:7], off
	v_cmp_lt_i32_e32 vcc, s33, v2
	s_or_b64 s[2:3], vcc, s[2:3]
	s_waitcnt vmcnt(0)
	v_subrev_u32_e32 v3, s13, v3
	ds_write_b32 v4, v3
	v_add_u32_e32 v4, 0x100, v4
	s_andn2_b64 exec, exec, s[2:3]
	s_cbranch_execnz .LBB30_3
.LBB30_4:
	s_or_b64 exec, exec, s[0:1]
	v_cmp_gt_u32_e32 vcc, 32, v0
	v_lshlrev_b32_e32 v13, 3, v0
	s_and_saveexec_b64 s[0:1], vcc
	s_cbranch_execz .LBB30_7
; %bb.5:
	v_mul_u32_u24_e32 v2, 0x108, v1
	s_movk_i32 s2, 0x4200
	v_add3_u32 v5, v2, v13, s2
	v_mov_b32_e32 v2, 0
	v_add_u32_e32 v4, -2, v0
	s_mov_b64 s[2:3], 0
	v_mov_b32_e32 v3, v2
.LBB30_6:                               ; =>This Inner Loop Header: Depth=1
	v_add_u32_e32 v4, 2, v4
	v_cmp_lt_u32_e32 vcc, 29, v4
	ds_write_b64 v5, v[2:3]
	s_or_b64 s[2:3], vcc, s[2:3]
	v_add_u32_e32 v5, 16, v5
	s_andn2_b64 exec, exec, s[2:3]
	s_cbranch_execnz .LBB30_6
.LBB30_7:
	s_or_b64 exec, exec, s[0:1]
	s_load_dword s46, s[4:5], 0x8
	s_load_dword s47, s[4:5], 0x0
	s_cmp_ge_i32 s48, s33
	s_waitcnt lgkmcnt(0)
	v_cmp_gt_i32_e64 s[0:1], s46, v0
	s_cbranch_scc1 .LBB30_79
; %bb.8:
	v_or_b32_e32 v3, v0, v1
	s_mul_i32 s29, s46, s48
	v_cmp_ne_u32_e64 s[4:5], 0, v3
	v_add_u32_e32 v3, s29, v1
	s_cmp_eq_u32 s47, 0
	v_mul_lo_u32 v16, s46, v1
	v_mul_lo_u32 v19, s46, v3
	;; [unrolled: 1-line block ×3, first 2 shown]
	s_cselect_b64 s[22:23], -1, 0
	s_cmp_lg_u32 s47, 0
	s_movk_i32 s28, 0x108
	s_cselect_b64 s[24:25], -1, 0
	v_mov_b32_e32 v2, 0x2100
	s_cmp_gt_i32 s46, 0
	v_mad_u32_u24 v17, v1, s28, v13
	s_mul_i32 s49, s46, s46
	v_cmp_gt_i32_e64 s[2:3], s46, v1
	v_mul_u32_u24_e32 v14, 0x108, v1
	v_mad_u32_u24 v15, v1, s28, v2
	s_cselect_b64 s[26:27], -1, 0
	s_lshl_b32 s50, s46, 1
	v_add_u32_e32 v20, 0x4200, v17
	v_mad_u32_u24 v21, v0, s28, v2
	v_add_u32_e32 v22, 0x2100, v17
	v_mov_b32_e32 v2, 0
	v_mov_b32_e32 v23, 0x3ff00000
	s_mov_b32 s28, s48
	s_branch .LBB30_10
.LBB30_9:                               ;   in Loop: Header=BB30_10 Depth=1
	s_or_b64 exec, exec, s[30:31]
	s_add_i32 s28, s28, 1
	s_cmp_ge_i32 s28, s33
	s_waitcnt vmcnt(0)
	buffer_wbinvl1_vol
	v_add_u32_e32 v19, s49, v19
	s_cselect_b64 s[30:31], -1, 0
	s_and_b64 vcc, exec, s[30:31]
	s_cbranch_vccnz .LBB30_79
.LBB30_10:                              ; =>This Loop Header: Depth=1
                                        ;     Child Loop BB30_14 Depth 2
                                        ;     Child Loop BB30_26 Depth 2
	;; [unrolled: 1-line block ×4, first 2 shown]
                                        ;       Child Loop BB30_43 Depth 3
                                        ;         Child Loop BB30_48 Depth 4
                                        ;     Child Loop BB30_57 Depth 2
                                        ;       Child Loop BB30_64 Depth 3
                                        ;       Child Loop BB30_68 Depth 3
                                        ;     Child Loop BB30_73 Depth 2
	s_ashr_i32 s29, s28, 31
	s_lshl_b64 s[30:31], s[28:29], 2
	s_add_u32 s30, s18, s30
	s_addc_u32 s31, s19, s31
	s_load_dword s51, s[30:31], 0x0
	s_waitcnt lgkmcnt(0)
	s_sub_i32 s34, s51, s13
	s_ashr_i32 s35, s34, 31
	s_lshl_b64 s[30:31], s[34:35], 2
	s_add_u32 s36, s8, s30
	s_addc_u32 s37, s9, s31
	s_load_dword s52, s[36:37], 0x0
	s_waitcnt lgkmcnt(0)
	s_cmp_eq_u32 s52, -1
	s_cbranch_scc1 .LBB30_78
; %bb.11:                               ;   in Loop: Header=BB30_10 Depth=1
	s_add_u32 s36, s16, s30
	s_addc_u32 s37, s17, s31
	s_load_dword s35, s[36:37], 0x0
	s_mul_i32 s29, s28, s46
	s_and_saveexec_b64 s[36:37], s[0:1]
	s_cbranch_execz .LBB30_24
; %bb.12:                               ;   in Loop: Header=BB30_10 Depth=1
	s_mov_b64 s[38:39], 0
	v_mov_b32_e32 v6, v17
	v_mov_b32_e32 v7, v0
	s_branch .LBB30_14
.LBB30_13:                              ;   in Loop: Header=BB30_14 Depth=2
	s_or_b64 exec, exec, s[42:43]
	v_add_u32_e32 v7, 2, v7
	v_mov_b32_e32 v3, v2
	v_cmp_le_i32_e32 vcc, s46, v7
	s_waitcnt vmcnt(0)
	ds_write_b64 v6, v[4:5] offset:8448
	ds_write_b64 v6, v[2:3]
	s_or_b64 s[38:39], vcc, s[38:39]
	v_add_u32_e32 v6, 16, v6
	s_andn2_b64 exec, exec, s[38:39]
	s_cbranch_execz .LBB30_24
.LBB30_14:                              ;   Parent Loop BB30_10 Depth=1
                                        ; =>  This Inner Loop Header: Depth=2
	s_mov_b64 s[42:43], -1
	s_and_b64 vcc, exec, s[24:25]
	s_mov_b64 s[40:41], 0
                                        ; implicit-def: $vgpr3
	s_cbranch_vccz .LBB30_19
; %bb.15:                               ;   in Loop: Header=BB30_14 Depth=2
	s_mov_b64 s[42:43], 0
                                        ; implicit-def: $vgpr3
	s_and_saveexec_b64 s[44:45], s[2:3]
	s_xor_b64 s[44:45], exec, s[44:45]
; %bb.16:                               ;   in Loop: Header=BB30_14 Depth=2
	v_add_u32_e32 v3, s29, v7
	v_mad_u64_u32 v[3:4], s[54:55], v3, s46, v[1:2]
	s_mov_b64 s[40:41], exec
; %bb.17:                               ;   in Loop: Header=BB30_14 Depth=2
	s_or_b64 exec, exec, s[44:45]
	s_and_b64 vcc, exec, s[42:43]
	s_cbranch_vccnz .LBB30_20
.LBB30_18:                              ;   in Loop: Header=BB30_14 Depth=2
	v_mov_b32_e32 v4, 0
	v_mov_b32_e32 v5, 0
	s_and_saveexec_b64 s[42:43], s[40:41]
	s_cbranch_execz .LBB30_13
	s_branch .LBB30_23
.LBB30_19:                              ;   in Loop: Header=BB30_14 Depth=2
	s_and_b64 vcc, exec, s[42:43]
	s_cbranch_vccz .LBB30_18
.LBB30_20:                              ;   in Loop: Header=BB30_14 Depth=2
                                        ; implicit-def: $vgpr3
	s_and_saveexec_b64 s[42:43], s[2:3]
; %bb.21:                               ;   in Loop: Header=BB30_14 Depth=2
	v_add_u32_e32 v3, v19, v7
	s_or_b64 s[40:41], s[40:41], exec
; %bb.22:                               ;   in Loop: Header=BB30_14 Depth=2
	s_or_b64 exec, exec, s[42:43]
	v_mov_b32_e32 v4, 0
	v_mov_b32_e32 v5, 0
	s_and_saveexec_b64 s[42:43], s[40:41]
	s_cbranch_execz .LBB30_13
.LBB30_23:                              ;   in Loop: Header=BB30_14 Depth=2
	v_ashrrev_i32_e32 v4, 31, v3
	v_lshlrev_b64 v[3:4], 3, v[3:4]
	v_mov_b32_e32 v5, s21
	v_add_co_u32_e32 v3, vcc, s20, v3
	v_addc_co_u32_e32 v4, vcc, v5, v4, vcc
	global_load_dwordx2 v[4:5], v[3:4], off
	s_branch .LBB30_13
.LBB30_24:                              ;   in Loop: Header=BB30_10 Depth=1
	s_or_b64 exec, exec, s[36:37]
	ds_read_b32 v3, v2 offset:25600
	s_waitcnt lgkmcnt(0)
	s_sub_i32 s36, s35, s13
	s_cmp_le_i32 s36, s52
	s_cselect_b64 s[38:39], -1, 0
	s_mov_b32 s37, 0
	v_cmp_ge_i32_e32 vcc, s34, v3
	s_and_b64 s[38:39], s[38:39], vcc
	s_andn2_b64 vcc, exec, s[38:39]
	s_cbranch_vccnz .LBB30_36
; %bb.25:                               ;   in Loop: Header=BB30_10 Depth=1
	s_mov_b32 s35, 0
	s_mov_b32 s40, 0
.LBB30_26:                              ;   Parent Loop BB30_10 Depth=1
                                        ; =>  This Inner Loop Header: Depth=2
	s_ashr_i32 s37, s36, 31
	s_lshl_b64 s[38:39], s[36:37], 2
	s_add_u32 s38, s18, s38
	s_addc_u32 s39, s19, s39
	s_load_dword s37, s[38:39], 0x0
	s_lshl_b32 s38, s40, 2
	v_mov_b32_e32 v3, s38
	ds_read_b32 v3, v3 offset:25600
	s_mov_b64 s[38:39], -1
	s_waitcnt lgkmcnt(0)
	s_sub_i32 s44, s37, s13
                                        ; implicit-def: $sgpr37
                                        ; implicit-def: $sgpr43
                                        ; implicit-def: $sgpr42
	v_cmp_ge_i32_e32 vcc, s44, v3
	v_readfirstlane_b32 s41, v3
	s_cbranch_vccz .LBB30_32
; %bb.27:                               ;   in Loop: Header=BB30_26 Depth=2
	s_cmp_le_i32 s44, s41
                                        ; implicit-def: $sgpr37
                                        ; implicit-def: $sgpr43
                                        ; implicit-def: $sgpr42
	s_cbranch_scc0 .LBB30_29
; %bb.28:                               ;   in Loop: Header=BB30_26 Depth=2
	s_add_i32 s37, s40, s48
	s_mul_i32 s37, s37, s49
	s_lshl_b32 s38, s35, 2
	v_mov_b32_e32 v3, s38
	v_mov_b32_e32 v4, s37
	s_mul_i32 s37, s36, s49
	v_mov_b32_e32 v5, s37
	v_add_u32_e32 v3, 0x6000, v3
	ds_write2_b32 v3, v5, v4 offset0:192 offset1:224
	s_add_i32 s42, s40, 1
	s_add_i32 s43, s36, 1
	;; [unrolled: 1-line block ×3, first 2 shown]
	s_mov_b64 s[38:39], 0
.LBB30_29:                              ;   in Loop: Header=BB30_26 Depth=2
	s_andn2_b64 vcc, exec, s[38:39]
	s_cbranch_vccnz .LBB30_31
; %bb.30:                               ;   in Loop: Header=BB30_26 Depth=2
	s_add_i32 s42, s40, 1
	s_mov_b32 s37, s35
	s_mov_b32 s43, s36
.LBB30_31:                              ;   in Loop: Header=BB30_26 Depth=2
	s_mov_b64 s[38:39], 0
.LBB30_32:                              ;   in Loop: Header=BB30_26 Depth=2
	s_andn2_b64 vcc, exec, s[38:39]
	s_cbranch_vccnz .LBB30_34
; %bb.33:                               ;   in Loop: Header=BB30_26 Depth=2
	s_add_i32 s43, s36, 1
	s_mov_b32 s42, s40
	s_mov_b32 s37, s35
.LBB30_34:                              ;   in Loop: Header=BB30_26 Depth=2
	s_cmp_le_i32 s43, s52
	s_cselect_b64 s[38:39], -1, 0
	s_cmp_le_i32 s41, s34
	s_cselect_b64 s[40:41], -1, 0
	s_and_b64 s[38:39], s[38:39], s[40:41]
	s_and_b64 vcc, exec, s[38:39]
	s_cbranch_vccz .LBB30_36
; %bb.35:                               ;   in Loop: Header=BB30_26 Depth=2
	s_mov_b32 s35, s37
	s_mov_b32 s36, s43
	;; [unrolled: 1-line block ×3, first 2 shown]
	s_branch .LBB30_26
.LBB30_36:                              ;   in Loop: Header=BB30_10 Depth=1
	s_add_u32 s30, s10, s30
	s_addc_u32 s31, s11, s31
	s_waitcnt lgkmcnt(0)
.LBB30_37:                              ;   Parent Loop BB30_10 Depth=1
                                        ; =>  This Inner Loop Header: Depth=2
	global_load_dword v3, v2, s[30:31] glc
	s_waitcnt vmcnt(0)
	v_cmp_eq_u32_e32 vcc, 0, v3
	s_cbranch_vccnz .LBB30_37
; %bb.38:                               ;   in Loop: Header=BB30_10 Depth=1
	s_cmp_lt_i32 s37, 2
	buffer_wbinvl1_vol
	s_cbranch_scc1 .LBB30_54
; %bb.39:                               ;   in Loop: Header=BB30_10 Depth=1
	s_add_i32 s38, s37, -2
	s_mov_b32 s39, 0
	s_branch .LBB30_41
.LBB30_40:                              ;   in Loop: Header=BB30_41 Depth=2
	s_or_b64 exec, exec, s[30:31]
	s_add_i32 s30, s39, 1
	s_cmp_eq_u32 s39, s38
	s_mov_b32 s39, s30
	s_cbranch_scc1 .LBB30_54
.LBB30_41:                              ;   Parent Loop BB30_10 Depth=1
                                        ; =>  This Loop Header: Depth=2
                                        ;       Child Loop BB30_43 Depth 3
                                        ;         Child Loop BB30_48 Depth 4
	s_and_saveexec_b64 s[30:31], s[0:1]
	s_cbranch_execz .LBB30_40
; %bb.42:                               ;   in Loop: Header=BB30_41 Depth=2
	s_lshl_b32 s34, s39, 2
	v_mov_b32_e32 v3, s34
	v_add_u32_e32 v3, 0x6000, v3
	ds_read2_b32 v[3:4], v3 offset0:192 offset1:224
	s_mov_b64 s[34:35], 0
	v_mov_b32_e32 v28, v0
	s_waitcnt lgkmcnt(0)
	v_add_u32_e32 v24, v4, v16
	v_add_u32_e32 v25, v1, v4
	;; [unrolled: 1-line block ×4, first 2 shown]
.LBB30_43:                              ;   Parent Loop BB30_10 Depth=1
                                        ;     Parent Loop BB30_41 Depth=2
                                        ; =>    This Loop Header: Depth=3
                                        ;         Child Loop BB30_48 Depth 4
	v_mov_b32_e32 v7, 0
	v_mov_b32_e32 v8, 0
	s_mov_b32 s40, 0
	v_mov_b32_e32 v3, v26
	v_mov_b32_e32 v5, v25
	s_mov_b64 s[36:37], -1
	s_and_b64 vcc, exec, s[24:25]
                                        ; implicit-def: $vgpr9_vgpr10
	s_cbranch_vccz .LBB30_48
	s_branch .LBB30_45
.LBB30_44:                              ;   in Loop: Header=BB30_48 Depth=4
	v_mov_b32_e32 v7, v9
	v_mov_b32_e32 v8, v10
	s_mov_b64 s[36:37], -1
	s_and_b64 vcc, exec, s[24:25]
                                        ; implicit-def: $vgpr9_vgpr10
	s_cbranch_vccz .LBB30_48
.LBB30_45:                              ;   in Loop: Header=BB30_43 Depth=3
	v_ashrrev_i32_e32 v4, 31, v3
	v_lshlrev_b64 v[9:10], 3, v[3:4]
	v_mov_b32_e32 v4, s21
	v_add_co_u32_e32 v9, vcc, s20, v9
	v_addc_co_u32_e32 v10, vcc, v4, v10, vcc
	global_load_dwordx2 v[9:10], v[9:10], off
	v_mov_b32_e32 v11, 0
	v_mov_b32_e32 v12, 0
	s_and_saveexec_b64 s[36:37], s[2:3]
	s_cbranch_execz .LBB30_47
; %bb.46:                               ;   in Loop: Header=BB30_43 Depth=3
	v_ashrrev_i32_e32 v6, 31, v5
	v_lshlrev_b64 v[11:12], 3, v[5:6]
	v_mov_b32_e32 v4, s21
	v_add_co_u32_e32 v11, vcc, s20, v11
	v_addc_co_u32_e32 v12, vcc, v4, v12, vcc
	global_load_dwordx2 v[11:12], v[11:12], off
.LBB30_47:                              ;   in Loop: Header=BB30_43 Depth=3
	s_or_b64 exec, exec, s[36:37]
	s_waitcnt vmcnt(0)
	v_fma_f64 v[9:10], v[9:10], v[11:12], v[7:8]
	s_mov_b64 s[36:37], 0
.LBB30_48:                              ;   Parent Loop BB30_10 Depth=1
                                        ;     Parent Loop BB30_41 Depth=2
                                        ;       Parent Loop BB30_43 Depth=3
                                        ; =>      This Inner Loop Header: Depth=4
	s_and_b64 vcc, exec, s[36:37]
	s_cbranch_vccz .LBB30_52
; %bb.49:                               ;   in Loop: Header=BB30_48 Depth=4
	v_add_u32_e32 v9, s40, v27
	v_ashrrev_i32_e32 v10, 31, v9
	v_lshlrev_b64 v[9:10], 3, v[9:10]
	v_mov_b32_e32 v4, s21
	v_add_co_u32_e32 v9, vcc, s20, v9
	v_addc_co_u32_e32 v10, vcc, v4, v10, vcc
	global_load_dwordx2 v[9:10], v[9:10], off
	v_mov_b32_e32 v11, 0
	v_mov_b32_e32 v12, 0
	s_and_saveexec_b64 s[36:37], s[2:3]
	s_cbranch_execz .LBB30_51
; %bb.50:                               ;   in Loop: Header=BB30_48 Depth=4
	v_add_u32_e32 v11, s40, v24
	v_ashrrev_i32_e32 v12, 31, v11
	v_lshlrev_b64 v[11:12], 3, v[11:12]
	v_mov_b32_e32 v4, s21
	v_add_co_u32_e32 v11, vcc, s20, v11
	v_addc_co_u32_e32 v12, vcc, v4, v12, vcc
	global_load_dwordx2 v[11:12], v[11:12], off
.LBB30_51:                              ;   in Loop: Header=BB30_48 Depth=4
	s_or_b64 exec, exec, s[36:37]
	s_waitcnt vmcnt(0)
	v_fma_f64 v[9:10], v[9:10], v[11:12], v[7:8]
.LBB30_52:                              ;   in Loop: Header=BB30_48 Depth=4
	s_add_i32 s40, s40, 1
	v_add_u32_e32 v5, s46, v5
	s_cmp_eq_u32 s46, s40
	v_add_u32_e32 v3, s46, v3
	s_cbranch_scc0 .LBB30_44
; %bb.53:                               ;   in Loop: Header=BB30_43 Depth=3
	v_lshl_add_u32 v5, v28, 3, v14
	ds_read_b64 v[3:4], v5
	v_add_u32_e32 v28, 2, v28
	v_cmp_le_i32_e32 vcc, s46, v28
	v_add_u32_e32 v26, 2, v26
	s_or_b64 s[34:35], vcc, s[34:35]
	s_waitcnt lgkmcnt(0)
	v_add_f64 v[3:4], v[9:10], v[3:4]
	v_add_u32_e32 v27, s50, v27
	ds_write_b64 v5, v[3:4]
	s_andn2_b64 exec, exec, s[34:35]
	s_cbranch_execnz .LBB30_43
	s_branch .LBB30_40
.LBB30_54:                              ;   in Loop: Header=BB30_10 Depth=1
	s_andn2_b64 vcc, exec, s[26:27]
	s_waitcnt lgkmcnt(0)
	s_cbranch_vccnz .LBB30_69
; %bb.55:                               ;   in Loop: Header=BB30_10 Depth=1
	s_mul_i32 s36, s49, s52
	s_mov_b32 s37, 0
	v_mov_b32_e32 v9, v21
	s_mov_b32 s38, s36
	s_branch .LBB30_57
.LBB30_56:                              ;   in Loop: Header=BB30_57 Depth=2
	s_or_b64 exec, exec, s[30:31]
	s_add_i32 s37, s37, 1
	s_add_i32 s38, s38, 1
	s_cmp_eq_u32 s37, s46
	v_add_u32_e32 v9, 8, v9
	s_waitcnt lgkmcnt(0)
	s_cbranch_scc1 .LBB30_69
.LBB30_57:                              ;   Parent Loop BB30_10 Depth=1
                                        ; =>  This Loop Header: Depth=2
                                        ;       Child Loop BB30_64 Depth 3
                                        ;       Child Loop BB30_68 Depth 3
	s_mul_i32 s39, s37, s46
	s_add_i32 s39, s39, s36
	s_add_i32 s30, s39, s37
	s_ashr_i32 s31, s30, 31
	s_lshl_b64 s[30:31], s[30:31], 3
	s_add_u32 s30, s20, s30
	s_addc_u32 s31, s21, s31
	global_load_dwordx2 v[5:6], v2, s[30:31]
	v_lshl_add_u32 v10, s37, 3, v15
	ds_read_b64 v[3:4], v10
	s_waitcnt vmcnt(0)
	v_cmp_neq_f64_e32 vcc, 0, v[5:6]
	v_cndmask_b32_e32 v6, v23, v6, vcc
	s_nor_b64 s[34:35], vcc, s[4:5]
	v_cndmask_b32_e32 v5, 0, v5, vcc
	s_and_saveexec_b64 s[30:31], s[34:35]
	s_cbranch_execz .LBB30_61
; %bb.58:                               ;   in Loop: Header=BB30_57 Depth=2
	v_mbcnt_lo_u32_b32 v5, exec_lo, 0
	v_mbcnt_hi_u32_b32 v5, exec_hi, v5
	v_cmp_eq_u32_e32 vcc, 0, v5
	s_and_saveexec_b64 s[34:35], vcc
	s_cbranch_execz .LBB30_60
; %bb.59:                               ;   in Loop: Header=BB30_57 Depth=2
	v_mov_b32_e32 v5, s51
	global_atomic_smin v2, v5, s[14:15]
.LBB30_60:                              ;   in Loop: Header=BB30_57 Depth=2
	s_or_b64 exec, exec, s[34:35]
	v_mov_b32_e32 v5, 0
	v_mov_b32_e32 v6, 0x3ff00000
.LBB30_61:                              ;   in Loop: Header=BB30_57 Depth=2
	s_or_b64 exec, exec, s[30:31]
	v_lshl_add_u32 v7, s37, 3, v14
	ds_read_b64 v[7:8], v7
	s_cmp_eq_u32 s37, 0
	s_cbranch_scc1 .LBB30_66
; %bb.62:                               ;   in Loop: Header=BB30_57 Depth=2
	s_mov_b32 s34, 0
	s_mov_b32 s35, s37
	;; [unrolled: 1-line block ×3, first 2 shown]
	v_mov_b32_e32 v11, v15
	s_branch .LBB30_64
.LBB30_63:                              ;   in Loop: Header=BB30_64 Depth=3
	s_ashr_i32 s31, s30, 31
	s_lshl_b64 s[30:31], s[30:31], 3
	s_add_u32 s30, s20, s30
	s_addc_u32 s31, s21, s31
	global_load_dwordx2 v[24:25], v2, s[30:31]
	ds_read_b64 v[26:27], v11
	s_add_i32 s34, s34, 1
	s_add_i32 s40, s40, s46
	s_add_i32 s35, s35, -1
	s_cmp_eq_u32 s35, 0
	v_add_u32_e32 v11, 8, v11
	s_waitcnt vmcnt(0) lgkmcnt(0)
	v_fma_f64 v[7:8], v[24:25], v[26:27], v[7:8]
	s_cbranch_scc1 .LBB30_66
.LBB30_64:                              ;   Parent Loop BB30_10 Depth=1
                                        ;     Parent Loop BB30_57 Depth=2
                                        ; =>    This Inner Loop Header: Depth=3
	s_andn2_b64 vcc, exec, s[22:23]
	s_mov_b32 s30, s40
	s_cbranch_vccnz .LBB30_63
; %bb.65:                               ;   in Loop: Header=BB30_64 Depth=3
	s_add_i32 s30, s34, s39
	s_branch .LBB30_63
.LBB30_66:                              ;   in Loop: Header=BB30_57 Depth=2
	s_waitcnt lgkmcnt(0)
	v_add_f64 v[3:4], v[3:4], -v[7:8]
	v_div_scale_f64 v[7:8], s[30:31], v[5:6], v[5:6], v[3:4]
	v_rcp_f64_e32 v[11:12], v[7:8]
	v_fma_f64 v[24:25], -v[7:8], v[11:12], 1.0
	v_fma_f64 v[11:12], v[11:12], v[24:25], v[11:12]
	v_div_scale_f64 v[24:25], vcc, v[3:4], v[5:6], v[3:4]
	v_fma_f64 v[26:27], -v[7:8], v[11:12], 1.0
	v_fma_f64 v[11:12], v[11:12], v[26:27], v[11:12]
	v_mul_f64 v[26:27], v[24:25], v[11:12]
	v_fma_f64 v[7:8], -v[7:8], v[26:27], v[24:25]
	v_div_fmas_f64 v[7:8], v[7:8], v[11:12], v[26:27]
	v_div_fixup_f64 v[3:4], v[7:8], v[5:6], v[3:4]
	ds_write_b64 v10, v[3:4]
	s_waitcnt lgkmcnt(0)
	s_and_saveexec_b64 s[30:31], s[0:1]
	s_cbranch_execz .LBB30_56
; %bb.67:                               ;   in Loop: Header=BB30_57 Depth=2
	s_mov_b64 s[34:35], 0
	v_mov_b32_e32 v5, v9
	v_mov_b32_e32 v6, v20
	;; [unrolled: 1-line block ×3, first 2 shown]
.LBB30_68:                              ;   Parent Loop BB30_10 Depth=1
                                        ;     Parent Loop BB30_57 Depth=2
                                        ; =>    This Inner Loop Header: Depth=3
	ds_read_b64 v[10:11], v5
	ds_read_b64 v[24:25], v6
	v_add_u32_e32 v7, 2, v7
	v_cmp_le_i32_e32 vcc, s46, v7
	s_or_b64 s[34:35], vcc, s[34:35]
	v_add_u32_e32 v5, 0x210, v5
	s_waitcnt lgkmcnt(0)
	v_fma_f64 v[10:11], v[3:4], v[10:11], v[24:25]
	ds_write_b64 v6, v[10:11]
	v_add_u32_e32 v6, 16, v6
	s_andn2_b64 exec, exec, s[34:35]
	s_cbranch_execnz .LBB30_68
	s_branch .LBB30_56
.LBB30_69:                              ;   in Loop: Header=BB30_10 Depth=1
	s_and_saveexec_b64 s[30:31], s[0:1]
	s_cbranch_execz .LBB30_9
; %bb.70:                               ;   in Loop: Header=BB30_10 Depth=1
	s_mov_b64 s[34:35], 0
	v_mov_b32_e32 v7, v22
	v_mov_b32_e32 v8, v0
	s_branch .LBB30_73
.LBB30_71:                              ;   in Loop: Header=BB30_73 Depth=2
	v_ashrrev_i32_e32 v6, 31, v5
	v_lshlrev_b64 v[5:6], 3, v[5:6]
	v_mov_b32_e32 v9, s21
	v_add_co_u32_e32 v5, vcc, s20, v5
	v_addc_co_u32_e32 v6, vcc, v9, v6, vcc
	s_waitcnt lgkmcnt(0)
	global_store_dwordx2 v[5:6], v[3:4], off
.LBB30_72:                              ;   in Loop: Header=BB30_73 Depth=2
	s_or_b64 exec, exec, s[36:37]
	v_add_u32_e32 v8, 2, v8
	v_cmp_le_i32_e32 vcc, s46, v8
	s_or_b64 s[34:35], vcc, s[34:35]
	v_add_u32_e32 v7, 16, v7
	s_andn2_b64 exec, exec, s[34:35]
	s_cbranch_execz .LBB30_9
.LBB30_73:                              ;   Parent Loop BB30_10 Depth=1
                                        ; =>  This Inner Loop Header: Depth=2
	s_and_saveexec_b64 s[36:37], s[2:3]
	s_cbranch_execz .LBB30_72
; %bb.74:                               ;   in Loop: Header=BB30_73 Depth=2
	ds_read_b64 v[3:4], v7
	s_mov_b64 s[38:39], -1
	s_and_b64 vcc, exec, s[24:25]
                                        ; implicit-def: $vgpr5
	s_cbranch_vccz .LBB30_76
; %bb.75:                               ;   in Loop: Header=BB30_73 Depth=2
	v_add_u32_e32 v5, s29, v8
	v_mad_u64_u32 v[5:6], s[38:39], v5, s46, v[1:2]
	s_mov_b64 s[38:39], 0
.LBB30_76:                              ;   in Loop: Header=BB30_73 Depth=2
	s_andn2_b64 vcc, exec, s[38:39]
	s_cbranch_vccnz .LBB30_71
; %bb.77:                               ;   in Loop: Header=BB30_73 Depth=2
	v_add_u32_e32 v5, v19, v8
	s_branch .LBB30_71
.LBB30_78:                              ;   in Loop: Header=BB30_10 Depth=1
                                        ; implicit-def: $sgpr28
                                        ; implicit-def: $vgpr19
	s_cbranch_execz .LBB30_10
.LBB30_79:
	v_cmp_gt_i32_e64 s[0:1], s46, v0
	s_and_saveexec_b64 s[4:5], s[0:1]
	s_cbranch_execz .LBB30_92
; %bb.80:
	s_mul_i32 s26, s33, s46
	v_add_u32_e32 v2, s26, v1
	v_mul_lo_u32 v5, v2, s46
	s_cmp_lg_u32 s47, 0
	v_mul_u32_u24_e32 v2, 0x108, v1
	s_movk_i32 s16, 0x2100
	s_cselect_b64 s[8:9], -1, 0
	v_cmp_gt_i32_e64 s[2:3], s46, v1
	v_add3_u32 v6, v2, v13, s16
	s_mov_b64 s[16:17], 0
	v_mov_b32_e32 v7, v0
	s_branch .LBB30_82
.LBB30_81:                              ;   in Loop: Header=BB30_82 Depth=1
	s_or_b64 exec, exec, s[22:23]
	v_add_u32_e32 v7, 2, v7
	v_cmp_le_i32_e32 vcc, s46, v7
	s_waitcnt vmcnt(0)
	ds_write_b64 v6, v[3:4]
	s_or_b64 s[16:17], vcc, s[16:17]
	v_add_u32_e32 v6, 16, v6
	s_andn2_b64 exec, exec, s[16:17]
	s_cbranch_execz .LBB30_92
.LBB30_82:                              ; =>This Inner Loop Header: Depth=1
	s_and_b64 vcc, exec, s[8:9]
	s_cbranch_vccz .LBB30_89
; %bb.83:                               ;   in Loop: Header=BB30_82 Depth=1
	s_mov_b64 s[22:23], 0
	s_mov_b64 s[18:19], 0
                                        ; implicit-def: $vgpr2
	s_and_saveexec_b64 s[24:25], s[2:3]
	s_xor_b64 s[24:25], exec, s[24:25]
; %bb.84:                               ;   in Loop: Header=BB30_82 Depth=1
	v_add_u32_e32 v2, s26, v7
	s_mov_b64 s[18:19], exec
	v_mad_u64_u32 v[2:3], s[28:29], v2, s46, v[1:2]
; %bb.85:                               ;   in Loop: Header=BB30_82 Depth=1
	s_or_b64 exec, exec, s[24:25]
	s_and_b64 vcc, exec, s[22:23]
	s_cbranch_vccz .LBB30_90
.LBB30_86:                              ;   in Loop: Header=BB30_82 Depth=1
                                        ; implicit-def: $vgpr2
	s_and_saveexec_b64 s[22:23], s[2:3]
; %bb.87:                               ;   in Loop: Header=BB30_82 Depth=1
	v_add_u32_e32 v2, v5, v7
	s_or_b64 s[18:19], s[18:19], exec
; %bb.88:                               ;   in Loop: Header=BB30_82 Depth=1
	s_or_b64 exec, exec, s[22:23]
	v_mov_b32_e32 v3, 0
	v_mov_b32_e32 v4, 0
	s_and_saveexec_b64 s[22:23], s[18:19]
	s_cbranch_execz .LBB30_81
	s_branch .LBB30_91
.LBB30_89:                              ;   in Loop: Header=BB30_82 Depth=1
	s_mov_b64 s[18:19], 0
                                        ; implicit-def: $vgpr2
	s_cbranch_execnz .LBB30_86
.LBB30_90:                              ;   in Loop: Header=BB30_82 Depth=1
	v_mov_b32_e32 v3, 0
	v_mov_b32_e32 v4, 0
	s_and_saveexec_b64 s[22:23], s[18:19]
	s_cbranch_execz .LBB30_81
.LBB30_91:                              ;   in Loop: Header=BB30_82 Depth=1
	v_ashrrev_i32_e32 v3, 31, v2
	v_lshlrev_b64 v[2:3], 3, v[2:3]
	v_mov_b32_e32 v4, s21
	v_add_co_u32_e32 v2, vcc, s20, v2
	v_addc_co_u32_e32 v3, vcc, v4, v3, vcc
	global_load_dwordx2 v[3:4], v[2:3], off
	s_branch .LBB30_81
.LBB30_92:
	s_or_b64 exec, exec, s[4:5]
	s_cmp_lt_i32 s46, 1
	s_waitcnt lgkmcnt(0)
	s_cbranch_scc1 .LBB30_105
; %bb.93:
	v_or_b32_e32 v4, v0, v1
	s_movk_i32 s4, 0x108
	v_mov_b32_e32 v2, 0x2100
	v_mul_u32_u24_e32 v3, 0x108, v1
	v_cmp_ne_u32_e64 s[2:3], 0, v4
	s_movk_i32 s5, 0x4200
	v_mov_b32_e32 v4, 0x4200
	v_mad_u32_u24 v6, v1, s4, v2
	v_mad_u32_u24 v7, v1, s4, v4
	v_lshlrev_b32_e32 v4, 3, v1
	v_add3_u32 v10, v3, v13, s5
	v_mad_u32_u24 v11, v0, s4, v2
	s_mov_b32 s4, 0
	s_mov_b32 s18, 0
	s_add_i32 s19, s12, s13
	v_add_u32_e32 v8, v6, v4
	v_add_u32_e32 v9, v7, v4
	s_brev_b32 s5, 8
	v_mov_b32_e32 v12, 0x260
	v_mov_b32_e32 v14, 0x3ff00000
	;; [unrolled: 1-line block ×5, first 2 shown]
	s_branch .LBB30_95
.LBB30_94:                              ;   in Loop: Header=BB30_95 Depth=1
	s_or_b64 exec, exec, s[8:9]
	s_add_i32 s18, s18, 1
	s_cmp_eq_u32 s18, s46
	v_add_u32_e32 v11, 8, v11
	s_waitcnt lgkmcnt(0)
	s_cbranch_scc1 .LBB30_105
.LBB30_95:                              ; =>This Loop Header: Depth=1
                                        ;     Child Loop BB30_104 Depth 2
	v_cmp_eq_u32_e32 vcc, s18, v1
	s_and_saveexec_b64 s[8:9], vcc
	s_cbranch_execz .LBB30_97
; %bb.96:                               ;   in Loop: Header=BB30_95 Depth=1
	ds_read_b64 v[2:3], v8
	ds_read_b64 v[4:5], v9
	s_waitcnt lgkmcnt(0)
	v_add_f64 v[2:3], v[2:3], -v[4:5]
	v_cmp_gt_f64_e32 vcc, 0, v[2:3]
	v_xor_b32_e32 v4, 0x80000000, v3
	v_cndmask_b32_e32 v3, v3, v4, vcc
	v_cmp_gt_f64_e32 vcc, s[4:5], v[2:3]
	v_cndmask_b32_e32 v4, 0, v16, vcc
	v_ldexp_f64 v[2:3], v[2:3], v4
	v_rsq_f64_e32 v[4:5], v[2:3]
	v_mul_f64 v[18:19], v[2:3], v[4:5]
	v_mul_f64 v[4:5], v[4:5], 0.5
	v_fma_f64 v[20:21], -v[4:5], v[18:19], 0.5
	v_fma_f64 v[18:19], v[18:19], v[20:21], v[18:19]
	v_fma_f64 v[4:5], v[4:5], v[20:21], v[4:5]
	v_fma_f64 v[20:21], -v[18:19], v[18:19], v[2:3]
	v_fma_f64 v[18:19], v[20:21], v[4:5], v[18:19]
	v_fma_f64 v[20:21], -v[18:19], v[18:19], v[2:3]
	v_fma_f64 v[4:5], v[20:21], v[4:5], v[18:19]
	v_cndmask_b32_e32 v18, 0, v17, vcc
	v_cmp_class_f64_e32 vcc, v[2:3], v12
	v_ldexp_f64 v[4:5], v[4:5], v18
	v_cndmask_b32_e32 v3, v5, v3, vcc
	v_cndmask_b32_e32 v2, v4, v2, vcc
	ds_write_b64 v8, v[2:3]
.LBB30_97:                              ;   in Loop: Header=BB30_95 Depth=1
	s_or_b64 exec, exec, s[8:9]
	s_lshl_b32 s8, s18, 3
	s_mul_i32 s9, s18, 0x108
	s_add_i32 s9, s9, s8
	v_mov_b32_e32 v2, s9
	s_waitcnt lgkmcnt(0)
	ds_read_b64 v[4:5], v2 offset:8448
	v_add_u32_e32 v18, s8, v6
	ds_read_b64 v[2:3], v18
	s_waitcnt lgkmcnt(1)
	v_cmp_neq_f64_e32 vcc, 0, v[4:5]
	v_cndmask_b32_e32 v5, v14, v5, vcc
	s_nor_b64 s[16:17], vcc, s[2:3]
	v_cndmask_b32_e32 v4, 0, v4, vcc
	s_and_saveexec_b64 s[8:9], s[16:17]
	s_cbranch_execz .LBB30_101
; %bb.98:                               ;   in Loop: Header=BB30_95 Depth=1
	v_mbcnt_lo_u32_b32 v4, exec_lo, 0
	v_mbcnt_hi_u32_b32 v4, exec_hi, v4
	v_cmp_eq_u32_e32 vcc, 0, v4
	s_and_saveexec_b64 s[16:17], vcc
	s_cbranch_execz .LBB30_100
; %bb.99:                               ;   in Loop: Header=BB30_95 Depth=1
	v_mov_b32_e32 v4, s19
	global_atomic_smin v15, v4, s[14:15]
.LBB30_100:                             ;   in Loop: Header=BB30_95 Depth=1
	s_or_b64 exec, exec, s[16:17]
	v_mov_b32_e32 v4, 0
	v_mov_b32_e32 v5, 0x3ff00000
.LBB30_101:                             ;   in Loop: Header=BB30_95 Depth=1
	s_or_b64 exec, exec, s[8:9]
	v_cmp_lt_u32_e32 vcc, s18, v1
	s_and_saveexec_b64 s[8:9], vcc
	s_cbranch_execz .LBB30_94
; %bb.102:                              ;   in Loop: Header=BB30_95 Depth=1
	v_lshl_add_u32 v19, s18, 3, v7
	ds_read_b64 v[19:20], v19
	s_waitcnt lgkmcnt(0)
	v_add_f64 v[2:3], v[2:3], -v[19:20]
	v_div_scale_f64 v[19:20], s[16:17], v[4:5], v[4:5], v[2:3]
	v_rcp_f64_e32 v[21:22], v[19:20]
	v_fma_f64 v[23:24], -v[19:20], v[21:22], 1.0
	v_fma_f64 v[21:22], v[21:22], v[23:24], v[21:22]
	v_div_scale_f64 v[23:24], vcc, v[2:3], v[4:5], v[2:3]
	v_fma_f64 v[25:26], -v[19:20], v[21:22], 1.0
	v_fma_f64 v[21:22], v[21:22], v[25:26], v[21:22]
	v_mul_f64 v[25:26], v[23:24], v[21:22]
	v_fma_f64 v[19:20], -v[19:20], v[25:26], v[23:24]
	v_div_fmas_f64 v[19:20], v[19:20], v[21:22], v[25:26]
	v_div_fixup_f64 v[2:3], v[19:20], v[4:5], v[2:3]
	ds_write_b64 v18, v[2:3]
	s_waitcnt lgkmcnt(0)
	s_and_b64 exec, exec, s[0:1]
	s_cbranch_execz .LBB30_94
; %bb.103:                              ;   in Loop: Header=BB30_95 Depth=1
	s_mov_b64 s[16:17], 0
	v_mov_b32_e32 v4, v11
	v_mov_b32_e32 v5, v10
	;; [unrolled: 1-line block ×3, first 2 shown]
.LBB30_104:                             ;   Parent Loop BB30_95 Depth=1
                                        ; =>  This Inner Loop Header: Depth=2
	ds_read_b64 v[19:20], v4
	ds_read_b64 v[21:22], v5
	v_add_u32_e32 v18, 2, v18
	v_cmp_le_i32_e32 vcc, s46, v18
	s_or_b64 s[16:17], vcc, s[16:17]
	v_add_u32_e32 v4, 0x210, v4
	s_waitcnt lgkmcnt(0)
	v_fma_f64 v[19:20], v[2:3], v[19:20], v[21:22]
	ds_write_b64 v5, v[19:20]
	v_add_u32_e32 v5, 16, v5
	s_andn2_b64 exec, exec, s[16:17]
	s_cbranch_execnz .LBB30_104
	s_branch .LBB30_94
.LBB30_105:
	s_and_saveexec_b64 s[2:3], s[0:1]
	s_cbranch_execz .LBB30_114
; %bb.106:
	s_mul_i32 s33, s33, s46
	v_add_u32_e32 v2, s33, v1
	v_mul_lo_u32 v6, v2, s46
	s_cmp_lg_u32 s47, 0
	v_mul_u32_u24_e32 v2, 0x108, v1
	s_movk_i32 s8, 0x2100
	v_cmp_gt_i32_e64 s[0:1], s46, v1
	s_cselect_b64 s[4:5], -1, 0
	v_add3_u32 v7, v2, v13, s8
	s_mov_b64 s[8:9], 0
	v_mov_b32_e32 v8, v0
	s_branch .LBB30_110
.LBB30_107:                             ;   in Loop: Header=BB30_110 Depth=1
	v_add_u32_e32 v4, v6, v8
.LBB30_108:                             ;   in Loop: Header=BB30_110 Depth=1
	v_ashrrev_i32_e32 v5, 31, v4
	v_lshlrev_b64 v[4:5], 3, v[4:5]
	v_mov_b32_e32 v9, s21
	v_add_co_u32_e32 v4, vcc, s20, v4
	v_addc_co_u32_e32 v5, vcc, v9, v5, vcc
	s_waitcnt lgkmcnt(0)
	global_store_dwordx2 v[4:5], v[2:3], off
.LBB30_109:                             ;   in Loop: Header=BB30_110 Depth=1
	s_or_b64 exec, exec, s[16:17]
	v_add_u32_e32 v8, 2, v8
	v_cmp_le_i32_e32 vcc, s46, v8
	s_or_b64 s[8:9], vcc, s[8:9]
	v_add_u32_e32 v7, 16, v7
	s_andn2_b64 exec, exec, s[8:9]
	s_cbranch_execz .LBB30_114
.LBB30_110:                             ; =>This Inner Loop Header: Depth=1
	s_and_saveexec_b64 s[16:17], s[0:1]
	s_cbranch_execz .LBB30_109
; %bb.111:                              ;   in Loop: Header=BB30_110 Depth=1
	ds_read_b64 v[2:3], v7
	s_and_b64 vcc, exec, s[4:5]
	s_cbranch_vccz .LBB30_113
; %bb.112:                              ;   in Loop: Header=BB30_110 Depth=1
	v_add_u32_e32 v4, s33, v8
	s_waitcnt lgkmcnt(0)
	v_mad_u64_u32 v[4:5], s[18:19], v4, s46, v[1:2]
	s_cbranch_execnz .LBB30_108
	s_branch .LBB30_107
.LBB30_113:                             ;   in Loop: Header=BB30_110 Depth=1
                                        ; implicit-def: $vgpr4
	s_branch .LBB30_107
.LBB30_114:
	s_or_b64 exec, exec, s[2:3]
	v_or_b32_e32 v2, v0, v1
	v_cmp_eq_u32_e32 vcc, 0, v2
	s_and_saveexec_b64 s[0:1], vcc
	s_cbranch_execz .LBB30_116
; %bb.115:
	s_add_u32 s2, s10, s6
	s_addc_u32 s3, s11, s7
	v_mov_b32_e32 v2, 0
	v_mov_b32_e32 v3, 1
	s_waitcnt vmcnt(0)
	global_store_dword v2, v3, s[2:3]
.LBB30_116:
	s_or_b64 exec, exec, s[0:1]
.LBB30_117:
	s_endpgm
.LBB30_118:
	s_cbranch_execz .LBB30_117
; %bb.119:
	v_or_b32_e32 v0, v0, v1
	v_cmp_eq_u32_e32 vcc, 0, v0
	s_and_saveexec_b64 s[0:1], vcc
	s_cbranch_execz .LBB30_117
; %bb.120:
	v_mbcnt_lo_u32_b32 v0, exec_lo, 0
	v_mbcnt_hi_u32_b32 v0, exec_hi, v0
	v_cmp_eq_u32_e32 vcc, 0, v0
	s_and_saveexec_b64 s[0:1], vcc
	s_cbranch_execz .LBB30_122
; %bb.121:
	s_add_i32 s2, s12, s13
	v_mov_b32_e32 v0, 0
	v_mov_b32_e32 v1, s2
	global_atomic_smin v0, v1, s[14:15]
.LBB30_122:
	s_or_b64 exec, exec, s[0:1]
	s_add_u32 s0, s10, s6
	s_addc_u32 s1, s11, s7
	v_mov_b32_e32 v0, 0
	v_mov_b32_e32 v1, 1
	s_waitcnt vmcnt(0)
	global_store_dword v0, v1, s[0:1]
	s_endpgm
	.section	.rodata,"a",@progbits
	.p2align	6, 0x0
	.amdhsa_kernel _ZN9rocsparseL19bsric0_17_32_kernelILi64ELi32ELi32EdEEv20rocsparse_direction_iiPKiS3_PT2_S3_PiS3_S6_21rocsparse_index_base_
		.amdhsa_group_segment_fixed_size 25728
		.amdhsa_private_segment_fixed_size 0
		.amdhsa_kernarg_size 76
		.amdhsa_user_sgpr_count 6
		.amdhsa_user_sgpr_private_segment_buffer 1
		.amdhsa_user_sgpr_dispatch_ptr 0
		.amdhsa_user_sgpr_queue_ptr 0
		.amdhsa_user_sgpr_kernarg_segment_ptr 1
		.amdhsa_user_sgpr_dispatch_id 0
		.amdhsa_user_sgpr_flat_scratch_init 0
		.amdhsa_user_sgpr_private_segment_size 0
		.amdhsa_uses_dynamic_stack 0
		.amdhsa_system_sgpr_private_segment_wavefront_offset 0
		.amdhsa_system_sgpr_workgroup_id_x 1
		.amdhsa_system_sgpr_workgroup_id_y 0
		.amdhsa_system_sgpr_workgroup_id_z 0
		.amdhsa_system_sgpr_workgroup_info 0
		.amdhsa_system_vgpr_workitem_id 1
		.amdhsa_next_free_vgpr 129
		.amdhsa_next_free_sgpr 98
		.amdhsa_reserve_vcc 1
		.amdhsa_reserve_flat_scratch 0
		.amdhsa_float_round_mode_32 0
		.amdhsa_float_round_mode_16_64 0
		.amdhsa_float_denorm_mode_32 3
		.amdhsa_float_denorm_mode_16_64 3
		.amdhsa_dx10_clamp 1
		.amdhsa_ieee_mode 1
		.amdhsa_fp16_overflow 0
		.amdhsa_exception_fp_ieee_invalid_op 0
		.amdhsa_exception_fp_denorm_src 0
		.amdhsa_exception_fp_ieee_div_zero 0
		.amdhsa_exception_fp_ieee_overflow 0
		.amdhsa_exception_fp_ieee_underflow 0
		.amdhsa_exception_fp_ieee_inexact 0
		.amdhsa_exception_int_div_zero 0
	.end_amdhsa_kernel
	.section	.text._ZN9rocsparseL19bsric0_17_32_kernelILi64ELi32ELi32EdEEv20rocsparse_direction_iiPKiS3_PT2_S3_PiS3_S6_21rocsparse_index_base_,"axG",@progbits,_ZN9rocsparseL19bsric0_17_32_kernelILi64ELi32ELi32EdEEv20rocsparse_direction_iiPKiS3_PT2_S3_PiS3_S6_21rocsparse_index_base_,comdat
.Lfunc_end30:
	.size	_ZN9rocsparseL19bsric0_17_32_kernelILi64ELi32ELi32EdEEv20rocsparse_direction_iiPKiS3_PT2_S3_PiS3_S6_21rocsparse_index_base_, .Lfunc_end30-_ZN9rocsparseL19bsric0_17_32_kernelILi64ELi32ELi32EdEEv20rocsparse_direction_iiPKiS3_PT2_S3_PiS3_S6_21rocsparse_index_base_
                                        ; -- End function
	.set _ZN9rocsparseL19bsric0_17_32_kernelILi64ELi32ELi32EdEEv20rocsparse_direction_iiPKiS3_PT2_S3_PiS3_S6_21rocsparse_index_base_.num_vgpr, 29
	.set _ZN9rocsparseL19bsric0_17_32_kernelILi64ELi32ELi32EdEEv20rocsparse_direction_iiPKiS3_PT2_S3_PiS3_S6_21rocsparse_index_base_.num_agpr, 0
	.set _ZN9rocsparseL19bsric0_17_32_kernelILi64ELi32ELi32EdEEv20rocsparse_direction_iiPKiS3_PT2_S3_PiS3_S6_21rocsparse_index_base_.numbered_sgpr, 56
	.set _ZN9rocsparseL19bsric0_17_32_kernelILi64ELi32ELi32EdEEv20rocsparse_direction_iiPKiS3_PT2_S3_PiS3_S6_21rocsparse_index_base_.num_named_barrier, 0
	.set _ZN9rocsparseL19bsric0_17_32_kernelILi64ELi32ELi32EdEEv20rocsparse_direction_iiPKiS3_PT2_S3_PiS3_S6_21rocsparse_index_base_.private_seg_size, 0
	.set _ZN9rocsparseL19bsric0_17_32_kernelILi64ELi32ELi32EdEEv20rocsparse_direction_iiPKiS3_PT2_S3_PiS3_S6_21rocsparse_index_base_.uses_vcc, 1
	.set _ZN9rocsparseL19bsric0_17_32_kernelILi64ELi32ELi32EdEEv20rocsparse_direction_iiPKiS3_PT2_S3_PiS3_S6_21rocsparse_index_base_.uses_flat_scratch, 0
	.set _ZN9rocsparseL19bsric0_17_32_kernelILi64ELi32ELi32EdEEv20rocsparse_direction_iiPKiS3_PT2_S3_PiS3_S6_21rocsparse_index_base_.has_dyn_sized_stack, 0
	.set _ZN9rocsparseL19bsric0_17_32_kernelILi64ELi32ELi32EdEEv20rocsparse_direction_iiPKiS3_PT2_S3_PiS3_S6_21rocsparse_index_base_.has_recursion, 0
	.set _ZN9rocsparseL19bsric0_17_32_kernelILi64ELi32ELi32EdEEv20rocsparse_direction_iiPKiS3_PT2_S3_PiS3_S6_21rocsparse_index_base_.has_indirect_call, 0
	.section	.AMDGPU.csdata,"",@progbits
; Kernel info:
; codeLenInByte = 3712
; TotalNumSgprs: 60
; NumVgprs: 29
; ScratchSize: 0
; MemoryBound: 0
; FloatMode: 240
; IeeeMode: 1
; LDSByteSize: 25728 bytes/workgroup (compile time only)
; SGPRBlocks: 12
; VGPRBlocks: 32
; NumSGPRsForWavesPerEU: 102
; NumVGPRsForWavesPerEU: 129
; Occupancy: 1
; WaveLimiterHint : 1
; COMPUTE_PGM_RSRC2:SCRATCH_EN: 0
; COMPUTE_PGM_RSRC2:USER_SGPR: 6
; COMPUTE_PGM_RSRC2:TRAP_HANDLER: 0
; COMPUTE_PGM_RSRC2:TGID_X_EN: 1
; COMPUTE_PGM_RSRC2:TGID_Y_EN: 0
; COMPUTE_PGM_RSRC2:TGID_Z_EN: 0
; COMPUTE_PGM_RSRC2:TIDIG_COMP_CNT: 1
	.section	.text._ZN9rocsparseL23bsric0_binsearch_kernelILj64ELj64ELb0EdEEv20rocsparse_direction_iiPKiS3_PT2_S3_PiS3_S6_21rocsparse_index_base_,"axG",@progbits,_ZN9rocsparseL23bsric0_binsearch_kernelILj64ELj64ELb0EdEEv20rocsparse_direction_iiPKiS3_PT2_S3_PiS3_S6_21rocsparse_index_base_,comdat
	.globl	_ZN9rocsparseL23bsric0_binsearch_kernelILj64ELj64ELb0EdEEv20rocsparse_direction_iiPKiS3_PT2_S3_PiS3_S6_21rocsparse_index_base_ ; -- Begin function _ZN9rocsparseL23bsric0_binsearch_kernelILj64ELj64ELb0EdEEv20rocsparse_direction_iiPKiS3_PT2_S3_PiS3_S6_21rocsparse_index_base_
	.p2align	8
	.type	_ZN9rocsparseL23bsric0_binsearch_kernelILj64ELj64ELb0EdEEv20rocsparse_direction_iiPKiS3_PT2_S3_PiS3_S6_21rocsparse_index_base_,@function
_ZN9rocsparseL23bsric0_binsearch_kernelILj64ELj64ELb0EdEEv20rocsparse_direction_iiPKiS3_PT2_S3_PiS3_S6_21rocsparse_index_base_: ; @_ZN9rocsparseL23bsric0_binsearch_kernelILj64ELj64ELb0EdEEv20rocsparse_direction_iiPKiS3_PT2_S3_PiS3_S6_21rocsparse_index_base_
; %bb.0:
	s_load_dwordx8 s[16:23], s[4:5], 0x28
	s_ashr_i32 s7, s6, 31
	s_lshl_b64 s[0:1], s[6:7], 2
	v_mov_b32_e32 v1, 0
	s_load_dword s33, s[4:5], 0x48
	s_waitcnt lgkmcnt(0)
	s_add_u32 s0, s20, s0
	s_addc_u32 s1, s21, s1
	global_load_dword v3, v1, s[0:1]
	v_mov_b32_e32 v5, s17
	s_waitcnt vmcnt(0)
	v_ashrrev_i32_e32 v4, 31, v3
	v_lshlrev_b64 v[1:2], 2, v[3:4]
	v_add_co_u32_e32 v4, vcc, s16, v1
	v_addc_co_u32_e32 v5, vcc, v5, v2, vcc
	global_load_dword v21, v[4:5], off
	s_waitcnt vmcnt(0)
	v_readfirstlane_b32 s0, v21
	s_cmp_lg_u32 s0, -1
	s_cselect_b64 s[0:1], -1, 0
	s_and_saveexec_b64 s[2:3], s[0:1]
	s_xor_b64 s[14:15], exec, s[2:3]
	s_cbranch_execz .LBB31_69
; %bb.1:
	s_load_dword s52, s[4:5], 0x8
	s_waitcnt lgkmcnt(0)
	v_cmp_gt_i32_e32 vcc, s52, v0
	s_and_saveexec_b64 s[20:21], vcc
	s_cbranch_execz .LBB31_66
; %bb.2:
	s_load_dwordx4 s[24:27], s[4:5], 0x10
	s_load_dword s6, s[4:5], 0x0
	v_add_u32_e32 v22, s33, v3
	s_mul_i32 s53, s52, s52
	s_load_dwordx2 s[28:29], s[4:5], 0x20
	s_waitcnt lgkmcnt(0)
	v_mov_b32_e32 v5, s25
	v_add_co_u32_e32 v4, vcc, s24, v1
	v_addc_co_u32_e32 v5, vcc, v5, v2, vcc
	global_load_dwordx2 v[4:5], v[4:5], off
	v_mul_lo_u32 v28, v21, s53
	s_cmp_eq_u32 s6, 0
	s_mov_b32 s34, 0
	v_mov_b32_e32 v6, s27
	s_cselect_b64 s[2:3], -1, 0
	s_cmp_lg_u32 s6, 0
	v_cmp_ne_u32_e64 s[0:1], 0, v0
	s_mov_b64 s[30:31], 0
	v_mov_b32_e32 v23, 0
	s_brev_b32 s35, 8
	v_mov_b32_e32 v24, 0x260
	v_mov_b32_e32 v25, 0x3ff00000
	;; [unrolled: 1-line block ×4, first 2 shown]
	s_cselect_b64 s[36:37], -1, 0
	v_mov_b32_e32 v33, v0
	s_waitcnt vmcnt(0)
	v_subrev_u32_e32 v29, s33, v4
	v_xad_u32 v30, s33, -1, v5
	v_add_u32_e32 v3, v30, v29
	v_ashrrev_i32_e32 v3, 1, v3
	v_mul_lo_u32 v31, s53, v29
	v_ashrrev_i32_e32 v4, 31, v3
	v_lshlrev_b64 v[4:5], 2, v[3:4]
	v_cmp_lt_i32_e64 s[4:5], v29, v21
	v_add_co_u32_e32 v4, vcc, s26, v4
	v_cmp_ge_i32_e64 s[6:7], v29, v21
	v_cmp_lt_i32_e64 s[8:9], v29, v30
	v_add_u32_e32 v32, v31, v0
	v_addc_co_u32_e32 v5, vcc, v6, v5, vcc
	s_branch .LBB31_4
.LBB31_3:                               ;   in Loop: Header=BB31_4 Depth=1
	v_add_u32_e32 v33, 64, v33
	v_cmp_le_i32_e32 vcc, s52, v33
	s_or_b64 s[30:31], vcc, s[30:31]
	v_add_u32_e32 v32, 64, v32
	s_andn2_b64 exec, exec, s[30:31]
	s_cbranch_execz .LBB31_66
.LBB31_4:                               ; =>This Loop Header: Depth=1
                                        ;     Child Loop BB31_9 Depth 2
                                        ;       Child Loop BB31_12 Depth 3
                                        ;       Child Loop BB31_16 Depth 3
                                        ;         Child Loop BB31_18 Depth 4
                                        ;         Child Loop BB31_25 Depth 4
                                        ;           Child Loop BB31_27 Depth 5
                                        ;           Child Loop BB31_33 Depth 5
                                        ;     Child Loop BB31_40 Depth 2
                                        ;       Child Loop BB31_44 Depth 3
                                        ;       Child Loop BB31_52 Depth 3
                                        ;         Child Loop BB31_54 Depth 4
                                        ;       Child Loop BB31_62 Depth 3
	v_mul_lo_u32 v34, v33, s52
	s_and_saveexec_b64 s[10:11], s[6:7]
	s_xor_b64 s[10:11], exec, s[10:11]
; %bb.5:                                ;   in Loop: Header=BB31_4 Depth=1
	v_mul_lo_u32 v34, v33, s52
; %bb.6:                                ;   in Loop: Header=BB31_4 Depth=1
	s_or_saveexec_b64 s[38:39], s[10:11]
	v_mov_b32_e32 v6, 0
	v_mov_b32_e32 v7, 0
	s_xor_b64 exec, exec, s[38:39]
	s_cbranch_execz .LBB31_37
; %bb.7:                                ;   in Loop: Header=BB31_4 Depth=1
	v_mov_b32_e32 v6, 0
	v_mov_b32_e32 v7, 0
	s_mov_b64 s[40:41], 0
	v_mov_b32_e32 v8, v29
	s_branch .LBB31_9
.LBB31_8:                               ;   in Loop: Header=BB31_9 Depth=2
	s_or_b64 exec, exec, s[42:43]
	v_add_u32_e32 v8, 1, v8
	v_cmp_ge_i32_e32 vcc, v8, v21
	s_xor_b64 s[10:11], s[10:11], -1
	s_or_b64 s[10:11], s[10:11], vcc
	s_and_b64 s[10:11], exec, s[10:11]
	s_or_b64 s[40:41], s[10:11], s[40:41]
	s_andn2_b64 exec, exec, s[40:41]
	s_cbranch_execz .LBB31_36
.LBB31_9:                               ;   Parent Loop BB31_4 Depth=1
                                        ; =>  This Loop Header: Depth=2
                                        ;       Child Loop BB31_12 Depth 3
                                        ;       Child Loop BB31_16 Depth 3
                                        ;         Child Loop BB31_18 Depth 4
                                        ;         Child Loop BB31_25 Depth 4
                                        ;           Child Loop BB31_27 Depth 5
                                        ;           Child Loop BB31_33 Depth 5
	v_ashrrev_i32_e32 v9, 31, v8
	v_lshlrev_b64 v[9:10], 2, v[8:9]
	v_mov_b32_e32 v11, s27
	v_add_co_u32_e32 v9, vcc, s26, v9
	v_addc_co_u32_e32 v10, vcc, v11, v10, vcc
	global_load_dword v35, v[9:10], off
	v_mov_b32_e32 v13, s17
	s_waitcnt vmcnt(0)
	v_subrev_u32_e32 v9, s33, v35
	v_ashrrev_i32_e32 v10, 31, v9
	v_lshlrev_b64 v[10:11], 2, v[9:10]
	v_add_co_u32_e32 v12, vcc, s16, v10
	v_addc_co_u32_e32 v13, vcc, v13, v11, vcc
	global_load_dword v36, v[12:13], off
	s_waitcnt vmcnt(0)
	v_cmp_ne_u32_e64 s[10:11], -1, v36
	s_and_saveexec_b64 s[42:43], s[10:11]
	s_cbranch_execz .LBB31_8
; %bb.10:                               ;   in Loop: Header=BB31_9 Depth=2
	v_mov_b32_e32 v13, s25
	v_add_co_u32_e32 v12, vcc, s24, v10
	v_addc_co_u32_e32 v13, vcc, v13, v11, vcc
	global_load_dword v12, v[12:13], off
	v_mov_b32_e32 v13, s19
	v_add_co_u32_e32 v10, vcc, s18, v10
	v_addc_co_u32_e32 v11, vcc, v13, v11, vcc
	global_load_dword v13, v[10:11], off glc
	s_waitcnt vmcnt(0)
	v_cmp_eq_u32_e32 vcc, 0, v13
	s_and_saveexec_b64 s[12:13], vcc
	s_cbranch_execz .LBB31_13
; %bb.11:                               ;   in Loop: Header=BB31_9 Depth=2
	s_mov_b64 s[44:45], 0
.LBB31_12:                              ;   Parent Loop BB31_4 Depth=1
                                        ;     Parent Loop BB31_9 Depth=2
                                        ; =>    This Inner Loop Header: Depth=3
	global_load_dword v13, v[10:11], off glc
	s_waitcnt vmcnt(0)
	v_cmp_ne_u32_e32 vcc, 0, v13
	s_or_b64 s[44:45], vcc, s[44:45]
	s_andn2_b64 exec, exec, s[44:45]
	s_cbranch_execnz .LBB31_12
.LBB31_13:                              ;   in Loop: Header=BB31_9 Depth=2
	s_or_b64 exec, exec, s[12:13]
	v_subrev_u32_e32 v37, s33, v12
	v_mul_lo_u32 v10, v8, s53
	v_mul_lo_u32 v38, v9, s52
	;; [unrolled: 1-line block ×4, first 2 shown]
	v_add_u32_e32 v40, v10, v33
	v_add_u32_e32 v42, v10, v34
	v_cmp_le_i32_e64 s[12:13], v37, v36
	s_mov_b32 s54, 0
	buffer_wbinvl1_vol
	s_branch .LBB31_16
.LBB31_14:                              ;   in Loop: Header=BB31_16 Depth=3
	s_or_b64 exec, exec, s[46:47]
.LBB31_15:                              ;   in Loop: Header=BB31_16 Depth=3
	s_or_b64 exec, exec, s[44:45]
	s_waitcnt vmcnt(0)
	v_add_f64 v[13:14], v[13:14], -v[15:16]
	s_add_i32 s54, s54, 1
	s_cmp_eq_u32 s54, s52
	v_add_u32_e32 v41, 1, v41
	v_div_scale_f64 v[15:16], s[44:45], v[9:10], v[9:10], v[13:14]
	v_div_scale_f64 v[43:44], vcc, v[13:14], v[9:10], v[13:14]
	v_rcp_f64_e32 v[17:18], v[15:16]
	v_fma_f64 v[19:20], -v[15:16], v[17:18], 1.0
	v_fma_f64 v[17:18], v[17:18], v[19:20], v[17:18]
	v_fma_f64 v[19:20], -v[15:16], v[17:18], 1.0
	v_fma_f64 v[17:18], v[17:18], v[19:20], v[17:18]
	v_mul_f64 v[19:20], v[43:44], v[17:18]
	v_fma_f64 v[15:16], -v[15:16], v[19:20], v[43:44]
	v_div_fmas_f64 v[15:16], v[15:16], v[17:18], v[19:20]
	v_div_fixup_f64 v[9:10], v[15:16], v[9:10], v[13:14]
	v_fma_f64 v[6:7], v[9:10], v[9:10], v[6:7]
	global_store_dwordx2 v[11:12], v[9:10], off
	s_cbranch_scc1 .LBB31_8
.LBB31_16:                              ;   Parent Loop BB31_4 Depth=1
                                        ;     Parent Loop BB31_9 Depth=2
                                        ; =>    This Loop Header: Depth=3
                                        ;         Child Loop BB31_18 Depth 4
                                        ;         Child Loop BB31_25 Depth 4
                                        ;           Child Loop BB31_27 Depth 5
                                        ;           Child Loop BB31_33 Depth 5
	s_mul_i32 s55, s54, s52
	s_add_i32 s44, s55, s54
	v_add_u32_e32 v9, s44, v39
	v_ashrrev_i32_e32 v10, 31, v9
	v_lshlrev_b64 v[9:10], 3, v[9:10]
	v_mov_b32_e32 v11, s29
	v_add_co_u32_e32 v9, vcc, s28, v9
	v_addc_co_u32_e32 v10, vcc, v11, v10, vcc
	global_load_dwordx2 v[9:10], v[9:10], off
	s_waitcnt vmcnt(0)
	v_cmp_neq_f64_e32 vcc, 0, v[9:10]
	v_cndmask_b32_e32 v10, v25, v10, vcc
	s_nor_b64 s[46:47], vcc, s[0:1]
	v_cndmask_b32_e32 v9, 0, v9, vcc
	s_and_saveexec_b64 s[44:45], s[46:47]
	s_cbranch_execz .LBB31_22
; %bb.17:                               ;   in Loop: Header=BB31_16 Depth=3
	s_mov_b64 s[46:47], exec
	s_brev_b32 s48, -2
.LBB31_18:                              ;   Parent Loop BB31_4 Depth=1
                                        ;     Parent Loop BB31_9 Depth=2
                                        ;       Parent Loop BB31_16 Depth=3
                                        ; =>      This Inner Loop Header: Depth=4
	s_ff1_i32_b64 s49, s[46:47]
	v_readlane_b32 s56, v35, s49
	s_lshl_b64 s[50:51], 1, s49
	s_min_i32 s48, s48, s56
	s_andn2_b64 s[46:47], s[46:47], s[50:51]
	s_cmp_lg_u64 s[46:47], 0
	s_cbranch_scc1 .LBB31_18
; %bb.19:                               ;   in Loop: Header=BB31_16 Depth=3
	v_mbcnt_lo_u32_b32 v9, exec_lo, 0
	v_mbcnt_hi_u32_b32 v9, exec_hi, v9
	v_cmp_eq_u32_e32 vcc, 0, v9
	s_and_saveexec_b64 s[46:47], vcc
	s_xor_b64 s[46:47], exec, s[46:47]
	s_cbranch_execz .LBB31_21
; %bb.20:                               ;   in Loop: Header=BB31_16 Depth=3
	v_mov_b32_e32 v9, s48
	global_atomic_smin v23, v9, s[22:23]
.LBB31_21:                              ;   in Loop: Header=BB31_16 Depth=3
	s_or_b64 exec, exec, s[46:47]
	v_mov_b32_e32 v9, 0
	v_mov_b32_e32 v10, 0x3ff00000
.LBB31_22:                              ;   in Loop: Header=BB31_16 Depth=3
	s_or_b64 exec, exec, s[44:45]
	v_add_u32_e32 v11, s55, v40
	v_add_u32_e32 v12, s54, v42
	v_cndmask_b32_e64 v11, v11, v12, s[2:3]
	v_ashrrev_i32_e32 v12, 31, v11
	v_lshlrev_b64 v[11:12], 3, v[11:12]
	v_mov_b32_e32 v13, s29
	v_add_co_u32_e32 v11, vcc, s28, v11
	v_addc_co_u32_e32 v12, vcc, v13, v12, vcc
	global_load_dwordx2 v[13:14], v[11:12], off
	v_mov_b32_e32 v15, 0
	v_mov_b32_e32 v16, 0
	s_and_saveexec_b64 s[44:45], s[12:13]
	s_cbranch_execz .LBB31_15
; %bb.23:                               ;   in Loop: Header=BB31_16 Depth=3
	global_load_dword v43, v[4:5], off
	v_mov_b32_e32 v15, 0
	v_add_u32_e32 v44, s54, v38
	v_mov_b32_e32 v16, 0
	s_mov_b64 s[46:47], 0
	v_mov_b32_e32 v45, v41
	v_mov_b32_e32 v17, v37
	s_branch .LBB31_25
.LBB31_24:                              ;   in Loop: Header=BB31_25 Depth=4
	s_or_b64 exec, exec, s[48:49]
	v_add_u32_e32 v18, 1, v17
	v_cmp_ge_i32_e32 vcc, v17, v36
	v_add_u32_e32 v45, s53, v45
	s_or_b64 s[46:47], vcc, s[46:47]
	v_mov_b32_e32 v17, v18
	s_andn2_b64 exec, exec, s[46:47]
	s_cbranch_execz .LBB31_14
.LBB31_25:                              ;   Parent Loop BB31_4 Depth=1
                                        ;     Parent Loop BB31_9 Depth=2
                                        ;       Parent Loop BB31_16 Depth=3
                                        ; =>      This Loop Header: Depth=4
                                        ;           Child Loop BB31_27 Depth 5
                                        ;           Child Loop BB31_33 Depth 5
	v_ashrrev_i32_e32 v18, 31, v17
	v_lshlrev_b64 v[18:19], 2, v[17:18]
	v_mov_b32_e32 v20, s27
	v_add_co_u32_e32 v18, vcc, s26, v18
	v_addc_co_u32_e32 v19, vcc, v20, v19, vcc
	global_load_dword v20, v[18:19], off
	s_waitcnt vmcnt(1)
	v_mov_b32_e32 v19, v43
	v_mov_b32_e32 v18, v3
	s_and_saveexec_b64 s[48:49], s[8:9]
	s_cbranch_execz .LBB31_29
; %bb.26:                               ;   in Loop: Header=BB31_25 Depth=4
	s_mov_b64 s[50:51], 0
	v_mov_b32_e32 v19, v43
	v_mov_b32_e32 v18, v3
	;; [unrolled: 1-line block ×4, first 2 shown]
.LBB31_27:                              ;   Parent Loop BB31_4 Depth=1
                                        ;     Parent Loop BB31_9 Depth=2
                                        ;       Parent Loop BB31_16 Depth=3
                                        ;         Parent Loop BB31_25 Depth=4
                                        ; =>        This Inner Loop Header: Depth=5
	v_add_u32_e32 v48, 1, v18
	s_waitcnt vmcnt(0)
	v_cmp_lt_i32_e32 vcc, v19, v20
	v_cndmask_b32_e32 v47, v47, v48, vcc
	v_cndmask_b32_e32 v46, v18, v46, vcc
	v_add_u32_e32 v18, v46, v47
	v_ashrrev_i32_e32 v18, 1, v18
	v_ashrrev_i32_e32 v19, 31, v18
	v_lshlrev_b64 v[48:49], 2, v[18:19]
	v_mov_b32_e32 v19, s27
	v_add_co_u32_e32 v48, vcc, s26, v48
	v_addc_co_u32_e32 v49, vcc, v19, v49, vcc
	global_load_dword v19, v[48:49], off
	v_cmp_ge_i32_e32 vcc, v47, v46
	s_or_b64 s[50:51], vcc, s[50:51]
	s_andn2_b64 exec, exec, s[50:51]
	s_cbranch_execnz .LBB31_27
; %bb.28:                               ;   in Loop: Header=BB31_25 Depth=4
	s_or_b64 exec, exec, s[50:51]
.LBB31_29:                              ;   in Loop: Header=BB31_25 Depth=4
	s_or_b64 exec, exec, s[48:49]
	s_waitcnt vmcnt(0)
	v_cmp_eq_u32_e32 vcc, v19, v20
	s_and_saveexec_b64 s[48:49], vcc
	s_cbranch_execz .LBB31_24
; %bb.30:                               ;   in Loop: Header=BB31_25 Depth=4
	v_mul_lo_u32 v19, v17, s53
	v_mul_lo_u32 v18, v18, s53
	v_subrev_u32_e32 v20, s33, v20
	v_mul_lo_u32 v46, v20, s52
	v_add_u32_e32 v47, s55, v19
	v_add_u32_e32 v48, v18, v34
	;; [unrolled: 1-line block ×3, first 2 shown]
	s_mov_b32 s56, 0
	v_mov_b32_e32 v50, v45
	s_branch .LBB31_33
.LBB31_31:                              ;   in Loop: Header=BB31_33 Depth=5
	v_ashrrev_i32_e32 v20, 31, v19
	v_lshlrev_b64 v[19:20], 3, v[19:20]
	v_mov_b32_e32 v52, s29
	v_add_co_u32_e32 v51, vcc, s28, v19
	v_ashrrev_i32_e32 v19, 31, v18
	v_lshlrev_b64 v[18:19], 3, v[18:19]
	v_addc_co_u32_e32 v52, vcc, v52, v20, vcc
	v_mov_b32_e32 v20, s29
	v_add_co_u32_e32 v18, vcc, s28, v18
	v_addc_co_u32_e32 v19, vcc, v20, v19, vcc
	global_load_dwordx2 v[51:52], v[51:52], off
	s_nop 0
	global_load_dwordx2 v[18:19], v[18:19], off
	s_waitcnt vmcnt(0)
	v_fma_f64 v[15:16], v[51:52], v[18:19], v[15:16]
.LBB31_32:                              ;   in Loop: Header=BB31_33 Depth=5
	s_or_b64 exec, exec, s[50:51]
	s_add_i32 s56, s56, 1
	v_add_u32_e32 v49, s52, v49
	s_cmp_lg_u32 s52, s56
	v_add_u32_e32 v50, s52, v50
	s_cbranch_scc0 .LBB31_24
.LBB31_33:                              ;   Parent Loop BB31_4 Depth=1
                                        ;     Parent Loop BB31_9 Depth=2
                                        ;       Parent Loop BB31_16 Depth=3
                                        ;         Parent Loop BB31_25 Depth=4
                                        ; =>        This Inner Loop Header: Depth=5
	v_add_u32_e32 v18, s56, v46
	v_cmp_lt_i32_e32 vcc, v18, v44
	s_and_saveexec_b64 s[50:51], vcc
	s_cbranch_execz .LBB31_32
; %bb.34:                               ;   in Loop: Header=BB31_33 Depth=5
	s_andn2_b64 vcc, exec, s[2:3]
	v_mov_b32_e32 v18, v49
	v_mov_b32_e32 v19, v50
	s_cbranch_vccnz .LBB31_31
; %bb.35:                               ;   in Loop: Header=BB31_33 Depth=5
	v_add_u32_e32 v19, s56, v47
	v_add_u32_e32 v18, s56, v48
	s_branch .LBB31_31
.LBB31_36:                              ;   in Loop: Header=BB31_4 Depth=1
	s_or_b64 exec, exec, s[40:41]
.LBB31_37:                              ;   in Loop: Header=BB31_4 Depth=1
	s_or_b64 exec, exec, s[38:39]
	v_add_u32_e32 v19, v34, v28
	s_mov_b32 s42, 0
	v_mov_b32_e32 v20, v31
	s_branch .LBB31_40
.LBB31_38:                              ;   in Loop: Header=BB31_40 Depth=2
	s_waitcnt vmcnt(0)
	v_add_f64 v[12:13], v[12:13], -v[14:15]
	v_div_scale_f64 v[14:15], s[12:13], v[8:9], v[8:9], v[12:13]
	v_div_scale_f64 v[37:38], vcc, v[12:13], v[8:9], v[12:13]
	v_rcp_f64_e32 v[16:17], v[14:15]
	v_fma_f64 v[35:36], -v[14:15], v[16:17], 1.0
	v_fma_f64 v[16:17], v[16:17], v[35:36], v[16:17]
	v_fma_f64 v[35:36], -v[14:15], v[16:17], 1.0
	v_fma_f64 v[16:17], v[16:17], v[35:36], v[16:17]
	v_mul_f64 v[35:36], v[37:38], v[16:17]
	v_fma_f64 v[14:15], -v[14:15], v[35:36], v[37:38]
	v_div_fmas_f64 v[14:15], v[14:15], v[16:17], v[35:36]
	v_div_fixup_f64 v[8:9], v[14:15], v[8:9], v[12:13]
	v_fma_f64 v[6:7], v[8:9], v[8:9], v[6:7]
	global_store_dwordx2 v[10:11], v[8:9], off
.LBB31_39:                              ;   in Loop: Header=BB31_40 Depth=2
	s_or_b64 exec, exec, s[10:11]
	s_add_i32 s42, s42, 1
	s_cmp_eq_u32 s42, s52
	v_add_u32_e32 v20, 1, v20
	s_waitcnt vmcnt(0)
	buffer_wbinvl1_vol
	s_cbranch_scc1 .LBB31_3
.LBB31_40:                              ;   Parent Loop BB31_4 Depth=1
                                        ; =>  This Loop Header: Depth=2
                                        ;       Child Loop BB31_44 Depth 3
                                        ;       Child Loop BB31_52 Depth 3
                                        ;         Child Loop BB31_54 Depth 4
                                        ;       Child Loop BB31_62 Depth 3
	s_mul_i32 s43, s42, s52
	v_add_u32_e32 v35, s43, v28
	v_add_u32_e32 v8, s42, v35
	v_ashrrev_i32_e32 v9, 31, v8
	v_lshlrev_b64 v[8:9], 3, v[8:9]
	v_cmp_eq_u32_e32 vcc, s42, v33
	s_and_saveexec_b64 s[10:11], vcc
	s_cbranch_execz .LBB31_42
; %bb.41:                               ;   in Loop: Header=BB31_40 Depth=2
	v_mov_b32_e32 v11, s29
	v_add_co_u32_e32 v10, vcc, s28, v8
	v_addc_co_u32_e32 v11, vcc, v11, v9, vcc
	global_load_dwordx2 v[12:13], v[10:11], off
	s_waitcnt vmcnt(0)
	v_add_f64 v[12:13], v[12:13], -v[6:7]
	v_cmp_gt_f64_e32 vcc, 0, v[12:13]
	v_xor_b32_e32 v14, 0x80000000, v13
	v_cndmask_b32_e32 v13, v13, v14, vcc
	v_cmp_gt_f64_e32 vcc, s[34:35], v[12:13]
	v_cndmask_b32_e32 v14, 0, v26, vcc
	v_ldexp_f64 v[12:13], v[12:13], v14
	v_rsq_f64_e32 v[14:15], v[12:13]
	v_mul_f64 v[16:17], v[12:13], v[14:15]
	v_mul_f64 v[14:15], v[14:15], 0.5
	v_fma_f64 v[36:37], -v[14:15], v[16:17], 0.5
	v_fma_f64 v[16:17], v[16:17], v[36:37], v[16:17]
	v_fma_f64 v[14:15], v[14:15], v[36:37], v[14:15]
	v_fma_f64 v[36:37], -v[16:17], v[16:17], v[12:13]
	v_fma_f64 v[16:17], v[36:37], v[14:15], v[16:17]
	v_fma_f64 v[36:37], -v[16:17], v[16:17], v[12:13]
	v_fma_f64 v[14:15], v[36:37], v[14:15], v[16:17]
	v_cndmask_b32_e32 v16, 0, v27, vcc
	v_cmp_class_f64_e32 vcc, v[12:13], v24
	v_ldexp_f64 v[14:15], v[14:15], v16
	v_cndmask_b32_e32 v13, v15, v13, vcc
	v_cndmask_b32_e32 v12, v14, v12, vcc
	global_store_dwordx2 v[10:11], v[12:13], off
.LBB31_42:                              ;   in Loop: Header=BB31_40 Depth=2
	s_or_b64 exec, exec, s[10:11]
	v_mov_b32_e32 v10, s29
	v_add_co_u32_e32 v8, vcc, s28, v8
	v_addc_co_u32_e32 v9, vcc, v10, v9, vcc
	s_waitcnt vmcnt(0)
	buffer_wbinvl1_vol
	global_load_dwordx2 v[8:9], v[8:9], off
	s_waitcnt vmcnt(0)
	v_cmp_neq_f64_e32 vcc, 0, v[8:9]
	v_cndmask_b32_e32 v9, v25, v9, vcc
	s_nor_b64 s[12:13], vcc, s[0:1]
	v_cndmask_b32_e32 v8, 0, v8, vcc
	s_and_saveexec_b64 s[10:11], s[12:13]
	s_cbranch_execz .LBB31_48
; %bb.43:                               ;   in Loop: Header=BB31_40 Depth=2
	s_mov_b64 s[12:13], exec
	s_brev_b32 s38, -2
.LBB31_44:                              ;   Parent Loop BB31_4 Depth=1
                                        ;     Parent Loop BB31_40 Depth=2
                                        ; =>    This Inner Loop Header: Depth=3
	s_ff1_i32_b64 s39, s[12:13]
	v_readlane_b32 s44, v22, s39
	s_lshl_b64 s[40:41], 1, s39
	s_min_i32 s38, s38, s44
	s_andn2_b64 s[12:13], s[12:13], s[40:41]
	s_cmp_lg_u64 s[12:13], 0
	s_cbranch_scc1 .LBB31_44
; %bb.45:                               ;   in Loop: Header=BB31_40 Depth=2
	v_mbcnt_lo_u32_b32 v8, exec_lo, 0
	v_mbcnt_hi_u32_b32 v8, exec_hi, v8
	v_cmp_eq_u32_e32 vcc, 0, v8
	s_and_saveexec_b64 s[12:13], vcc
	s_xor_b64 s[12:13], exec, s[12:13]
	s_cbranch_execz .LBB31_47
; %bb.46:                               ;   in Loop: Header=BB31_40 Depth=2
	v_mov_b32_e32 v8, s38
	global_atomic_smin v23, v8, s[22:23]
.LBB31_47:                              ;   in Loop: Header=BB31_40 Depth=2
	s_or_b64 exec, exec, s[12:13]
	v_mov_b32_e32 v8, 0
	v_mov_b32_e32 v9, 0x3ff00000
.LBB31_48:                              ;   in Loop: Header=BB31_40 Depth=2
	s_or_b64 exec, exec, s[10:11]
	v_cmp_lt_i32_e32 vcc, s42, v33
	s_and_saveexec_b64 s[10:11], vcc
	s_cbranch_execz .LBB31_39
; %bb.49:                               ;   in Loop: Header=BB31_40 Depth=2
	v_add_u32_e32 v10, v35, v33
	v_add_u32_e32 v11, s42, v19
	v_cndmask_b32_e64 v10, v10, v11, s[2:3]
	v_ashrrev_i32_e32 v11, 31, v10
	v_lshlrev_b64 v[10:11], 3, v[10:11]
	v_mov_b32_e32 v12, s29
	v_add_co_u32_e32 v10, vcc, s28, v10
	v_addc_co_u32_e32 v11, vcc, v12, v11, vcc
	global_load_dwordx2 v[12:13], v[10:11], off
	v_mov_b32_e32 v14, 0
	v_mov_b32_e32 v15, 0
	s_and_saveexec_b64 s[12:13], s[4:5]
	s_cbranch_execz .LBB31_59
; %bb.50:                               ;   in Loop: Header=BB31_40 Depth=2
	v_mov_b32_e32 v14, 0
	v_mov_b32_e32 v15, 0
	s_mov_b64 s[38:39], 0
	v_mov_b32_e32 v36, v20
	v_mov_b32_e32 v37, v32
	;; [unrolled: 1-line block ×3, first 2 shown]
	s_branch .LBB31_52
.LBB31_51:                              ;   in Loop: Header=BB31_52 Depth=3
	v_add_u32_e32 v38, 1, v38
	v_cmp_ge_i32_e32 vcc, v38, v21
	v_add_u32_e32 v37, s53, v37
	s_or_b64 s[38:39], vcc, s[38:39]
	v_add_u32_e32 v36, s53, v36
	s_andn2_b64 exec, exec, s[38:39]
	s_cbranch_execz .LBB31_58
.LBB31_52:                              ;   Parent Loop BB31_4 Depth=1
                                        ;     Parent Loop BB31_40 Depth=2
                                        ; =>    This Loop Header: Depth=3
                                        ;         Child Loop BB31_54 Depth 4
	v_mul_lo_u32 v16, v38, s53
	s_mov_b32 s44, 0
	s_mov_b32 s45, s52
	;; [unrolled: 1-line block ×3, first 2 shown]
	v_add_u32_e32 v39, s43, v16
	v_add_u32_e32 v40, v16, v34
	s_branch .LBB31_54
.LBB31_53:                              ;   in Loop: Header=BB31_54 Depth=4
	v_ashrrev_i32_e32 v18, 31, v17
	v_lshlrev_b64 v[17:18], 3, v[17:18]
	v_mov_b32_e32 v43, s29
	v_add_co_u32_e32 v41, vcc, s28, v17
	v_ashrrev_i32_e32 v17, 31, v16
	v_lshlrev_b64 v[16:17], 3, v[16:17]
	v_addc_co_u32_e32 v42, vcc, v43, v18, vcc
	v_add_co_u32_e32 v16, vcc, s28, v16
	v_addc_co_u32_e32 v17, vcc, v43, v17, vcc
	global_load_dwordx2 v[43:44], v[41:42], off
	global_load_dwordx2 v[45:46], v[16:17], off
	s_add_i32 s46, s46, 1
	s_add_i32 s44, s44, s52
	s_add_i32 s45, s45, -1
	s_cmp_eq_u32 s45, 0
	s_waitcnt vmcnt(0)
	v_fma_f64 v[14:15], v[43:44], v[45:46], v[14:15]
	s_cbranch_scc1 .LBB31_51
.LBB31_54:                              ;   Parent Loop BB31_4 Depth=1
                                        ;     Parent Loop BB31_40 Depth=2
                                        ;       Parent Loop BB31_52 Depth=3
                                        ; =>      This Inner Loop Header: Depth=4
	s_mov_b64 s[40:41], -1
	s_and_b64 vcc, exec, s[36:37]
                                        ; implicit-def: $vgpr17
                                        ; implicit-def: $vgpr16
	s_cbranch_vccz .LBB31_56
; %bb.55:                               ;   in Loop: Header=BB31_54 Depth=4
	v_add_u32_e32 v17, s44, v36
	v_add_u32_e32 v16, s44, v37
	s_mov_b64 s[40:41], 0
.LBB31_56:                              ;   in Loop: Header=BB31_54 Depth=4
	s_andn2_b64 vcc, exec, s[40:41]
	s_cbranch_vccnz .LBB31_53
; %bb.57:                               ;   in Loop: Header=BB31_54 Depth=4
	v_add_u32_e32 v17, s46, v39
	v_add_u32_e32 v16, s46, v40
	s_branch .LBB31_53
.LBB31_58:                              ;   in Loop: Header=BB31_40 Depth=2
	s_or_b64 exec, exec, s[38:39]
.LBB31_59:                              ;   in Loop: Header=BB31_40 Depth=2
	s_or_b64 exec, exec, s[12:13]
	s_cmp_eq_u32 s42, 0
	s_cbranch_scc1 .LBB31_38
; %bb.60:                               ;   in Loop: Header=BB31_40 Depth=2
	s_mov_b32 s38, 0
	v_mov_b32_e32 v36, v28
	s_branch .LBB31_62
.LBB31_61:                              ;   in Loop: Header=BB31_62 Depth=3
	v_ashrrev_i32_e32 v18, 31, v17
	v_lshlrev_b64 v[17:18], 3, v[17:18]
	v_mov_b32_e32 v39, s29
	v_add_co_u32_e32 v37, vcc, s28, v17
	v_ashrrev_i32_e32 v17, 31, v16
	v_lshlrev_b64 v[16:17], 3, v[16:17]
	v_addc_co_u32_e32 v38, vcc, v39, v18, vcc
	v_add_co_u32_e32 v16, vcc, s28, v16
	v_addc_co_u32_e32 v17, vcc, v39, v17, vcc
	global_load_dwordx2 v[39:40], v[37:38], off
	global_load_dwordx2 v[41:42], v[16:17], off
	s_add_i32 s38, s38, 1
	s_cmp_eq_u32 s42, s38
	v_add_u32_e32 v36, s52, v36
	s_waitcnt vmcnt(0)
	v_fma_f64 v[14:15], v[39:40], v[41:42], v[14:15]
	s_cbranch_scc1 .LBB31_38
.LBB31_62:                              ;   Parent Loop BB31_4 Depth=1
                                        ;     Parent Loop BB31_40 Depth=2
                                        ; =>    This Inner Loop Header: Depth=3
	s_mov_b64 s[12:13], -1
	s_and_b64 vcc, exec, s[36:37]
                                        ; implicit-def: $vgpr17
                                        ; implicit-def: $vgpr16
	s_cbranch_vccz .LBB31_64
; %bb.63:                               ;   in Loop: Header=BB31_62 Depth=3
	v_add_u32_e32 v17, s42, v36
	v_add_u32_e32 v16, v33, v36
	s_mov_b64 s[12:13], 0
.LBB31_64:                              ;   in Loop: Header=BB31_62 Depth=3
	s_andn2_b64 vcc, exec, s[12:13]
	s_cbranch_vccnz .LBB31_61
; %bb.65:                               ;   in Loop: Header=BB31_62 Depth=3
	v_add_u32_e32 v17, s38, v35
	v_add_u32_e32 v16, s38, v19
	s_branch .LBB31_61
.LBB31_66:
	s_or_b64 exec, exec, s[20:21]
	v_cmp_eq_u32_e32 vcc, 63, v0
	s_and_saveexec_b64 s[0:1], vcc
	s_cbranch_execz .LBB31_68
; %bb.67:
	v_mov_b32_e32 v3, s19
	v_add_co_u32_e32 v0, vcc, s18, v1
	v_addc_co_u32_e32 v1, vcc, v3, v2, vcc
	v_mov_b32_e32 v2, 1
	global_store_dword v[0:1], v2, off
.LBB31_68:
	s_or_b64 exec, exec, s[0:1]
                                        ; implicit-def: $vgpr0
                                        ; implicit-def: $vgpr1_vgpr2
                                        ; implicit-def: $vgpr3_vgpr4
.LBB31_69:
	s_andn2_saveexec_b64 s[0:1], s[14:15]
	s_cbranch_execz .LBB31_76
; %bb.70:
	v_cmp_eq_u32_e32 vcc, 63, v0
	s_and_saveexec_b64 s[0:1], vcc
	s_cbranch_execz .LBB31_76
; %bb.71:
	s_mov_b64 s[0:1], exec
	v_add_u32_e32 v0, s33, v3
	s_brev_b32 s2, -2
.LBB31_72:                              ; =>This Inner Loop Header: Depth=1
	s_ff1_i32_b64 s3, s[0:1]
	v_readlane_b32 s6, v0, s3
	s_lshl_b64 s[4:5], 1, s3
	s_min_i32 s2, s2, s6
	s_andn2_b64 s[0:1], s[0:1], s[4:5]
	s_cmp_lg_u64 s[0:1], 0
	s_cbranch_scc1 .LBB31_72
; %bb.73:
	v_mbcnt_lo_u32_b32 v0, exec_lo, 0
	v_mbcnt_hi_u32_b32 v0, exec_hi, v0
	v_cmp_eq_u32_e32 vcc, 0, v0
	s_and_saveexec_b64 s[0:1], vcc
	s_xor_b64 s[0:1], exec, s[0:1]
	s_cbranch_execz .LBB31_75
; %bb.74:
	v_mov_b32_e32 v0, 0
	v_mov_b32_e32 v3, s2
	global_atomic_smin v0, v3, s[22:23]
.LBB31_75:
	s_or_b64 exec, exec, s[0:1]
	v_mov_b32_e32 v3, s19
	v_add_co_u32_e32 v0, vcc, s18, v1
	v_addc_co_u32_e32 v1, vcc, v3, v2, vcc
	v_mov_b32_e32 v2, 1
	s_waitcnt vmcnt(0)
	global_store_dword v[0:1], v2, off
.LBB31_76:
	s_endpgm
	.section	.rodata,"a",@progbits
	.p2align	6, 0x0
	.amdhsa_kernel _ZN9rocsparseL23bsric0_binsearch_kernelILj64ELj64ELb0EdEEv20rocsparse_direction_iiPKiS3_PT2_S3_PiS3_S6_21rocsparse_index_base_
		.amdhsa_group_segment_fixed_size 0
		.amdhsa_private_segment_fixed_size 0
		.amdhsa_kernarg_size 76
		.amdhsa_user_sgpr_count 6
		.amdhsa_user_sgpr_private_segment_buffer 1
		.amdhsa_user_sgpr_dispatch_ptr 0
		.amdhsa_user_sgpr_queue_ptr 0
		.amdhsa_user_sgpr_kernarg_segment_ptr 1
		.amdhsa_user_sgpr_dispatch_id 0
		.amdhsa_user_sgpr_flat_scratch_init 0
		.amdhsa_user_sgpr_private_segment_size 0
		.amdhsa_uses_dynamic_stack 0
		.amdhsa_system_sgpr_private_segment_wavefront_offset 0
		.amdhsa_system_sgpr_workgroup_id_x 1
		.amdhsa_system_sgpr_workgroup_id_y 0
		.amdhsa_system_sgpr_workgroup_id_z 0
		.amdhsa_system_sgpr_workgroup_info 0
		.amdhsa_system_vgpr_workitem_id 0
		.amdhsa_next_free_vgpr 53
		.amdhsa_next_free_sgpr 57
		.amdhsa_reserve_vcc 1
		.amdhsa_reserve_flat_scratch 0
		.amdhsa_float_round_mode_32 0
		.amdhsa_float_round_mode_16_64 0
		.amdhsa_float_denorm_mode_32 3
		.amdhsa_float_denorm_mode_16_64 3
		.amdhsa_dx10_clamp 1
		.amdhsa_ieee_mode 1
		.amdhsa_fp16_overflow 0
		.amdhsa_exception_fp_ieee_invalid_op 0
		.amdhsa_exception_fp_denorm_src 0
		.amdhsa_exception_fp_ieee_div_zero 0
		.amdhsa_exception_fp_ieee_overflow 0
		.amdhsa_exception_fp_ieee_underflow 0
		.amdhsa_exception_fp_ieee_inexact 0
		.amdhsa_exception_int_div_zero 0
	.end_amdhsa_kernel
	.section	.text._ZN9rocsparseL23bsric0_binsearch_kernelILj64ELj64ELb0EdEEv20rocsparse_direction_iiPKiS3_PT2_S3_PiS3_S6_21rocsparse_index_base_,"axG",@progbits,_ZN9rocsparseL23bsric0_binsearch_kernelILj64ELj64ELb0EdEEv20rocsparse_direction_iiPKiS3_PT2_S3_PiS3_S6_21rocsparse_index_base_,comdat
.Lfunc_end31:
	.size	_ZN9rocsparseL23bsric0_binsearch_kernelILj64ELj64ELb0EdEEv20rocsparse_direction_iiPKiS3_PT2_S3_PiS3_S6_21rocsparse_index_base_, .Lfunc_end31-_ZN9rocsparseL23bsric0_binsearch_kernelILj64ELj64ELb0EdEEv20rocsparse_direction_iiPKiS3_PT2_S3_PiS3_S6_21rocsparse_index_base_
                                        ; -- End function
	.set _ZN9rocsparseL23bsric0_binsearch_kernelILj64ELj64ELb0EdEEv20rocsparse_direction_iiPKiS3_PT2_S3_PiS3_S6_21rocsparse_index_base_.num_vgpr, 53
	.set _ZN9rocsparseL23bsric0_binsearch_kernelILj64ELj64ELb0EdEEv20rocsparse_direction_iiPKiS3_PT2_S3_PiS3_S6_21rocsparse_index_base_.num_agpr, 0
	.set _ZN9rocsparseL23bsric0_binsearch_kernelILj64ELj64ELb0EdEEv20rocsparse_direction_iiPKiS3_PT2_S3_PiS3_S6_21rocsparse_index_base_.numbered_sgpr, 57
	.set _ZN9rocsparseL23bsric0_binsearch_kernelILj64ELj64ELb0EdEEv20rocsparse_direction_iiPKiS3_PT2_S3_PiS3_S6_21rocsparse_index_base_.num_named_barrier, 0
	.set _ZN9rocsparseL23bsric0_binsearch_kernelILj64ELj64ELb0EdEEv20rocsparse_direction_iiPKiS3_PT2_S3_PiS3_S6_21rocsparse_index_base_.private_seg_size, 0
	.set _ZN9rocsparseL23bsric0_binsearch_kernelILj64ELj64ELb0EdEEv20rocsparse_direction_iiPKiS3_PT2_S3_PiS3_S6_21rocsparse_index_base_.uses_vcc, 1
	.set _ZN9rocsparseL23bsric0_binsearch_kernelILj64ELj64ELb0EdEEv20rocsparse_direction_iiPKiS3_PT2_S3_PiS3_S6_21rocsparse_index_base_.uses_flat_scratch, 0
	.set _ZN9rocsparseL23bsric0_binsearch_kernelILj64ELj64ELb0EdEEv20rocsparse_direction_iiPKiS3_PT2_S3_PiS3_S6_21rocsparse_index_base_.has_dyn_sized_stack, 0
	.set _ZN9rocsparseL23bsric0_binsearch_kernelILj64ELj64ELb0EdEEv20rocsparse_direction_iiPKiS3_PT2_S3_PiS3_S6_21rocsparse_index_base_.has_recursion, 0
	.set _ZN9rocsparseL23bsric0_binsearch_kernelILj64ELj64ELb0EdEEv20rocsparse_direction_iiPKiS3_PT2_S3_PiS3_S6_21rocsparse_index_base_.has_indirect_call, 0
	.section	.AMDGPU.csdata,"",@progbits
; Kernel info:
; codeLenInByte = 2752
; TotalNumSgprs: 61
; NumVgprs: 53
; ScratchSize: 0
; MemoryBound: 0
; FloatMode: 240
; IeeeMode: 1
; LDSByteSize: 0 bytes/workgroup (compile time only)
; SGPRBlocks: 7
; VGPRBlocks: 13
; NumSGPRsForWavesPerEU: 61
; NumVGPRsForWavesPerEU: 53
; Occupancy: 4
; WaveLimiterHint : 1
; COMPUTE_PGM_RSRC2:SCRATCH_EN: 0
; COMPUTE_PGM_RSRC2:USER_SGPR: 6
; COMPUTE_PGM_RSRC2:TRAP_HANDLER: 0
; COMPUTE_PGM_RSRC2:TGID_X_EN: 1
; COMPUTE_PGM_RSRC2:TGID_Y_EN: 0
; COMPUTE_PGM_RSRC2:TGID_Z_EN: 0
; COMPUTE_PGM_RSRC2:TIDIG_COMP_CNT: 0
	.section	.text._ZN9rocsparseL17bsric0_2_8_kernelILi64ELi64ELi8EdEEv20rocsparse_direction_iiPKiS3_PT2_S3_PiS3_S6_21rocsparse_index_base_,"axG",@progbits,_ZN9rocsparseL17bsric0_2_8_kernelILi64ELi64ELi8EdEEv20rocsparse_direction_iiPKiS3_PT2_S3_PiS3_S6_21rocsparse_index_base_,comdat
	.globl	_ZN9rocsparseL17bsric0_2_8_kernelILi64ELi64ELi8EdEEv20rocsparse_direction_iiPKiS3_PT2_S3_PiS3_S6_21rocsparse_index_base_ ; -- Begin function _ZN9rocsparseL17bsric0_2_8_kernelILi64ELi64ELi8EdEEv20rocsparse_direction_iiPKiS3_PT2_S3_PiS3_S6_21rocsparse_index_base_
	.p2align	8
	.type	_ZN9rocsparseL17bsric0_2_8_kernelILi64ELi64ELi8EdEEv20rocsparse_direction_iiPKiS3_PT2_S3_PiS3_S6_21rocsparse_index_base_,@function
_ZN9rocsparseL17bsric0_2_8_kernelILi64ELi64ELi8EdEEv20rocsparse_direction_iiPKiS3_PT2_S3_PiS3_S6_21rocsparse_index_base_: ; @_ZN9rocsparseL17bsric0_2_8_kernelILi64ELi64ELi8EdEEv20rocsparse_direction_iiPKiS3_PT2_S3_PiS3_S6_21rocsparse_index_base_
; %bb.0:
	s_load_dwordx8 s[8:15], s[4:5], 0x28
	s_mov_b32 s7, 0
	s_lshl_b64 s[0:1], s[6:7], 2
	s_waitcnt lgkmcnt(0)
	s_add_u32 s0, s12, s0
	s_addc_u32 s1, s13, s1
	s_load_dword s20, s[0:1], 0x0
	s_waitcnt lgkmcnt(0)
	s_ashr_i32 s21, s20, 31
	s_lshl_b64 s[12:13], s[20:21], 2
	s_add_u32 s0, s8, s12
	s_addc_u32 s1, s9, s13
	s_load_dword s40, s[0:1], 0x0
	s_load_dword s21, s[4:5], 0x48
	s_waitcnt lgkmcnt(0)
	s_cmp_lg_u32 s40, -1
	s_cbranch_scc0 .LBB32_76
; %bb.1:
	s_load_dwordx4 s[16:19], s[4:5], 0x10
	s_load_dwordx2 s[22:23], s[4:5], 0x20
	v_lshlrev_b32_e32 v15, 3, v1
	s_waitcnt lgkmcnt(0)
	s_add_u32 s0, s16, s12
	s_addc_u32 s1, s17, s13
	s_load_dword s0, s[0:1], 0x0
	s_waitcnt lgkmcnt(0)
	s_sub_i32 s41, s0, s21
	v_add3_u32 v2, v15, v0, s41
	v_cmp_ge_i32_e32 vcc, s40, v2
	s_and_saveexec_b64 s[0:1], vcc
	s_cbranch_execz .LBB32_4
; %bb.2:
	v_lshlrev_b32_e32 v3, 5, v1
	v_lshlrev_b32_e32 v4, 2, v0
	s_movk_i32 s2, 0xb00
	v_add3_u32 v5, v3, v4, s2
	v_ashrrev_i32_e32 v3, 31, v2
	v_lshlrev_b64 v[3:4], 2, v[2:3]
	v_mov_b32_e32 v6, s19
	v_add_co_u32_e32 v3, vcc, s18, v3
	v_addc_co_u32_e32 v4, vcc, v6, v4, vcc
	s_mov_b64 s[2:3], 0
.LBB32_3:                               ; =>This Inner Loop Header: Depth=1
	global_load_dword v6, v[3:4], off
	v_add_co_u32_e32 v3, vcc, 0x100, v3
	v_add_u32_e32 v2, 64, v2
	v_addc_co_u32_e32 v4, vcc, 0, v4, vcc
	v_cmp_lt_i32_e32 vcc, s40, v2
	s_or_b64 s[2:3], vcc, s[2:3]
	s_waitcnt vmcnt(0)
	v_subrev_u32_e32 v6, s21, v6
	ds_write_b32 v5, v6
	v_add_u32_e32 v5, 0x100, v5
	s_andn2_b64 exec, exec, s[2:3]
	s_cbranch_execnz .LBB32_3
.LBB32_4:
	s_or_b64 exec, exec, s[0:1]
	s_load_dword s42, s[4:5], 0x0
	s_load_dword s33, s[4:5], 0x8
	s_movk_i32 s6, 0x48
	v_mov_b32_e32 v2, 0x6c0
	v_mad_u32_u24 v16, v1, s6, v2
	v_mov_b32_e32 v2, 0
	v_lshl_add_u32 v14, v0, 3, v16
	v_mov_b32_e32 v3, v2
	s_cmp_ge_i32 s41, s40
	ds_write_b64 v14, v[2:3]
	s_waitcnt lgkmcnt(0)
	s_cbranch_scc1 .LBB32_57
; %bb.5:
	s_cmp_lg_u32 s42, 0
	s_cselect_b64 s[24:25], -1, 0
	s_cmp_eq_u32 s42, 0
	v_cmp_gt_i32_e64 s[0:1], s33, v0
	v_cmp_gt_i32_e64 s[2:3], s33, v1
	s_cselect_b64 vcc, -1, 0
	s_and_b64 s[26:27], s[0:1], s[2:3]
	v_mov_b32_e32 v3, 0x480
	v_mov_b32_e32 v5, 0x240
	v_mad_u32_u24 v17, v1, s6, v3
	v_lshlrev_b32_e32 v4, 3, v0
	s_cmp_gt_i32 s33, 0
	v_mul_lo_u32 v20, s33, v0
	v_mul_lo_u32 v21, s33, v1
	v_mad_u32_u24 v22, v1, s6, v5
	v_add_u32_e32 v18, v17, v4
	v_mad_u32_u24 v19, v1, s6, v4
	v_add_u32_e32 v23, v22, v4
	v_or_b32_e32 v4, v0, v1
	v_mad_u32_u24 v24, v0, s6, v3
	s_cselect_b64 s[6:7], -1, 0
	v_cmp_ne_u32_e64 s[4:5], 0, v4
	v_cndmask_b32_e64 v4, 0, 1, s[6:7]
	s_mul_i32 s43, s33, s33
	v_cndmask_b32_e32 v3, v1, v0, vcc
	v_cndmask_b32_e32 v25, v0, v1, vcc
	v_cmp_ne_u32_e64 s[6:7], 1, v4
	v_mov_b32_e32 v26, 0x3ff00000
	s_mov_b32 s28, s41
	s_branch .LBB32_7
.LBB32_6:                               ;   in Loop: Header=BB32_7 Depth=1
	s_or_b64 exec, exec, s[30:31]
	s_add_i32 s28, s28, 1
	s_cmp_ge_i32 s28, s40
	s_cselect_b64 s[30:31], -1, 0
	s_waitcnt vmcnt(0)
	buffer_wbinvl1_vol
	s_and_b64 vcc, exec, s[30:31]
	s_cbranch_vccnz .LBB32_57
.LBB32_7:                               ; =>This Loop Header: Depth=1
                                        ;     Child Loop BB32_12 Depth 2
                                        ;     Child Loop BB32_23 Depth 2
	;; [unrolled: 1-line block ×4, first 2 shown]
                                        ;       Child Loop BB32_53 Depth 3
	s_ashr_i32 s29, s28, 31
	s_lshl_b64 s[30:31], s[28:29], 2
	s_add_u32 s30, s18, s30
	s_addc_u32 s31, s19, s31
	s_load_dword s29, s[30:31], 0x0
	s_waitcnt lgkmcnt(0)
	s_sub_i32 s34, s29, s21
	s_ashr_i32 s35, s34, 31
	s_lshl_b64 s[30:31], s[34:35], 2
	s_add_u32 s36, s8, s30
	s_addc_u32 s37, s9, s31
	s_load_dword s35, s[36:37], 0x0
	s_waitcnt lgkmcnt(0)
	s_cmp_eq_u32 s35, -1
	s_cbranch_scc1 .LBB32_56
; %bb.8:                                ;   in Loop: Header=BB32_7 Depth=1
	s_add_u32 s36, s16, s30
	v_mov_b32_e32 v4, 0
	s_mul_i32 s38, s28, s33
	s_addc_u32 s37, s17, s31
	v_mov_b32_e32 v5, 0
	v_add_u32_e32 v27, s38, v25
	s_and_saveexec_b64 s[38:39], s[26:27]
	s_cbranch_execz .LBB32_10
; %bb.9:                                ;   in Loop: Header=BB32_7 Depth=1
	v_mad_u64_u32 v[4:5], s[44:45], v27, s33, v[3:4]
	v_mov_b32_e32 v6, s23
	v_ashrrev_i32_e32 v5, 31, v4
	v_lshlrev_b64 v[4:5], 3, v[4:5]
	v_add_co_u32_e32 v4, vcc, s22, v4
	v_addc_co_u32_e32 v5, vcc, v6, v5, vcc
	global_load_dwordx2 v[4:5], v[4:5], off
.LBB32_10:                              ;   in Loop: Header=BB32_7 Depth=1
	s_or_b64 exec, exec, s[38:39]
	s_load_dword s36, s[36:37], 0x0
	ds_read_b32 v6, v2 offset:2816
	s_mov_b32 s37, 0
	s_waitcnt vmcnt(0)
	ds_write_b64 v18, v[4:5]
	s_waitcnt lgkmcnt(0)
	s_sub_i32 s36, s36, s21
	s_cmp_le_i32 s36, s35
	v_cmp_ge_i32_e32 vcc, s34, v6
	s_cselect_b64 s[38:39], -1, 0
	s_and_b64 s[38:39], s[38:39], vcc
	s_andn2_b64 vcc, exec, s[38:39]
	s_cbranch_vccnz .LBB32_22
; %bb.11:                               ;   in Loop: Header=BB32_7 Depth=1
	s_mov_b32 s44, 0
	s_mov_b32 s45, 0
.LBB32_12:                              ;   Parent Loop BB32_7 Depth=1
                                        ; =>  This Inner Loop Header: Depth=2
	s_ashr_i32 s37, s36, 31
	s_lshl_b64 s[38:39], s[36:37], 2
	s_add_u32 s38, s18, s38
	s_addc_u32 s39, s19, s39
	s_load_dword s37, s[38:39], 0x0
	s_lshl_b32 s38, s45, 2
	v_mov_b32_e32 v4, s38
	ds_read_b32 v4, v4 offset:2816
	s_mov_b64 s[38:39], -1
	s_waitcnt lgkmcnt(0)
	s_sub_i32 s49, s37, s21
                                        ; implicit-def: $sgpr37
                                        ; implicit-def: $sgpr48
                                        ; implicit-def: $sgpr47
	v_cmp_ge_i32_e32 vcc, s49, v4
	v_readfirstlane_b32 s46, v4
	s_cbranch_vccz .LBB32_18
; %bb.13:                               ;   in Loop: Header=BB32_12 Depth=2
	s_cmp_le_i32 s49, s46
                                        ; implicit-def: $sgpr37
                                        ; implicit-def: $sgpr48
                                        ; implicit-def: $sgpr47
	s_cbranch_scc0 .LBB32_15
; %bb.14:                               ;   in Loop: Header=BB32_12 Depth=2
	s_add_i32 s37, s45, s41
	s_mul_i32 s37, s37, s43
	s_lshl_b32 s38, s44, 2
	v_mov_b32_e32 v5, s37
	s_mul_i32 s37, s36, s43
	v_mov_b32_e32 v4, s38
	v_mov_b32_e32 v6, s37
	ds_write2st64_b32 v4, v6, v5 offset0:9 offset1:10
	s_add_i32 s47, s45, 1
	s_add_i32 s48, s36, 1
	;; [unrolled: 1-line block ×3, first 2 shown]
	s_mov_b64 s[38:39], 0
.LBB32_15:                              ;   in Loop: Header=BB32_12 Depth=2
	s_andn2_b64 vcc, exec, s[38:39]
	s_cbranch_vccnz .LBB32_17
; %bb.16:                               ;   in Loop: Header=BB32_12 Depth=2
	s_add_i32 s47, s45, 1
	s_mov_b32 s37, s44
	s_mov_b32 s48, s36
.LBB32_17:                              ;   in Loop: Header=BB32_12 Depth=2
	s_mov_b64 s[38:39], 0
.LBB32_18:                              ;   in Loop: Header=BB32_12 Depth=2
	s_andn2_b64 vcc, exec, s[38:39]
	s_cbranch_vccnz .LBB32_20
; %bb.19:                               ;   in Loop: Header=BB32_12 Depth=2
	s_add_i32 s48, s36, 1
	s_mov_b32 s47, s45
	s_mov_b32 s37, s44
.LBB32_20:                              ;   in Loop: Header=BB32_12 Depth=2
	s_cmp_le_i32 s48, s35
	s_cselect_b64 s[38:39], -1, 0
	s_cmp_le_i32 s46, s34
	s_cselect_b64 s[44:45], -1, 0
	s_and_b64 s[38:39], s[38:39], s[44:45]
	s_and_b64 vcc, exec, s[38:39]
	s_cbranch_vccz .LBB32_22
; %bb.21:                               ;   in Loop: Header=BB32_12 Depth=2
	s_mov_b32 s44, s37
	s_mov_b32 s36, s48
	;; [unrolled: 1-line block ×3, first 2 shown]
	s_branch .LBB32_12
.LBB32_22:                              ;   in Loop: Header=BB32_7 Depth=1
	s_add_u32 s30, s10, s30
	s_addc_u32 s31, s11, s31
	s_waitcnt lgkmcnt(0)
.LBB32_23:                              ;   Parent Loop BB32_7 Depth=1
                                        ; =>  This Inner Loop Header: Depth=2
	global_load_dword v4, v2, s[30:31] glc
	s_waitcnt vmcnt(0)
	v_cmp_eq_u32_e32 vcc, 0, v4
	s_cbranch_vccnz .LBB32_23
; %bb.24:                               ;   in Loop: Header=BB32_7 Depth=1
	v_mov_b32_e32 v9, 0
	v_mov_b32_e32 v4, 0
	;; [unrolled: 1-line block ×4, first 2 shown]
	buffer_wbinvl1_vol
	s_and_saveexec_b64 s[30:31], s[26:27]
	s_cbranch_execz .LBB32_26
; %bb.25:                               ;   in Loop: Header=BB32_7 Depth=1
	s_mul_i32 s35, s35, s33
	v_add_u32_e32 v4, s35, v25
	v_mad_u64_u32 v[4:5], s[34:35], v4, s33, v[3:4]
	v_mov_b32_e32 v6, s23
	v_ashrrev_i32_e32 v5, 31, v4
	v_lshlrev_b64 v[4:5], 3, v[4:5]
	v_add_co_u32_e32 v4, vcc, s22, v4
	v_addc_co_u32_e32 v5, vcc, v6, v5, vcc
	global_load_dwordx2 v[4:5], v[4:5], off
.LBB32_26:                              ;   in Loop: Header=BB32_7 Depth=1
	s_or_b64 exec, exec, s[30:31]
	s_cmp_lt_i32 s37, 2
	s_waitcnt vmcnt(0)
	ds_write_b64 v19, v[4:5]
	s_waitcnt lgkmcnt(0)
	s_cbranch_scc1 .LBB32_45
; %bb.27:                               ;   in Loop: Header=BB32_7 Depth=1
	v_mov_b32_e32 v4, 0
	s_add_i32 s34, s37, -2
	v_mov_b32_e32 v5, 0
	s_mov_b32 s35, 0
	s_and_b64 vcc, exec, s[6:7]
	s_cbranch_vccz .LBB32_30
	s_branch .LBB32_29
.LBB32_28:                              ;   in Loop: Header=BB32_7 Depth=1
	v_mov_b32_e32 v4, v9
	v_mov_b32_e32 v5, v10
	s_mov_b32 s35, s30
	s_and_b64 vcc, exec, s[6:7]
	s_cbranch_vccz .LBB32_30
.LBB32_29:                              ;   in Loop: Header=BB32_7 Depth=1
	v_mov_b32_e32 v10, v5
	v_mov_b32_e32 v9, v4
	s_branch .LBB32_44
.LBB32_30:                              ;   in Loop: Header=BB32_7 Depth=1
	s_lshl_b32 s30, s35, 2
	v_mov_b32_e32 v6, s30
	ds_read2st64_b32 v[7:8], v6 offset0:9 offset1:10
	s_mov_b32 s36, 0
	s_waitcnt lgkmcnt(0)
	v_add_u32_e32 v28, v7, v20
	v_add_u32_e32 v29, v8, v21
	;; [unrolled: 1-line block ×4, first 2 shown]
	s_mov_b64 s[30:31], -1
	s_and_b64 vcc, exec, s[24:25]
                                        ; implicit-def: $vgpr9_vgpr10
	s_cbranch_vccz .LBB32_37
	s_branch .LBB32_32
.LBB32_31:                              ;   in Loop: Header=BB32_37 Depth=2
	v_mov_b32_e32 v4, v9
	v_mov_b32_e32 v5, v10
	s_mov_b64 s[30:31], -1
	s_and_b64 vcc, exec, s[24:25]
                                        ; implicit-def: $vgpr9_vgpr10
	s_cbranch_vccz .LBB32_37
.LBB32_32:                              ;   in Loop: Header=BB32_7 Depth=1
	v_mov_b32_e32 v10, 0
	v_mov_b32_e32 v12, 0
	;; [unrolled: 1-line block ×4, first 2 shown]
	s_and_saveexec_b64 s[30:31], s[0:1]
	s_cbranch_execz .LBB32_34
; %bb.33:                               ;   in Loop: Header=BB32_7 Depth=1
	v_ashrrev_i32_e32 v9, 31, v8
	v_lshlrev_b64 v[12:13], 3, v[8:9]
	v_mov_b32_e32 v7, s23
	v_add_co_u32_e32 v12, vcc, s22, v12
	v_addc_co_u32_e32 v13, vcc, v7, v13, vcc
	global_load_dwordx2 v[12:13], v[12:13], off
.LBB32_34:                              ;   in Loop: Header=BB32_7 Depth=1
	s_or_b64 exec, exec, s[30:31]
	s_and_saveexec_b64 s[30:31], s[2:3]
	s_cbranch_execz .LBB32_36
; %bb.35:                               ;   in Loop: Header=BB32_7 Depth=1
	v_ashrrev_i32_e32 v7, 31, v6
	v_lshlrev_b64 v[9:10], 3, v[6:7]
	v_mov_b32_e32 v7, s23
	v_add_co_u32_e32 v9, vcc, s22, v9
	v_addc_co_u32_e32 v10, vcc, v7, v10, vcc
	global_load_dwordx2 v[10:11], v[9:10], off
.LBB32_36:                              ;   in Loop: Header=BB32_7 Depth=1
	s_or_b64 exec, exec, s[30:31]
	s_waitcnt vmcnt(0)
	v_fma_f64 v[9:10], v[12:13], v[10:11], v[4:5]
	s_mov_b64 s[30:31], 0
.LBB32_37:                              ;   Parent Loop BB32_7 Depth=1
                                        ; =>  This Inner Loop Header: Depth=2
	s_and_b64 vcc, exec, s[30:31]
	s_cbranch_vccz .LBB32_43
; %bb.38:                               ;   in Loop: Header=BB32_37 Depth=2
	v_mov_b32_e32 v9, 0
	v_mov_b32_e32 v11, 0
	;; [unrolled: 1-line block ×4, first 2 shown]
	s_and_saveexec_b64 s[30:31], s[0:1]
	s_cbranch_execz .LBB32_40
; %bb.39:                               ;   in Loop: Header=BB32_37 Depth=2
	v_add_u32_e32 v11, s36, v28
	v_ashrrev_i32_e32 v12, 31, v11
	v_lshlrev_b64 v[11:12], 3, v[11:12]
	v_mov_b32_e32 v7, s23
	v_add_co_u32_e32 v11, vcc, s22, v11
	v_addc_co_u32_e32 v12, vcc, v7, v12, vcc
	global_load_dwordx2 v[11:12], v[11:12], off
.LBB32_40:                              ;   in Loop: Header=BB32_37 Depth=2
	s_or_b64 exec, exec, s[30:31]
	s_and_saveexec_b64 s[30:31], s[2:3]
	s_cbranch_execz .LBB32_42
; %bb.41:                               ;   in Loop: Header=BB32_37 Depth=2
	v_add_u32_e32 v9, s36, v29
	v_ashrrev_i32_e32 v10, 31, v9
	v_lshlrev_b64 v[9:10], 3, v[9:10]
	v_mov_b32_e32 v7, s23
	v_add_co_u32_e32 v9, vcc, s22, v9
	v_addc_co_u32_e32 v10, vcc, v7, v10, vcc
	global_load_dwordx2 v[9:10], v[9:10], off
.LBB32_42:                              ;   in Loop: Header=BB32_37 Depth=2
	s_or_b64 exec, exec, s[30:31]
	s_waitcnt vmcnt(0)
	v_fma_f64 v[9:10], v[11:12], v[9:10], v[4:5]
.LBB32_43:                              ;   in Loop: Header=BB32_37 Depth=2
	s_add_i32 s36, s36, 1
	v_add_u32_e32 v6, s33, v6
	s_cmp_eq_u32 s33, s36
	v_add_u32_e32 v8, s33, v8
	s_cbranch_scc0 .LBB32_31
.LBB32_44:                              ;   in Loop: Header=BB32_7 Depth=1
	s_add_i32 s30, s35, 1
	s_cmp_eq_u32 s35, s34
	s_cbranch_scc0 .LBB32_28
.LBB32_45:                              ;   in Loop: Header=BB32_7 Depth=1
	s_and_b64 vcc, exec, s[6:7]
	ds_write_b64 v23, v[9:10]
	s_waitcnt lgkmcnt(0)
	s_cbranch_vccnz .LBB32_54
; %bb.46:                               ;   in Loop: Header=BB32_7 Depth=1
	s_mov_b32 s36, 0
	s_mov_b32 s37, 0
	s_branch .LBB32_48
.LBB32_47:                              ;   in Loop: Header=BB32_48 Depth=2
	s_waitcnt lgkmcnt(0)
	v_add_f64 v[4:5], v[4:5], -v[8:9]
	s_addk_i32 s36, 0x48
	v_div_scale_f64 v[8:9], s[30:31], v[6:7], v[6:7], v[4:5]
	v_rcp_f64_e32 v[11:12], v[8:9]
	v_fma_f64 v[28:29], -v[8:9], v[11:12], 1.0
	v_fma_f64 v[11:12], v[11:12], v[28:29], v[11:12]
	v_div_scale_f64 v[28:29], vcc, v[4:5], v[6:7], v[4:5]
	v_fma_f64 v[30:31], -v[8:9], v[11:12], 1.0
	v_fma_f64 v[11:12], v[11:12], v[30:31], v[11:12]
	v_mul_f64 v[30:31], v[28:29], v[11:12]
	v_fma_f64 v[8:9], -v[8:9], v[30:31], v[28:29]
	v_div_fmas_f64 v[8:9], v[8:9], v[11:12], v[30:31]
	v_div_fixup_f64 v[4:5], v[8:9], v[6:7], v[4:5]
	v_lshl_add_u32 v6, s37, 3, v24
	s_add_i32 s37, s37, 1
	s_cmp_eq_u32 s37, s33
	ds_write_b64 v10, v[4:5]
	s_waitcnt lgkmcnt(0)
	ds_read_b64 v[6:7], v6
	ds_read_b64 v[8:9], v14
	s_waitcnt lgkmcnt(0)
	v_fma_f64 v[4:5], v[4:5], v[6:7], v[8:9]
	ds_write_b64 v14, v[4:5]
	s_waitcnt lgkmcnt(0)
	s_cbranch_scc1 .LBB32_54
.LBB32_48:                              ;   Parent Loop BB32_7 Depth=1
                                        ; =>  This Loop Header: Depth=2
                                        ;       Child Loop BB32_53 Depth 3
	s_lshl_b32 s30, s37, 3
	s_mul_i32 s31, s37, 0x48
	s_add_i32 s31, s31, s30
	v_mov_b32_e32 v4, s31
	ds_read_b64 v[6:7], v4
	v_add_u32_e32 v10, s30, v17
	ds_read_b64 v[4:5], v10
	s_waitcnt lgkmcnt(1)
	v_cmp_neq_f64_e32 vcc, 0, v[6:7]
	v_cndmask_b32_e32 v7, v26, v7, vcc
	s_nor_b64 s[34:35], vcc, s[4:5]
	v_cndmask_b32_e32 v6, 0, v6, vcc
	s_and_saveexec_b64 s[30:31], s[34:35]
	s_cbranch_execz .LBB32_52
; %bb.49:                               ;   in Loop: Header=BB32_48 Depth=2
	v_mbcnt_lo_u32_b32 v6, exec_lo, 0
	v_mbcnt_hi_u32_b32 v6, exec_hi, v6
	v_cmp_eq_u32_e32 vcc, 0, v6
	s_and_saveexec_b64 s[34:35], vcc
	s_cbranch_execz .LBB32_51
; %bb.50:                               ;   in Loop: Header=BB32_48 Depth=2
	v_mov_b32_e32 v6, s29
	global_atomic_smin v2, v6, s[14:15]
.LBB32_51:                              ;   in Loop: Header=BB32_48 Depth=2
	s_or_b64 exec, exec, s[34:35]
	v_mov_b32_e32 v6, 0
	v_mov_b32_e32 v7, 0x3ff00000
.LBB32_52:                              ;   in Loop: Header=BB32_48 Depth=2
	s_or_b64 exec, exec, s[30:31]
	v_lshl_add_u32 v8, s37, 3, v22
	ds_read_b64 v[8:9], v8
	s_cmp_eq_u32 s37, 0
	v_mov_b32_e32 v11, v17
	s_mov_b32 s30, s36
	s_mov_b32 s31, s37
	s_cbranch_scc1 .LBB32_47
.LBB32_53:                              ;   Parent Loop BB32_7 Depth=1
                                        ;     Parent Loop BB32_48 Depth=2
                                        ; =>    This Inner Loop Header: Depth=3
	v_mov_b32_e32 v28, s30
	ds_read_b64 v[12:13], v11
	ds_read_b64 v[28:29], v28
	s_add_i32 s31, s31, -1
	s_add_i32 s30, s30, 8
	s_cmp_eq_u32 s31, 0
	v_add_u32_e32 v11, 8, v11
	s_waitcnt lgkmcnt(0)
	v_fma_f64 v[8:9], v[28:29], v[12:13], v[8:9]
	s_cbranch_scc0 .LBB32_53
	s_branch .LBB32_47
.LBB32_54:                              ;   in Loop: Header=BB32_7 Depth=1
	s_and_saveexec_b64 s[30:31], s[26:27]
	s_cbranch_execz .LBB32_6
; %bb.55:                               ;   in Loop: Header=BB32_7 Depth=1
	v_mad_u64_u32 v[4:5], s[34:35], v27, s33, v[3:4]
	ds_read_b64 v[6:7], v18
	v_mov_b32_e32 v8, s23
	v_ashrrev_i32_e32 v5, 31, v4
	v_lshlrev_b64 v[4:5], 3, v[4:5]
	v_add_co_u32_e32 v4, vcc, s22, v4
	v_addc_co_u32_e32 v5, vcc, v8, v5, vcc
	s_waitcnt lgkmcnt(0)
	global_store_dwordx2 v[4:5], v[6:7], off
	s_branch .LBB32_6
.LBB32_56:                              ;   in Loop: Header=BB32_7 Depth=1
                                        ; implicit-def: $sgpr28
	s_cbranch_execz .LBB32_7
.LBB32_57:
	s_cmp_eq_u32 s42, 0
	s_cselect_b64 vcc, -1, 0
	v_max_i32_e32 v2, v0, v1
	v_mov_b32_e32 v3, 0
	v_cndmask_b32_e32 v5, v0, v1, vcc
	s_mul_i32 s40, s40, s33
	v_cmp_gt_i32_e64 s[0:1], s33, v2
	v_mov_b32_e32 v4, 0
	v_cndmask_b32_e32 v2, v1, v0, vcc
	v_add_u32_e32 v5, s40, v5
	s_and_saveexec_b64 s[2:3], s[0:1]
	s_cbranch_execz .LBB32_59
; %bb.58:
	v_mad_u64_u32 v[3:4], s[4:5], v5, s33, v[2:3]
	v_mov_b32_e32 v6, s23
	v_ashrrev_i32_e32 v4, 31, v3
	v_lshlrev_b64 v[3:4], 3, v[3:4]
	v_add_co_u32_e32 v3, vcc, s22, v3
	v_addc_co_u32_e32 v4, vcc, v6, v4, vcc
	global_load_dwordx2 v[3:4], v[3:4], off
.LBB32_59:
	s_or_b64 exec, exec, s[2:3]
	s_movk_i32 s4, 0x48
	v_mov_b32_e32 v10, 0x480
	v_mad_u32_u24 v7, v1, s4, v10
	s_movk_i32 s16, 0x480
	v_lshl_add_u32 v6, v0, 3, v7
	s_cmp_lt_i32 s33, 1
	s_waitcnt vmcnt(0)
	ds_write_b64 v6, v[3:4]
	s_waitcnt lgkmcnt(0)
	s_cbranch_scc1 .LBB32_70
; %bb.60:
	v_or_b32_e32 v3, v0, v1
	v_mad_u32_u24 v10, v0, s4, v10
	s_mov_b32 s4, 0
	s_mov_b32 s17, 0
	v_cmp_ne_u32_e64 s[2:3], 0, v3
	s_add_i32 s18, s20, s21
	v_add_u32_e32 v8, v7, v15
	v_add_u32_e32 v9, v16, v15
	s_brev_b32 s5, 8
	v_mov_b32_e32 v11, 0x260
	v_mov_b32_e32 v12, 0x3ff00000
	;; [unrolled: 1-line block ×5, first 2 shown]
	s_branch .LBB32_62
.LBB32_61:                              ;   in Loop: Header=BB32_62 Depth=1
	s_or_b64 exec, exec, s[6:7]
	s_add_i32 s17, s17, 1
	s_addk_i32 s16, 0x50
	v_add_u32_e32 v7, 8, v7
	s_cmp_eq_u32 s33, s17
	v_add_u32_e32 v10, 8, v10
	s_waitcnt lgkmcnt(0)
	s_cbranch_scc1 .LBB32_70
.LBB32_62:                              ; =>This Inner Loop Header: Depth=1
	v_cmp_eq_u32_e32 vcc, s17, v1
	s_and_saveexec_b64 s[6:7], vcc
	s_cbranch_execz .LBB32_64
; %bb.63:                               ;   in Loop: Header=BB32_62 Depth=1
	ds_read_b64 v[3:4], v8
	ds_read_b64 v[17:18], v9
	s_waitcnt lgkmcnt(0)
	v_add_f64 v[3:4], v[3:4], -v[17:18]
	v_cmp_gt_f64_e32 vcc, 0, v[3:4]
	v_xor_b32_e32 v17, 0x80000000, v4
	v_cndmask_b32_e32 v4, v4, v17, vcc
	v_cmp_gt_f64_e32 vcc, s[4:5], v[3:4]
	v_cndmask_b32_e32 v17, 0, v15, vcc
	v_ldexp_f64 v[3:4], v[3:4], v17
	v_rsq_f64_e32 v[17:18], v[3:4]
	v_mul_f64 v[19:20], v[3:4], v[17:18]
	v_mul_f64 v[17:18], v[17:18], 0.5
	v_fma_f64 v[21:22], -v[17:18], v[19:20], 0.5
	v_fma_f64 v[19:20], v[19:20], v[21:22], v[19:20]
	v_fma_f64 v[17:18], v[17:18], v[21:22], v[17:18]
	v_fma_f64 v[21:22], -v[19:20], v[19:20], v[3:4]
	v_fma_f64 v[19:20], v[21:22], v[17:18], v[19:20]
	v_fma_f64 v[21:22], -v[19:20], v[19:20], v[3:4]
	v_fma_f64 v[17:18], v[21:22], v[17:18], v[19:20]
	v_cndmask_b32_e32 v19, 0, v16, vcc
	v_cmp_class_f64_e32 vcc, v[3:4], v11
	v_ldexp_f64 v[17:18], v[17:18], v19
	v_cndmask_b32_e32 v4, v18, v4, vcc
	v_cndmask_b32_e32 v3, v17, v3, vcc
	ds_write_b64 v8, v[3:4]
.LBB32_64:                              ;   in Loop: Header=BB32_62 Depth=1
	s_or_b64 exec, exec, s[6:7]
	v_mov_b32_e32 v3, s16
	s_waitcnt lgkmcnt(0)
	ds_read_b64 v[3:4], v3
	s_waitcnt lgkmcnt(0)
	v_cmp_neq_f64_e32 vcc, 0, v[3:4]
	v_cndmask_b32_e32 v4, v12, v4, vcc
	s_nor_b64 s[8:9], vcc, s[2:3]
	v_cndmask_b32_e32 v3, 0, v3, vcc
	s_and_saveexec_b64 s[6:7], s[8:9]
	s_cbranch_execz .LBB32_68
; %bb.65:                               ;   in Loop: Header=BB32_62 Depth=1
	v_mbcnt_lo_u32_b32 v3, exec_lo, 0
	v_mbcnt_hi_u32_b32 v3, exec_hi, v3
	v_cmp_eq_u32_e32 vcc, 0, v3
	s_and_saveexec_b64 s[8:9], vcc
	s_cbranch_execz .LBB32_67
; %bb.66:                               ;   in Loop: Header=BB32_62 Depth=1
	v_mov_b32_e32 v3, s18
	global_atomic_smin v13, v3, s[14:15]
.LBB32_67:                              ;   in Loop: Header=BB32_62 Depth=1
	s_or_b64 exec, exec, s[8:9]
	v_mov_b32_e32 v3, 0
	v_mov_b32_e32 v4, 0x3ff00000
.LBB32_68:                              ;   in Loop: Header=BB32_62 Depth=1
	s_or_b64 exec, exec, s[6:7]
	v_cmp_lt_u32_e32 vcc, s17, v1
	s_and_saveexec_b64 s[6:7], vcc
	s_cbranch_execz .LBB32_61
; %bb.69:                               ;   in Loop: Header=BB32_62 Depth=1
	ds_read2_b64 v[17:20], v7 offset1:72
	s_waitcnt lgkmcnt(0)
	v_add_f64 v[17:18], v[17:18], -v[19:20]
	v_div_scale_f64 v[19:20], s[8:9], v[3:4], v[3:4], v[17:18]
	v_rcp_f64_e32 v[21:22], v[19:20]
	v_fma_f64 v[23:24], -v[19:20], v[21:22], 1.0
	v_fma_f64 v[21:22], v[21:22], v[23:24], v[21:22]
	v_div_scale_f64 v[23:24], vcc, v[17:18], v[3:4], v[17:18]
	v_fma_f64 v[25:26], -v[19:20], v[21:22], 1.0
	v_fma_f64 v[21:22], v[21:22], v[25:26], v[21:22]
	v_mul_f64 v[25:26], v[23:24], v[21:22]
	v_fma_f64 v[19:20], -v[19:20], v[25:26], v[23:24]
	v_div_fmas_f64 v[19:20], v[19:20], v[21:22], v[25:26]
	v_div_fixup_f64 v[3:4], v[19:20], v[3:4], v[17:18]
	ds_write_b64 v7, v[3:4]
	s_waitcnt lgkmcnt(0)
	ds_read_b64 v[17:18], v10
	ds_read_b64 v[19:20], v14
	s_waitcnt lgkmcnt(0)
	v_fma_f64 v[3:4], v[3:4], v[17:18], v[19:20]
	ds_write_b64 v14, v[3:4]
	s_branch .LBB32_61
.LBB32_70:
	s_and_saveexec_b64 s[2:3], s[0:1]
	s_cbranch_execz .LBB32_72
; %bb.71:
	v_mad_u64_u32 v[2:3], s[0:1], v5, s33, v[2:3]
	ds_read_b64 v[4:5], v6
	v_mov_b32_e32 v6, s23
	v_ashrrev_i32_e32 v3, 31, v2
	v_lshlrev_b64 v[2:3], 3, v[2:3]
	v_add_co_u32_e32 v2, vcc, s22, v2
	v_addc_co_u32_e32 v3, vcc, v6, v3, vcc
	s_waitcnt lgkmcnt(0)
	global_store_dwordx2 v[2:3], v[4:5], off
.LBB32_72:
	s_or_b64 exec, exec, s[2:3]
	v_or_b32_e32 v2, v0, v1
	v_cmp_eq_u32_e32 vcc, 0, v2
	s_and_saveexec_b64 s[0:1], vcc
	s_cbranch_execz .LBB32_74
; %bb.73:
	s_add_u32 s2, s10, s12
	s_addc_u32 s3, s11, s13
	v_mov_b32_e32 v2, 0
	v_mov_b32_e32 v3, 1
	s_waitcnt vmcnt(0)
	global_store_dword v2, v3, s[2:3]
.LBB32_74:
	s_or_b64 exec, exec, s[0:1]
.LBB32_75:
	s_endpgm
.LBB32_76:
	s_cbranch_execz .LBB32_75
; %bb.77:
	v_or_b32_e32 v0, v0, v1
	v_cmp_eq_u32_e32 vcc, 0, v0
	s_and_saveexec_b64 s[0:1], vcc
	s_cbranch_execz .LBB32_75
; %bb.78:
	v_mbcnt_lo_u32_b32 v0, exec_lo, 0
	v_mbcnt_hi_u32_b32 v0, exec_hi, v0
	v_cmp_eq_u32_e32 vcc, 0, v0
	s_and_saveexec_b64 s[0:1], vcc
	s_cbranch_execz .LBB32_80
; %bb.79:
	s_add_i32 s2, s20, s21
	v_mov_b32_e32 v0, 0
	v_mov_b32_e32 v1, s2
	global_atomic_smin v0, v1, s[14:15]
.LBB32_80:
	s_or_b64 exec, exec, s[0:1]
	s_add_u32 s0, s10, s12
	s_addc_u32 s1, s11, s13
	v_mov_b32_e32 v0, 0
	v_mov_b32_e32 v1, 1
	s_waitcnt vmcnt(0)
	global_store_dword v0, v1, s[0:1]
	s_endpgm
	.section	.rodata,"a",@progbits
	.p2align	6, 0x0
	.amdhsa_kernel _ZN9rocsparseL17bsric0_2_8_kernelILi64ELi64ELi8EdEEv20rocsparse_direction_iiPKiS3_PT2_S3_PiS3_S6_21rocsparse_index_base_
		.amdhsa_group_segment_fixed_size 3072
		.amdhsa_private_segment_fixed_size 0
		.amdhsa_kernarg_size 76
		.amdhsa_user_sgpr_count 6
		.amdhsa_user_sgpr_private_segment_buffer 1
		.amdhsa_user_sgpr_dispatch_ptr 0
		.amdhsa_user_sgpr_queue_ptr 0
		.amdhsa_user_sgpr_kernarg_segment_ptr 1
		.amdhsa_user_sgpr_dispatch_id 0
		.amdhsa_user_sgpr_flat_scratch_init 0
		.amdhsa_user_sgpr_private_segment_size 0
		.amdhsa_uses_dynamic_stack 0
		.amdhsa_system_sgpr_private_segment_wavefront_offset 0
		.amdhsa_system_sgpr_workgroup_id_x 1
		.amdhsa_system_sgpr_workgroup_id_y 0
		.amdhsa_system_sgpr_workgroup_id_z 0
		.amdhsa_system_sgpr_workgroup_info 0
		.amdhsa_system_vgpr_workitem_id 1
		.amdhsa_next_free_vgpr 37
		.amdhsa_next_free_sgpr 93
		.amdhsa_reserve_vcc 1
		.amdhsa_reserve_flat_scratch 0
		.amdhsa_float_round_mode_32 0
		.amdhsa_float_round_mode_16_64 0
		.amdhsa_float_denorm_mode_32 3
		.amdhsa_float_denorm_mode_16_64 3
		.amdhsa_dx10_clamp 1
		.amdhsa_ieee_mode 1
		.amdhsa_fp16_overflow 0
		.amdhsa_exception_fp_ieee_invalid_op 0
		.amdhsa_exception_fp_denorm_src 0
		.amdhsa_exception_fp_ieee_div_zero 0
		.amdhsa_exception_fp_ieee_overflow 0
		.amdhsa_exception_fp_ieee_underflow 0
		.amdhsa_exception_fp_ieee_inexact 0
		.amdhsa_exception_int_div_zero 0
	.end_amdhsa_kernel
	.section	.text._ZN9rocsparseL17bsric0_2_8_kernelILi64ELi64ELi8EdEEv20rocsparse_direction_iiPKiS3_PT2_S3_PiS3_S6_21rocsparse_index_base_,"axG",@progbits,_ZN9rocsparseL17bsric0_2_8_kernelILi64ELi64ELi8EdEEv20rocsparse_direction_iiPKiS3_PT2_S3_PiS3_S6_21rocsparse_index_base_,comdat
.Lfunc_end32:
	.size	_ZN9rocsparseL17bsric0_2_8_kernelILi64ELi64ELi8EdEEv20rocsparse_direction_iiPKiS3_PT2_S3_PiS3_S6_21rocsparse_index_base_, .Lfunc_end32-_ZN9rocsparseL17bsric0_2_8_kernelILi64ELi64ELi8EdEEv20rocsparse_direction_iiPKiS3_PT2_S3_PiS3_S6_21rocsparse_index_base_
                                        ; -- End function
	.set _ZN9rocsparseL17bsric0_2_8_kernelILi64ELi64ELi8EdEEv20rocsparse_direction_iiPKiS3_PT2_S3_PiS3_S6_21rocsparse_index_base_.num_vgpr, 32
	.set _ZN9rocsparseL17bsric0_2_8_kernelILi64ELi64ELi8EdEEv20rocsparse_direction_iiPKiS3_PT2_S3_PiS3_S6_21rocsparse_index_base_.num_agpr, 0
	.set _ZN9rocsparseL17bsric0_2_8_kernelILi64ELi64ELi8EdEEv20rocsparse_direction_iiPKiS3_PT2_S3_PiS3_S6_21rocsparse_index_base_.numbered_sgpr, 50
	.set _ZN9rocsparseL17bsric0_2_8_kernelILi64ELi64ELi8EdEEv20rocsparse_direction_iiPKiS3_PT2_S3_PiS3_S6_21rocsparse_index_base_.num_named_barrier, 0
	.set _ZN9rocsparseL17bsric0_2_8_kernelILi64ELi64ELi8EdEEv20rocsparse_direction_iiPKiS3_PT2_S3_PiS3_S6_21rocsparse_index_base_.private_seg_size, 0
	.set _ZN9rocsparseL17bsric0_2_8_kernelILi64ELi64ELi8EdEEv20rocsparse_direction_iiPKiS3_PT2_S3_PiS3_S6_21rocsparse_index_base_.uses_vcc, 1
	.set _ZN9rocsparseL17bsric0_2_8_kernelILi64ELi64ELi8EdEEv20rocsparse_direction_iiPKiS3_PT2_S3_PiS3_S6_21rocsparse_index_base_.uses_flat_scratch, 0
	.set _ZN9rocsparseL17bsric0_2_8_kernelILi64ELi64ELi8EdEEv20rocsparse_direction_iiPKiS3_PT2_S3_PiS3_S6_21rocsparse_index_base_.has_dyn_sized_stack, 0
	.set _ZN9rocsparseL17bsric0_2_8_kernelILi64ELi64ELi8EdEEv20rocsparse_direction_iiPKiS3_PT2_S3_PiS3_S6_21rocsparse_index_base_.has_recursion, 0
	.set _ZN9rocsparseL17bsric0_2_8_kernelILi64ELi64ELi8EdEEv20rocsparse_direction_iiPKiS3_PT2_S3_PiS3_S6_21rocsparse_index_base_.has_indirect_call, 0
	.section	.AMDGPU.csdata,"",@progbits
; Kernel info:
; codeLenInByte = 2976
; TotalNumSgprs: 54
; NumVgprs: 32
; ScratchSize: 0
; MemoryBound: 0
; FloatMode: 240
; IeeeMode: 1
; LDSByteSize: 3072 bytes/workgroup (compile time only)
; SGPRBlocks: 12
; VGPRBlocks: 9
; NumSGPRsForWavesPerEU: 97
; NumVGPRsForWavesPerEU: 37
; Occupancy: 6
; WaveLimiterHint : 1
; COMPUTE_PGM_RSRC2:SCRATCH_EN: 0
; COMPUTE_PGM_RSRC2:USER_SGPR: 6
; COMPUTE_PGM_RSRC2:TRAP_HANDLER: 0
; COMPUTE_PGM_RSRC2:TGID_X_EN: 1
; COMPUTE_PGM_RSRC2:TGID_Y_EN: 0
; COMPUTE_PGM_RSRC2:TGID_Z_EN: 0
; COMPUTE_PGM_RSRC2:TIDIG_COMP_CNT: 1
	.section	.text._ZN9rocsparseL18bsric0_9_16_kernelILi64ELi64ELi16EdEEv20rocsparse_direction_iiPKiS3_PT2_S3_PiS3_S6_21rocsparse_index_base_,"axG",@progbits,_ZN9rocsparseL18bsric0_9_16_kernelILi64ELi64ELi16EdEEv20rocsparse_direction_iiPKiS3_PT2_S3_PiS3_S6_21rocsparse_index_base_,comdat
	.globl	_ZN9rocsparseL18bsric0_9_16_kernelILi64ELi64ELi16EdEEv20rocsparse_direction_iiPKiS3_PT2_S3_PiS3_S6_21rocsparse_index_base_ ; -- Begin function _ZN9rocsparseL18bsric0_9_16_kernelILi64ELi64ELi16EdEEv20rocsparse_direction_iiPKiS3_PT2_S3_PiS3_S6_21rocsparse_index_base_
	.p2align	8
	.type	_ZN9rocsparseL18bsric0_9_16_kernelILi64ELi64ELi16EdEEv20rocsparse_direction_iiPKiS3_PT2_S3_PiS3_S6_21rocsparse_index_base_,@function
_ZN9rocsparseL18bsric0_9_16_kernelILi64ELi64ELi16EdEEv20rocsparse_direction_iiPKiS3_PT2_S3_PiS3_S6_21rocsparse_index_base_: ; @_ZN9rocsparseL18bsric0_9_16_kernelILi64ELi64ELi16EdEEv20rocsparse_direction_iiPKiS3_PT2_S3_PiS3_S6_21rocsparse_index_base_
; %bb.0:
	s_load_dwordx8 s[8:15], s[4:5], 0x28
	s_mov_b32 s7, 0
	s_lshl_b64 s[0:1], s[6:7], 2
	s_waitcnt lgkmcnt(0)
	s_add_u32 s0, s12, s0
	s_addc_u32 s1, s13, s1
	s_load_dword s12, s[0:1], 0x0
	s_waitcnt lgkmcnt(0)
	s_ashr_i32 s13, s12, 31
	s_lshl_b64 s[6:7], s[12:13], 2
	s_add_u32 s0, s8, s6
	s_addc_u32 s1, s9, s7
	s_load_dword s33, s[0:1], 0x0
	s_load_dword s13, s[4:5], 0x48
	s_waitcnt lgkmcnt(0)
	s_cmp_lg_u32 s33, -1
	s_cbranch_scc0 .LBB33_128
; %bb.1:
	s_load_dwordx4 s[16:19], s[4:5], 0x10
	s_load_dwordx2 s[20:21], s[4:5], 0x20
	v_lshlrev_b32_e32 v2, 2, v1
	s_waitcnt lgkmcnt(0)
	s_add_u32 s0, s16, s6
	s_addc_u32 s1, s17, s7
	s_load_dword s0, s[0:1], 0x0
	s_waitcnt lgkmcnt(0)
	s_sub_i32 s46, s0, s13
	v_add3_u32 v2, v2, v0, s46
	v_cmp_ge_i32_e32 vcc, s33, v2
	s_and_saveexec_b64 s[0:1], vcc
	s_cbranch_execz .LBB33_4
; %bb.2:
	v_lshlrev_b32_e32 v3, 4, v1
	v_lshlrev_b32_e32 v4, 2, v0
	s_movk_i32 s2, 0x2400
	v_add3_u32 v4, v3, v4, s2
	s_mov_b64 s[2:3], 0
	v_mov_b32_e32 v5, s19
.LBB33_3:                               ; =>This Inner Loop Header: Depth=1
	v_ashrrev_i32_e32 v3, 31, v2
	v_lshlrev_b64 v[6:7], 2, v[2:3]
	v_add_u32_e32 v2, 64, v2
	v_add_co_u32_e32 v6, vcc, s18, v6
	v_addc_co_u32_e32 v7, vcc, v5, v7, vcc
	global_load_dword v3, v[6:7], off
	v_cmp_lt_i32_e32 vcc, s33, v2
	s_or_b64 s[2:3], vcc, s[2:3]
	s_waitcnt vmcnt(0)
	v_subrev_u32_e32 v3, s13, v3
	ds_write_b32 v4, v3
	v_add_u32_e32 v4, 0x100, v4
	s_andn2_b64 exec, exec, s[2:3]
	s_cbranch_execnz .LBB33_3
.LBB33_4:
	s_or_b64 exec, exec, s[0:1]
	v_cmp_gt_u32_e32 vcc, 16, v0
	v_lshlrev_b32_e32 v13, 3, v0
	s_and_saveexec_b64 s[0:1], vcc
	s_cbranch_execz .LBB33_7
; %bb.5:
	v_mul_u32_u24_e32 v2, 0x88, v1
	s_movk_i32 s2, 0x1980
	v_add3_u32 v5, v2, v13, s2
	v_mov_b32_e32 v2, 0
	v_add_u32_e32 v4, -4, v0
	s_mov_b64 s[2:3], 0
	v_mov_b32_e32 v3, v2
.LBB33_6:                               ; =>This Inner Loop Header: Depth=1
	v_add_u32_e32 v4, 4, v4
	v_cmp_lt_u32_e32 vcc, 11, v4
	ds_write_b64 v5, v[2:3]
	s_or_b64 s[2:3], vcc, s[2:3]
	v_add_u32_e32 v5, 32, v5
	s_andn2_b64 exec, exec, s[2:3]
	s_cbranch_execnz .LBB33_6
.LBB33_7:
	s_or_b64 exec, exec, s[0:1]
	s_load_dword s44, s[4:5], 0x8
	s_load_dword s45, s[4:5], 0x0
	s_cmp_ge_i32 s46, s33
	s_waitcnt lgkmcnt(0)
	v_cmp_gt_i32_e64 s[0:1], s44, v0
	s_cbranch_scc1 .LBB33_89
; %bb.8:
	s_movk_i32 s26, 0x88
	v_mov_b32_e32 v3, 0x880
	v_mad_u32_u24 v15, v1, s26, v3
	v_or_b32_e32 v3, v0, v1
	s_mul_i32 s27, s44, s46
	v_cmp_ne_u32_e64 s[4:5], 0, v3
	v_add_u32_e32 v3, s27, v1
	v_mul_lo_u32 v16, s44, v1
	v_mul_lo_u32 v20, s44, v3
	;; [unrolled: 1-line block ×3, first 2 shown]
	s_cmp_lg_u32 s45, 0
	s_cselect_b64 s[22:23], -1, 0
	v_mov_b32_e32 v2, 0x1100
	s_cmp_gt_i32 s44, 0
	v_mad_u32_u24 v17, v1, s26, v13
	v_cmp_gt_i32_e64 s[2:3], s44, v1
	v_mad_u32_u24 v14, v1, s26, v2
	s_mul_i32 s47, s44, s44
	s_cselect_b64 s[24:25], -1, 0
	v_add_u32_e32 v18, 0x880, v17
	s_lshl_b32 s48, s44, 2
	v_add_u32_e32 v21, 0x1980, v17
	v_mad_u32_u24 v22, v0, s26, v2
	v_add_u32_e32 v23, 0x1100, v17
	v_mov_b32_e32 v2, 0
	v_mov_b32_e32 v24, 0x3ff00000
	s_mov_b32 s26, s46
	s_branch .LBB33_10
.LBB33_9:                               ;   in Loop: Header=BB33_10 Depth=1
	s_or_b64 exec, exec, s[28:29]
	s_add_i32 s26, s26, 1
	s_cmp_ge_i32 s26, s33
	s_waitcnt vmcnt(0)
	buffer_wbinvl1_vol
	v_add_u32_e32 v20, s47, v20
	s_cselect_b64 s[28:29], -1, 0
	s_and_b64 vcc, exec, s[28:29]
	s_cbranch_vccnz .LBB33_89
.LBB33_10:                              ; =>This Loop Header: Depth=1
                                        ;     Child Loop BB33_14 Depth 2
                                        ;     Child Loop BB33_26 Depth 2
	;; [unrolled: 1-line block ×5, first 2 shown]
                                        ;       Child Loop BB33_56 Depth 3
                                        ;     Child Loop BB33_70 Depth 2
                                        ;       Child Loop BB33_75 Depth 3
                                        ;       Child Loop BB33_78 Depth 3
                                        ;     Child Loop BB33_84 Depth 2
	s_ashr_i32 s27, s26, 31
	s_lshl_b64 s[28:29], s[26:27], 2
	s_add_u32 s28, s18, s28
	s_addc_u32 s29, s19, s29
	s_load_dword s49, s[28:29], 0x0
	s_waitcnt lgkmcnt(0)
	s_sub_i32 s30, s49, s13
	s_ashr_i32 s31, s30, 31
	s_lshl_b64 s[28:29], s[30:31], 2
	s_add_u32 s34, s8, s28
	s_addc_u32 s35, s9, s29
	s_load_dword s31, s[34:35], 0x0
	s_waitcnt lgkmcnt(0)
	s_cmp_eq_u32 s31, -1
	s_cbranch_scc1 .LBB33_88
; %bb.11:                               ;   in Loop: Header=BB33_10 Depth=1
	s_add_u32 s34, s16, s28
	s_addc_u32 s35, s17, s29
	s_load_dword s50, s[34:35], 0x0
	s_mul_i32 s27, s26, s44
	s_and_saveexec_b64 s[34:35], s[0:1]
	s_cbranch_execz .LBB33_24
; %bb.12:                               ;   in Loop: Header=BB33_10 Depth=1
	s_mov_b64 s[36:37], 0
	v_mov_b32_e32 v6, v18
	v_mov_b32_e32 v7, v0
	s_branch .LBB33_14
.LBB33_13:                              ;   in Loop: Header=BB33_14 Depth=2
	s_or_b64 exec, exec, s[40:41]
	v_add_u32_e32 v7, 4, v7
	v_mov_b32_e32 v3, v2
	v_cmp_le_i32_e32 vcc, s44, v7
	s_waitcnt vmcnt(0)
	ds_write_b64 v6, v[4:5] offset:2176
	ds_write_b64 v6, v[2:3]
	s_or_b64 s[36:37], vcc, s[36:37]
	v_add_u32_e32 v6, 32, v6
	s_andn2_b64 exec, exec, s[36:37]
	s_cbranch_execz .LBB33_24
.LBB33_14:                              ;   Parent Loop BB33_10 Depth=1
                                        ; =>  This Inner Loop Header: Depth=2
	s_and_b64 vcc, exec, s[22:23]
	s_cbranch_vccz .LBB33_21
; %bb.15:                               ;   in Loop: Header=BB33_14 Depth=2
	s_mov_b64 s[40:41], 0
	s_mov_b64 s[38:39], 0
                                        ; implicit-def: $vgpr3
	s_and_saveexec_b64 s[42:43], s[2:3]
	s_xor_b64 s[42:43], exec, s[42:43]
; %bb.16:                               ;   in Loop: Header=BB33_14 Depth=2
	v_add_u32_e32 v3, s27, v7
	s_mov_b64 s[38:39], exec
	v_mad_u64_u32 v[3:4], s[52:53], v3, s44, v[1:2]
; %bb.17:                               ;   in Loop: Header=BB33_14 Depth=2
	s_or_b64 exec, exec, s[42:43]
	s_and_b64 vcc, exec, s[40:41]
	s_cbranch_vccz .LBB33_22
.LBB33_18:                              ;   in Loop: Header=BB33_14 Depth=2
                                        ; implicit-def: $vgpr3
	s_and_saveexec_b64 s[40:41], s[2:3]
; %bb.19:                               ;   in Loop: Header=BB33_14 Depth=2
	v_add_u32_e32 v3, v20, v7
	s_or_b64 s[38:39], s[38:39], exec
; %bb.20:                               ;   in Loop: Header=BB33_14 Depth=2
	s_or_b64 exec, exec, s[40:41]
	v_mov_b32_e32 v4, 0
	v_mov_b32_e32 v5, 0
	s_and_saveexec_b64 s[40:41], s[38:39]
	s_cbranch_execz .LBB33_13
	s_branch .LBB33_23
.LBB33_21:                              ;   in Loop: Header=BB33_14 Depth=2
	s_mov_b64 s[38:39], 0
                                        ; implicit-def: $vgpr3
	s_cbranch_execnz .LBB33_18
.LBB33_22:                              ;   in Loop: Header=BB33_14 Depth=2
	v_mov_b32_e32 v4, 0
	v_mov_b32_e32 v5, 0
	s_and_saveexec_b64 s[40:41], s[38:39]
	s_cbranch_execz .LBB33_13
.LBB33_23:                              ;   in Loop: Header=BB33_14 Depth=2
	v_ashrrev_i32_e32 v4, 31, v3
	v_lshlrev_b64 v[3:4], 3, v[3:4]
	v_mov_b32_e32 v5, s21
	v_add_co_u32_e32 v3, vcc, s20, v3
	v_addc_co_u32_e32 v4, vcc, v5, v4, vcc
	global_load_dwordx2 v[4:5], v[3:4], off
	s_branch .LBB33_13
.LBB33_24:                              ;   in Loop: Header=BB33_10 Depth=1
	s_or_b64 exec, exec, s[34:35]
	ds_read_b32 v3, v2 offset:9216
	s_waitcnt lgkmcnt(0)
	s_sub_i32 s34, s50, s13
	s_cmp_le_i32 s34, s31
	s_cselect_b64 s[36:37], -1, 0
	s_mov_b32 s40, 0
	v_cmp_ge_i32_e32 vcc, s30, v3
	s_and_b64 s[36:37], s[36:37], vcc
	s_andn2_b64 vcc, exec, s[36:37]
	s_cbranch_vccnz .LBB33_36
; %bb.25:                               ;   in Loop: Header=BB33_10 Depth=1
	s_mov_b32 s38, 0
	s_mov_b32 s39, 0
.LBB33_26:                              ;   Parent Loop BB33_10 Depth=1
                                        ; =>  This Inner Loop Header: Depth=2
	s_ashr_i32 s35, s34, 31
	s_lshl_b64 s[36:37], s[34:35], 2
	s_add_u32 s36, s18, s36
	s_addc_u32 s37, s19, s37
	s_load_dword s35, s[36:37], 0x0
	s_lshl_b32 s36, s39, 2
	v_mov_b32_e32 v3, s36
	ds_read_b32 v3, v3 offset:9216
	s_mov_b64 s[36:37], -1
	s_waitcnt lgkmcnt(0)
	s_sub_i32 s43, s35, s13
                                        ; implicit-def: $sgpr40
                                        ; implicit-def: $sgpr42
                                        ; implicit-def: $sgpr41
	v_cmp_ge_i32_e32 vcc, s43, v3
	v_readfirstlane_b32 s35, v3
	s_cbranch_vccz .LBB33_32
; %bb.27:                               ;   in Loop: Header=BB33_26 Depth=2
	s_cmp_le_i32 s43, s35
                                        ; implicit-def: $sgpr40
                                        ; implicit-def: $sgpr42
                                        ; implicit-def: $sgpr41
	s_cbranch_scc0 .LBB33_29
; %bb.28:                               ;   in Loop: Header=BB33_26 Depth=2
	s_add_i32 s36, s39, s46
	s_mul_i32 s36, s36, s47
	s_lshl_b32 s37, s38, 2
	v_mov_b32_e32 v4, s36
	s_mul_i32 s36, s34, s47
	v_mov_b32_e32 v3, s37
	v_mov_b32_e32 v5, s36
	ds_write2st64_b32 v3, v5, v4 offset0:34 offset1:35
	s_add_i32 s41, s39, 1
	s_add_i32 s42, s34, 1
	s_add_i32 s40, s38, 1
	s_mov_b64 s[36:37], 0
.LBB33_29:                              ;   in Loop: Header=BB33_26 Depth=2
	s_andn2_b64 vcc, exec, s[36:37]
	s_cbranch_vccnz .LBB33_31
; %bb.30:                               ;   in Loop: Header=BB33_26 Depth=2
	s_add_i32 s41, s39, 1
	s_mov_b32 s40, s38
	s_mov_b32 s42, s34
.LBB33_31:                              ;   in Loop: Header=BB33_26 Depth=2
	s_mov_b64 s[36:37], 0
.LBB33_32:                              ;   in Loop: Header=BB33_26 Depth=2
	s_andn2_b64 vcc, exec, s[36:37]
	s_cbranch_vccnz .LBB33_34
; %bb.33:                               ;   in Loop: Header=BB33_26 Depth=2
	s_add_i32 s42, s34, 1
	s_mov_b32 s41, s39
	s_mov_b32 s40, s38
.LBB33_34:                              ;   in Loop: Header=BB33_26 Depth=2
	s_cmp_le_i32 s42, s31
	s_cselect_b64 s[36:37], -1, 0
	s_cmp_le_i32 s35, s30
	s_cselect_b64 s[34:35], -1, 0
	s_and_b64 s[34:35], s[36:37], s[34:35]
	s_and_b64 vcc, exec, s[34:35]
	s_cbranch_vccz .LBB33_36
; %bb.35:                               ;   in Loop: Header=BB33_26 Depth=2
	s_mov_b32 s38, s40
	s_mov_b32 s34, s42
	;; [unrolled: 1-line block ×3, first 2 shown]
	s_branch .LBB33_26
.LBB33_36:                              ;   in Loop: Header=BB33_10 Depth=1
	s_add_u32 s28, s10, s28
	s_addc_u32 s29, s11, s29
	s_waitcnt lgkmcnt(0)
.LBB33_37:                              ;   Parent Loop BB33_10 Depth=1
                                        ; =>  This Inner Loop Header: Depth=2
	global_load_dword v3, v2, s[28:29] glc
	s_waitcnt vmcnt(0)
	v_cmp_eq_u32_e32 vcc, 0, v3
	s_cbranch_vccnz .LBB33_37
; %bb.38:                               ;   in Loop: Header=BB33_10 Depth=1
	buffer_wbinvl1_vol
	s_and_saveexec_b64 s[28:29], s[0:1]
	s_cbranch_execz .LBB33_51
; %bb.39:                               ;   in Loop: Header=BB33_10 Depth=1
	s_mul_i32 s41, s31, s44
	v_add_u32_e32 v3, s41, v1
	v_mul_lo_u32 v6, v3, s44
	s_mov_b64 s[30:31], 0
	v_mov_b32_e32 v7, v17
	v_mov_b32_e32 v8, v0
	s_branch .LBB33_41
.LBB33_40:                              ;   in Loop: Header=BB33_41 Depth=2
	s_or_b64 exec, exec, s[36:37]
	v_add_u32_e32 v8, 4, v8
	v_cmp_le_i32_e32 vcc, s44, v8
	s_waitcnt vmcnt(0)
	ds_write_b64 v7, v[4:5]
	s_or_b64 s[30:31], vcc, s[30:31]
	v_add_u32_e32 v7, 32, v7
	s_andn2_b64 exec, exec, s[30:31]
	s_cbranch_execz .LBB33_51
.LBB33_41:                              ;   Parent Loop BB33_10 Depth=1
                                        ; =>  This Inner Loop Header: Depth=2
	s_and_b64 vcc, exec, s[22:23]
	s_cbranch_vccz .LBB33_48
; %bb.42:                               ;   in Loop: Header=BB33_41 Depth=2
	s_mov_b64 s[36:37], 0
	s_mov_b64 s[34:35], 0
                                        ; implicit-def: $vgpr3
	s_and_saveexec_b64 s[38:39], s[2:3]
	s_xor_b64 s[38:39], exec, s[38:39]
; %bb.43:                               ;   in Loop: Header=BB33_41 Depth=2
	v_add_u32_e32 v3, s41, v8
	s_mov_b64 s[34:35], exec
	v_mad_u64_u32 v[3:4], s[42:43], v3, s44, v[1:2]
; %bb.44:                               ;   in Loop: Header=BB33_41 Depth=2
	s_or_b64 exec, exec, s[38:39]
	s_and_b64 vcc, exec, s[36:37]
	s_cbranch_vccz .LBB33_49
.LBB33_45:                              ;   in Loop: Header=BB33_41 Depth=2
                                        ; implicit-def: $vgpr3
	s_and_saveexec_b64 s[36:37], s[2:3]
; %bb.46:                               ;   in Loop: Header=BB33_41 Depth=2
	v_add_u32_e32 v3, v6, v8
	s_or_b64 s[34:35], s[34:35], exec
; %bb.47:                               ;   in Loop: Header=BB33_41 Depth=2
	s_or_b64 exec, exec, s[36:37]
	v_mov_b32_e32 v4, 0
	v_mov_b32_e32 v5, 0
	s_and_saveexec_b64 s[36:37], s[34:35]
	s_cbranch_execz .LBB33_40
	s_branch .LBB33_50
.LBB33_48:                              ;   in Loop: Header=BB33_41 Depth=2
	s_mov_b64 s[34:35], 0
                                        ; implicit-def: $vgpr3
	s_cbranch_execnz .LBB33_45
.LBB33_49:                              ;   in Loop: Header=BB33_41 Depth=2
	v_mov_b32_e32 v4, 0
	v_mov_b32_e32 v5, 0
	s_and_saveexec_b64 s[36:37], s[34:35]
	s_cbranch_execz .LBB33_40
.LBB33_50:                              ;   in Loop: Header=BB33_41 Depth=2
	v_ashrrev_i32_e32 v4, 31, v3
	v_lshlrev_b64 v[3:4], 3, v[3:4]
	v_mov_b32_e32 v5, s21
	v_add_co_u32_e32 v3, vcc, s20, v3
	v_addc_co_u32_e32 v4, vcc, v5, v4, vcc
	global_load_dwordx2 v[4:5], v[3:4], off
	s_branch .LBB33_40
.LBB33_51:                              ;   in Loop: Header=BB33_10 Depth=1
	s_or_b64 exec, exec, s[28:29]
	s_cmp_lt_i32 s40, 2
	s_cbranch_scc1 .LBB33_67
; %bb.52:                               ;   in Loop: Header=BB33_10 Depth=1
	s_add_i32 s36, s40, -2
	s_mov_b32 s37, 0
	s_branch .LBB33_54
.LBB33_53:                              ;   in Loop: Header=BB33_54 Depth=2
	s_or_b64 exec, exec, s[28:29]
	s_add_i32 s28, s37, 1
	s_cmp_eq_u32 s37, s36
	s_mov_b32 s37, s28
	s_cbranch_scc1 .LBB33_67
.LBB33_54:                              ;   Parent Loop BB33_10 Depth=1
                                        ; =>  This Loop Header: Depth=2
                                        ;       Child Loop BB33_56 Depth 3
	s_and_saveexec_b64 s[28:29], s[0:1]
	s_cbranch_execz .LBB33_53
; %bb.55:                               ;   in Loop: Header=BB33_54 Depth=2
	s_lshl_b32 s30, s37, 2
	v_mov_b32_e32 v3, s30
	ds_read2st64_b32 v[3:4], v3 offset0:34 offset1:35
	s_mov_b64 s[30:31], 0
	v_mov_b32_e32 v29, v0
	s_waitcnt lgkmcnt(0)
	v_add_u32_e32 v25, v4, v16
	v_add_u32_e32 v26, v1, v4
	;; [unrolled: 1-line block ×4, first 2 shown]
.LBB33_56:                              ;   Parent Loop BB33_10 Depth=1
                                        ;     Parent Loop BB33_54 Depth=2
                                        ; =>    This Inner Loop Header: Depth=3
	v_mov_b32_e32 v7, 0
	v_mov_b32_e32 v8, 0
	s_mov_b32 s38, 0
	v_mov_b32_e32 v3, v27
	v_mov_b32_e32 v5, v26
	s_and_b64 vcc, exec, s[22:23]
	s_cbranch_vccnz .LBB33_59
	s_branch .LBB33_58
.LBB33_57:                              ;   in Loop: Header=BB33_56 Depth=3
	v_mov_b32_e32 v7, v9
	v_mov_b32_e32 v8, v10
	s_and_b64 vcc, exec, s[22:23]
	s_cbranch_vccnz .LBB33_59
.LBB33_58:                              ;   in Loop: Header=BB33_56 Depth=3
                                        ; implicit-def: $vgpr9_vgpr10
	s_cbranch_execz .LBB33_65
	s_branch .LBB33_62
.LBB33_59:                              ;   in Loop: Header=BB33_56 Depth=3
	v_ashrrev_i32_e32 v4, 31, v3
	v_lshlrev_b64 v[9:10], 3, v[3:4]
	v_mov_b32_e32 v4, s21
	v_add_co_u32_e32 v9, vcc, s20, v9
	v_addc_co_u32_e32 v10, vcc, v4, v10, vcc
	global_load_dwordx2 v[9:10], v[9:10], off
	v_mov_b32_e32 v11, 0
	v_mov_b32_e32 v12, 0
	s_and_saveexec_b64 s[34:35], s[2:3]
	s_cbranch_execz .LBB33_61
; %bb.60:                               ;   in Loop: Header=BB33_56 Depth=3
	v_ashrrev_i32_e32 v6, 31, v5
	v_lshlrev_b64 v[11:12], 3, v[5:6]
	v_mov_b32_e32 v4, s21
	v_add_co_u32_e32 v11, vcc, s20, v11
	v_addc_co_u32_e32 v12, vcc, v4, v12, vcc
	global_load_dwordx2 v[11:12], v[11:12], off
.LBB33_61:                              ;   in Loop: Header=BB33_56 Depth=3
	s_or_b64 exec, exec, s[34:35]
	s_waitcnt vmcnt(0)
	v_fma_f64 v[9:10], v[9:10], v[11:12], v[7:8]
	s_branch .LBB33_65
.LBB33_62:                              ;   in Loop: Header=BB33_56 Depth=3
	v_add_u32_e32 v9, s38, v28
	v_ashrrev_i32_e32 v10, 31, v9
	v_lshlrev_b64 v[9:10], 3, v[9:10]
	v_mov_b32_e32 v4, s21
	v_add_co_u32_e32 v9, vcc, s20, v9
	v_addc_co_u32_e32 v10, vcc, v4, v10, vcc
	global_load_dwordx2 v[9:10], v[9:10], off
	v_mov_b32_e32 v11, 0
	v_mov_b32_e32 v12, 0
	s_and_saveexec_b64 s[34:35], s[2:3]
	s_cbranch_execz .LBB33_64
; %bb.63:                               ;   in Loop: Header=BB33_56 Depth=3
	v_add_u32_e32 v11, s38, v25
	v_ashrrev_i32_e32 v12, 31, v11
	v_lshlrev_b64 v[11:12], 3, v[11:12]
	v_mov_b32_e32 v4, s21
	v_add_co_u32_e32 v11, vcc, s20, v11
	v_addc_co_u32_e32 v12, vcc, v4, v12, vcc
	global_load_dwordx2 v[11:12], v[11:12], off
.LBB33_64:                              ;   in Loop: Header=BB33_56 Depth=3
	s_or_b64 exec, exec, s[34:35]
	s_waitcnt vmcnt(0)
	v_fma_f64 v[9:10], v[9:10], v[11:12], v[7:8]
.LBB33_65:                              ;   in Loop: Header=BB33_56 Depth=3
	s_add_i32 s38, s38, 1
	v_add_u32_e32 v5, s44, v5
	s_cmp_eq_u32 s44, s38
	v_add_u32_e32 v3, s44, v3
	s_cbranch_scc0 .LBB33_57
; %bb.66:                               ;   in Loop: Header=BB33_56 Depth=3
	v_lshl_add_u32 v5, v29, 3, v15
	ds_read_b64 v[3:4], v5
	v_add_u32_e32 v29, 4, v29
	v_cmp_le_i32_e32 vcc, s44, v29
	v_add_u32_e32 v27, 4, v27
	s_or_b64 s[30:31], vcc, s[30:31]
	s_waitcnt lgkmcnt(0)
	v_add_f64 v[3:4], v[9:10], v[3:4]
	v_add_u32_e32 v28, s48, v28
	ds_write_b64 v5, v[3:4]
	s_andn2_b64 exec, exec, s[30:31]
	s_cbranch_execnz .LBB33_56
	s_branch .LBB33_53
.LBB33_67:                              ;   in Loop: Header=BB33_10 Depth=1
	s_andn2_b64 vcc, exec, s[24:25]
	s_waitcnt lgkmcnt(0)
	s_cbranch_vccnz .LBB33_79
; %bb.68:                               ;   in Loop: Header=BB33_10 Depth=1
	s_mov_b32 s34, 0
	v_mov_b32_e32 v9, v22
	s_mov_b32 s35, 0
	s_branch .LBB33_70
.LBB33_69:                              ;   in Loop: Header=BB33_70 Depth=2
	s_or_b64 exec, exec, s[28:29]
	s_add_i32 s35, s35, 1
	s_addk_i32 s34, 0x88
	s_cmp_eq_u32 s35, s44
	v_add_u32_e32 v9, 8, v9
	s_waitcnt lgkmcnt(0)
	s_cbranch_scc1 .LBB33_79
.LBB33_70:                              ;   Parent Loop BB33_10 Depth=1
                                        ; =>  This Loop Header: Depth=2
                                        ;       Child Loop BB33_75 Depth 3
                                        ;       Child Loop BB33_78 Depth 3
	s_lshl_b32 s28, s35, 3
	s_mul_i32 s29, s35, 0x88
	s_add_i32 s29, s29, s28
	v_mov_b32_e32 v3, s29
	ds_read_b64 v[5:6], v3
	v_add_u32_e32 v10, s28, v14
	ds_read_b64 v[3:4], v10
	s_waitcnt lgkmcnt(1)
	v_cmp_neq_f64_e32 vcc, 0, v[5:6]
	v_cndmask_b32_e32 v6, v24, v6, vcc
	s_nor_b64 s[30:31], vcc, s[4:5]
	v_cndmask_b32_e32 v5, 0, v5, vcc
	s_and_saveexec_b64 s[28:29], s[30:31]
	s_cbranch_execz .LBB33_74
; %bb.71:                               ;   in Loop: Header=BB33_70 Depth=2
	v_mbcnt_lo_u32_b32 v5, exec_lo, 0
	v_mbcnt_hi_u32_b32 v5, exec_hi, v5
	v_cmp_eq_u32_e32 vcc, 0, v5
	s_and_saveexec_b64 s[30:31], vcc
	s_cbranch_execz .LBB33_73
; %bb.72:                               ;   in Loop: Header=BB33_70 Depth=2
	v_mov_b32_e32 v5, s49
	global_atomic_smin v2, v5, s[14:15]
.LBB33_73:                              ;   in Loop: Header=BB33_70 Depth=2
	s_or_b64 exec, exec, s[30:31]
	v_mov_b32_e32 v5, 0
	v_mov_b32_e32 v6, 0x3ff00000
.LBB33_74:                              ;   in Loop: Header=BB33_70 Depth=2
	s_or_b64 exec, exec, s[28:29]
	v_lshl_add_u32 v7, s35, 3, v15
	ds_read_b64 v[7:8], v7
	s_cmp_eq_u32 s35, 0
	v_mov_b32_e32 v11, v14
	s_mov_b32 s28, s34
	s_mov_b32 s29, s35
	s_cbranch_scc1 .LBB33_76
.LBB33_75:                              ;   Parent Loop BB33_10 Depth=1
                                        ;     Parent Loop BB33_70 Depth=2
                                        ; =>    This Inner Loop Header: Depth=3
	v_mov_b32_e32 v12, s28
	ds_read_b64 v[25:26], v11
	ds_read_b64 v[27:28], v12
	s_add_i32 s29, s29, -1
	s_add_i32 s28, s28, 8
	s_cmp_eq_u32 s29, 0
	v_add_u32_e32 v11, 8, v11
	s_waitcnt lgkmcnt(0)
	v_fma_f64 v[7:8], v[27:28], v[25:26], v[7:8]
	s_cbranch_scc0 .LBB33_75
.LBB33_76:                              ;   in Loop: Header=BB33_70 Depth=2
	s_waitcnt lgkmcnt(0)
	v_add_f64 v[3:4], v[3:4], -v[7:8]
	v_div_scale_f64 v[7:8], s[28:29], v[5:6], v[5:6], v[3:4]
	v_rcp_f64_e32 v[11:12], v[7:8]
	v_fma_f64 v[25:26], -v[7:8], v[11:12], 1.0
	v_fma_f64 v[11:12], v[11:12], v[25:26], v[11:12]
	v_div_scale_f64 v[25:26], vcc, v[3:4], v[5:6], v[3:4]
	v_fma_f64 v[27:28], -v[7:8], v[11:12], 1.0
	v_fma_f64 v[11:12], v[11:12], v[27:28], v[11:12]
	v_mul_f64 v[27:28], v[25:26], v[11:12]
	v_fma_f64 v[7:8], -v[7:8], v[27:28], v[25:26]
	v_div_fmas_f64 v[7:8], v[7:8], v[11:12], v[27:28]
	v_div_fixup_f64 v[3:4], v[7:8], v[5:6], v[3:4]
	ds_write_b64 v10, v[3:4]
	s_waitcnt lgkmcnt(0)
	s_and_saveexec_b64 s[28:29], s[0:1]
	s_cbranch_execz .LBB33_69
; %bb.77:                               ;   in Loop: Header=BB33_70 Depth=2
	s_mov_b64 s[30:31], 0
	v_mov_b32_e32 v5, v9
	v_mov_b32_e32 v6, v21
	v_mov_b32_e32 v7, v0
.LBB33_78:                              ;   Parent Loop BB33_10 Depth=1
                                        ;     Parent Loop BB33_70 Depth=2
                                        ; =>    This Inner Loop Header: Depth=3
	ds_read_b64 v[10:11], v5
	ds_read_b64 v[25:26], v6
	v_add_u32_e32 v7, 4, v7
	v_cmp_le_i32_e32 vcc, s44, v7
	s_or_b64 s[30:31], vcc, s[30:31]
	v_add_u32_e32 v5, 0x220, v5
	s_waitcnt lgkmcnt(0)
	v_fma_f64 v[10:11], v[3:4], v[10:11], v[25:26]
	ds_write_b64 v6, v[10:11]
	v_add_u32_e32 v6, 32, v6
	s_andn2_b64 exec, exec, s[30:31]
	s_cbranch_execnz .LBB33_78
	s_branch .LBB33_69
.LBB33_79:                              ;   in Loop: Header=BB33_10 Depth=1
	s_and_saveexec_b64 s[28:29], s[0:1]
	s_cbranch_execz .LBB33_9
; %bb.80:                               ;   in Loop: Header=BB33_10 Depth=1
	s_mov_b64 s[30:31], 0
	v_mov_b32_e32 v7, v23
	v_mov_b32_e32 v8, v0
	s_branch .LBB33_84
.LBB33_81:                              ;   in Loop: Header=BB33_84 Depth=2
	v_add_u32_e32 v5, v20, v8
.LBB33_82:                              ;   in Loop: Header=BB33_84 Depth=2
	v_ashrrev_i32_e32 v6, 31, v5
	v_lshlrev_b64 v[5:6], 3, v[5:6]
	v_mov_b32_e32 v9, s21
	v_add_co_u32_e32 v5, vcc, s20, v5
	v_addc_co_u32_e32 v6, vcc, v9, v6, vcc
	s_waitcnt lgkmcnt(0)
	global_store_dwordx2 v[5:6], v[3:4], off
.LBB33_83:                              ;   in Loop: Header=BB33_84 Depth=2
	s_or_b64 exec, exec, s[34:35]
	v_add_u32_e32 v8, 4, v8
	v_cmp_le_i32_e32 vcc, s44, v8
	s_or_b64 s[30:31], vcc, s[30:31]
	v_add_u32_e32 v7, 32, v7
	s_andn2_b64 exec, exec, s[30:31]
	s_cbranch_execz .LBB33_9
.LBB33_84:                              ;   Parent Loop BB33_10 Depth=1
                                        ; =>  This Inner Loop Header: Depth=2
	s_and_saveexec_b64 s[34:35], s[2:3]
	s_cbranch_execz .LBB33_83
; %bb.85:                               ;   in Loop: Header=BB33_84 Depth=2
	ds_read_b64 v[3:4], v7
	s_and_b64 vcc, exec, s[22:23]
	s_cbranch_vccz .LBB33_87
; %bb.86:                               ;   in Loop: Header=BB33_84 Depth=2
	v_add_u32_e32 v5, s27, v8
	v_mad_u64_u32 v[5:6], s[36:37], v5, s44, v[1:2]
	s_cbranch_execnz .LBB33_82
	s_branch .LBB33_81
.LBB33_87:                              ;   in Loop: Header=BB33_84 Depth=2
                                        ; implicit-def: $vgpr5
	s_branch .LBB33_81
.LBB33_88:                              ;   in Loop: Header=BB33_10 Depth=1
                                        ; implicit-def: $sgpr26
                                        ; implicit-def: $vgpr20
	s_cbranch_execz .LBB33_10
.LBB33_89:
	v_cmp_gt_i32_e64 s[0:1], s44, v0
	s_and_saveexec_b64 s[4:5], s[0:1]
	s_cbranch_execz .LBB33_102
; %bb.90:
	s_mul_i32 s26, s33, s44
	v_add_u32_e32 v2, s26, v1
	v_mul_lo_u32 v5, v2, s44
	s_cmp_lg_u32 s45, 0
	v_mul_u32_u24_e32 v2, 0x88, v1
	s_movk_i32 s16, 0x1100
	s_cselect_b64 s[8:9], -1, 0
	v_cmp_gt_i32_e64 s[2:3], s44, v1
	v_add3_u32 v6, v2, v13, s16
	s_mov_b64 s[16:17], 0
	v_mov_b32_e32 v7, v0
	s_branch .LBB33_92
.LBB33_91:                              ;   in Loop: Header=BB33_92 Depth=1
	s_or_b64 exec, exec, s[22:23]
	v_add_u32_e32 v7, 4, v7
	v_cmp_le_i32_e32 vcc, s44, v7
	s_waitcnt vmcnt(0)
	ds_write_b64 v6, v[3:4]
	s_or_b64 s[16:17], vcc, s[16:17]
	v_add_u32_e32 v6, 32, v6
	s_andn2_b64 exec, exec, s[16:17]
	s_cbranch_execz .LBB33_102
.LBB33_92:                              ; =>This Inner Loop Header: Depth=1
	s_and_b64 vcc, exec, s[8:9]
	s_cbranch_vccz .LBB33_99
; %bb.93:                               ;   in Loop: Header=BB33_92 Depth=1
	s_mov_b64 s[22:23], 0
	s_mov_b64 s[18:19], 0
                                        ; implicit-def: $vgpr2
	s_and_saveexec_b64 s[24:25], s[2:3]
	s_xor_b64 s[24:25], exec, s[24:25]
; %bb.94:                               ;   in Loop: Header=BB33_92 Depth=1
	v_add_u32_e32 v2, s26, v7
	s_mov_b64 s[18:19], exec
	v_mad_u64_u32 v[2:3], s[28:29], v2, s44, v[1:2]
; %bb.95:                               ;   in Loop: Header=BB33_92 Depth=1
	s_or_b64 exec, exec, s[24:25]
	s_and_b64 vcc, exec, s[22:23]
	s_cbranch_vccz .LBB33_100
.LBB33_96:                              ;   in Loop: Header=BB33_92 Depth=1
                                        ; implicit-def: $vgpr2
	s_and_saveexec_b64 s[22:23], s[2:3]
; %bb.97:                               ;   in Loop: Header=BB33_92 Depth=1
	v_add_u32_e32 v2, v5, v7
	s_or_b64 s[18:19], s[18:19], exec
; %bb.98:                               ;   in Loop: Header=BB33_92 Depth=1
	s_or_b64 exec, exec, s[22:23]
	v_mov_b32_e32 v3, 0
	v_mov_b32_e32 v4, 0
	s_and_saveexec_b64 s[22:23], s[18:19]
	s_cbranch_execz .LBB33_91
	s_branch .LBB33_101
.LBB33_99:                              ;   in Loop: Header=BB33_92 Depth=1
	s_mov_b64 s[18:19], 0
                                        ; implicit-def: $vgpr2
	s_cbranch_execnz .LBB33_96
.LBB33_100:                             ;   in Loop: Header=BB33_92 Depth=1
	v_mov_b32_e32 v3, 0
	v_mov_b32_e32 v4, 0
	s_and_saveexec_b64 s[22:23], s[18:19]
	s_cbranch_execz .LBB33_91
.LBB33_101:                             ;   in Loop: Header=BB33_92 Depth=1
	v_ashrrev_i32_e32 v3, 31, v2
	v_lshlrev_b64 v[2:3], 3, v[2:3]
	v_mov_b32_e32 v4, s21
	v_add_co_u32_e32 v2, vcc, s20, v2
	v_addc_co_u32_e32 v3, vcc, v4, v3, vcc
	global_load_dwordx2 v[3:4], v[2:3], off
	s_branch .LBB33_91
.LBB33_102:
	s_or_b64 exec, exec, s[4:5]
	s_cmp_lt_i32 s44, 1
	s_waitcnt lgkmcnt(0)
	s_cbranch_scc1 .LBB33_115
; %bb.103:
	v_or_b32_e32 v4, v0, v1
	s_movk_i32 s4, 0x88
	v_mov_b32_e32 v2, 0x1100
	v_mul_u32_u24_e32 v3, 0x88, v1
	v_cmp_ne_u32_e64 s[2:3], 0, v4
	s_movk_i32 s5, 0x1980
	v_mov_b32_e32 v4, 0x1980
	v_mad_u32_u24 v6, v1, s4, v2
	v_mad_u32_u24 v7, v1, s4, v4
	v_lshlrev_b32_e32 v4, 3, v1
	v_add3_u32 v10, v3, v13, s5
	v_mad_u32_u24 v11, v0, s4, v2
	s_mov_b32 s4, 0
	s_mov_b32 s18, 0
	s_add_i32 s19, s12, s13
	v_add_u32_e32 v8, v6, v4
	v_add_u32_e32 v9, v7, v4
	s_brev_b32 s5, 8
	v_mov_b32_e32 v12, 0x260
	v_mov_b32_e32 v14, 0x3ff00000
	;; [unrolled: 1-line block ×5, first 2 shown]
	s_branch .LBB33_105
.LBB33_104:                             ;   in Loop: Header=BB33_105 Depth=1
	s_or_b64 exec, exec, s[8:9]
	s_add_i32 s18, s18, 1
	s_cmp_eq_u32 s18, s44
	v_add_u32_e32 v11, 8, v11
	s_waitcnt lgkmcnt(0)
	s_cbranch_scc1 .LBB33_115
.LBB33_105:                             ; =>This Loop Header: Depth=1
                                        ;     Child Loop BB33_114 Depth 2
	v_cmp_eq_u32_e32 vcc, s18, v1
	s_and_saveexec_b64 s[8:9], vcc
	s_cbranch_execz .LBB33_107
; %bb.106:                              ;   in Loop: Header=BB33_105 Depth=1
	ds_read_b64 v[2:3], v8
	ds_read_b64 v[4:5], v9
	s_waitcnt lgkmcnt(0)
	v_add_f64 v[2:3], v[2:3], -v[4:5]
	v_cmp_gt_f64_e32 vcc, 0, v[2:3]
	v_xor_b32_e32 v4, 0x80000000, v3
	v_cndmask_b32_e32 v3, v3, v4, vcc
	v_cmp_gt_f64_e32 vcc, s[4:5], v[2:3]
	v_cndmask_b32_e32 v4, 0, v16, vcc
	v_ldexp_f64 v[2:3], v[2:3], v4
	v_rsq_f64_e32 v[4:5], v[2:3]
	v_mul_f64 v[18:19], v[2:3], v[4:5]
	v_mul_f64 v[4:5], v[4:5], 0.5
	v_fma_f64 v[20:21], -v[4:5], v[18:19], 0.5
	v_fma_f64 v[18:19], v[18:19], v[20:21], v[18:19]
	v_fma_f64 v[4:5], v[4:5], v[20:21], v[4:5]
	v_fma_f64 v[20:21], -v[18:19], v[18:19], v[2:3]
	v_fma_f64 v[18:19], v[20:21], v[4:5], v[18:19]
	v_fma_f64 v[20:21], -v[18:19], v[18:19], v[2:3]
	v_fma_f64 v[4:5], v[20:21], v[4:5], v[18:19]
	v_cndmask_b32_e32 v18, 0, v17, vcc
	v_cmp_class_f64_e32 vcc, v[2:3], v12
	v_ldexp_f64 v[4:5], v[4:5], v18
	v_cndmask_b32_e32 v3, v5, v3, vcc
	v_cndmask_b32_e32 v2, v4, v2, vcc
	ds_write_b64 v8, v[2:3]
.LBB33_107:                             ;   in Loop: Header=BB33_105 Depth=1
	s_or_b64 exec, exec, s[8:9]
	s_lshl_b32 s8, s18, 3
	s_mul_i32 s9, s18, 0x88
	s_add_i32 s9, s9, s8
	v_mov_b32_e32 v2, s9
	s_waitcnt lgkmcnt(0)
	ds_read_b64 v[4:5], v2 offset:4352
	v_add_u32_e32 v18, s8, v6
	ds_read_b64 v[2:3], v18
	s_waitcnt lgkmcnt(1)
	v_cmp_neq_f64_e32 vcc, 0, v[4:5]
	v_cndmask_b32_e32 v5, v14, v5, vcc
	s_nor_b64 s[16:17], vcc, s[2:3]
	v_cndmask_b32_e32 v4, 0, v4, vcc
	s_and_saveexec_b64 s[8:9], s[16:17]
	s_cbranch_execz .LBB33_111
; %bb.108:                              ;   in Loop: Header=BB33_105 Depth=1
	v_mbcnt_lo_u32_b32 v4, exec_lo, 0
	v_mbcnt_hi_u32_b32 v4, exec_hi, v4
	v_cmp_eq_u32_e32 vcc, 0, v4
	s_and_saveexec_b64 s[16:17], vcc
	s_cbranch_execz .LBB33_110
; %bb.109:                              ;   in Loop: Header=BB33_105 Depth=1
	v_mov_b32_e32 v4, s19
	global_atomic_smin v15, v4, s[14:15]
.LBB33_110:                             ;   in Loop: Header=BB33_105 Depth=1
	s_or_b64 exec, exec, s[16:17]
	v_mov_b32_e32 v4, 0
	v_mov_b32_e32 v5, 0x3ff00000
.LBB33_111:                             ;   in Loop: Header=BB33_105 Depth=1
	s_or_b64 exec, exec, s[8:9]
	v_cmp_lt_u32_e32 vcc, s18, v1
	s_and_saveexec_b64 s[8:9], vcc
	s_cbranch_execz .LBB33_104
; %bb.112:                              ;   in Loop: Header=BB33_105 Depth=1
	v_lshl_add_u32 v19, s18, 3, v7
	ds_read_b64 v[19:20], v19
	s_waitcnt lgkmcnt(0)
	v_add_f64 v[2:3], v[2:3], -v[19:20]
	v_div_scale_f64 v[19:20], s[16:17], v[4:5], v[4:5], v[2:3]
	v_rcp_f64_e32 v[21:22], v[19:20]
	v_fma_f64 v[23:24], -v[19:20], v[21:22], 1.0
	v_fma_f64 v[21:22], v[21:22], v[23:24], v[21:22]
	v_div_scale_f64 v[23:24], vcc, v[2:3], v[4:5], v[2:3]
	v_fma_f64 v[25:26], -v[19:20], v[21:22], 1.0
	v_fma_f64 v[21:22], v[21:22], v[25:26], v[21:22]
	v_mul_f64 v[25:26], v[23:24], v[21:22]
	v_fma_f64 v[19:20], -v[19:20], v[25:26], v[23:24]
	v_div_fmas_f64 v[19:20], v[19:20], v[21:22], v[25:26]
	v_div_fixup_f64 v[2:3], v[19:20], v[4:5], v[2:3]
	ds_write_b64 v18, v[2:3]
	s_waitcnt lgkmcnt(0)
	s_and_b64 exec, exec, s[0:1]
	s_cbranch_execz .LBB33_104
; %bb.113:                              ;   in Loop: Header=BB33_105 Depth=1
	s_mov_b64 s[16:17], 0
	v_mov_b32_e32 v4, v11
	v_mov_b32_e32 v5, v10
	;; [unrolled: 1-line block ×3, first 2 shown]
.LBB33_114:                             ;   Parent Loop BB33_105 Depth=1
                                        ; =>  This Inner Loop Header: Depth=2
	ds_read_b64 v[19:20], v4
	ds_read_b64 v[21:22], v5
	v_add_u32_e32 v18, 4, v18
	v_cmp_le_i32_e32 vcc, s44, v18
	s_or_b64 s[16:17], vcc, s[16:17]
	v_add_u32_e32 v4, 0x220, v4
	s_waitcnt lgkmcnt(0)
	v_fma_f64 v[19:20], v[2:3], v[19:20], v[21:22]
	ds_write_b64 v5, v[19:20]
	v_add_u32_e32 v5, 32, v5
	s_andn2_b64 exec, exec, s[16:17]
	s_cbranch_execnz .LBB33_114
	s_branch .LBB33_104
.LBB33_115:
	s_and_saveexec_b64 s[2:3], s[0:1]
	s_cbranch_execz .LBB33_124
; %bb.116:
	s_mul_i32 s33, s33, s44
	v_add_u32_e32 v2, s33, v1
	v_mul_lo_u32 v6, v2, s44
	s_cmp_lg_u32 s45, 0
	v_mul_u32_u24_e32 v2, 0x88, v1
	s_movk_i32 s8, 0x1100
	v_cmp_gt_i32_e64 s[0:1], s44, v1
	s_cselect_b64 s[4:5], -1, 0
	v_add3_u32 v7, v2, v13, s8
	s_mov_b64 s[8:9], 0
	v_mov_b32_e32 v8, v0
	s_branch .LBB33_120
.LBB33_117:                             ;   in Loop: Header=BB33_120 Depth=1
	v_add_u32_e32 v4, v6, v8
.LBB33_118:                             ;   in Loop: Header=BB33_120 Depth=1
	v_ashrrev_i32_e32 v5, 31, v4
	v_lshlrev_b64 v[4:5], 3, v[4:5]
	v_mov_b32_e32 v9, s21
	v_add_co_u32_e32 v4, vcc, s20, v4
	v_addc_co_u32_e32 v5, vcc, v9, v5, vcc
	s_waitcnt lgkmcnt(0)
	global_store_dwordx2 v[4:5], v[2:3], off
.LBB33_119:                             ;   in Loop: Header=BB33_120 Depth=1
	s_or_b64 exec, exec, s[16:17]
	v_add_u32_e32 v8, 4, v8
	v_cmp_le_i32_e32 vcc, s44, v8
	s_or_b64 s[8:9], vcc, s[8:9]
	v_add_u32_e32 v7, 32, v7
	s_andn2_b64 exec, exec, s[8:9]
	s_cbranch_execz .LBB33_124
.LBB33_120:                             ; =>This Inner Loop Header: Depth=1
	s_and_saveexec_b64 s[16:17], s[0:1]
	s_cbranch_execz .LBB33_119
; %bb.121:                              ;   in Loop: Header=BB33_120 Depth=1
	ds_read_b64 v[2:3], v7
	s_and_b64 vcc, exec, s[4:5]
	s_cbranch_vccz .LBB33_123
; %bb.122:                              ;   in Loop: Header=BB33_120 Depth=1
	v_add_u32_e32 v4, s33, v8
	s_waitcnt lgkmcnt(0)
	v_mad_u64_u32 v[4:5], s[18:19], v4, s44, v[1:2]
	s_cbranch_execnz .LBB33_118
	s_branch .LBB33_117
.LBB33_123:                             ;   in Loop: Header=BB33_120 Depth=1
                                        ; implicit-def: $vgpr4
	s_branch .LBB33_117
.LBB33_124:
	s_or_b64 exec, exec, s[2:3]
	v_or_b32_e32 v2, v0, v1
	v_cmp_eq_u32_e32 vcc, 0, v2
	s_and_saveexec_b64 s[0:1], vcc
	s_cbranch_execz .LBB33_126
; %bb.125:
	s_add_u32 s2, s10, s6
	s_addc_u32 s3, s11, s7
	v_mov_b32_e32 v2, 0
	v_mov_b32_e32 v3, 1
	s_waitcnt vmcnt(0)
	global_store_dword v2, v3, s[2:3]
.LBB33_126:
	s_or_b64 exec, exec, s[0:1]
.LBB33_127:
	s_endpgm
.LBB33_128:
	s_cbranch_execz .LBB33_127
; %bb.129:
	v_or_b32_e32 v0, v0, v1
	v_cmp_eq_u32_e32 vcc, 0, v0
	s_and_saveexec_b64 s[0:1], vcc
	s_cbranch_execz .LBB33_127
; %bb.130:
	v_mbcnt_lo_u32_b32 v0, exec_lo, 0
	v_mbcnt_hi_u32_b32 v0, exec_hi, v0
	v_cmp_eq_u32_e32 vcc, 0, v0
	s_and_saveexec_b64 s[0:1], vcc
	s_cbranch_execz .LBB33_132
; %bb.131:
	s_add_i32 s2, s12, s13
	v_mov_b32_e32 v0, 0
	v_mov_b32_e32 v1, s2
	global_atomic_smin v0, v1, s[14:15]
.LBB33_132:
	s_or_b64 exec, exec, s[0:1]
	s_add_u32 s0, s10, s6
	s_addc_u32 s1, s11, s7
	v_mov_b32_e32 v0, 0
	v_mov_b32_e32 v1, 1
	s_waitcnt vmcnt(0)
	global_store_dword v0, v1, s[0:1]
	s_endpgm
	.section	.rodata,"a",@progbits
	.p2align	6, 0x0
	.amdhsa_kernel _ZN9rocsparseL18bsric0_9_16_kernelILi64ELi64ELi16EdEEv20rocsparse_direction_iiPKiS3_PT2_S3_PiS3_S6_21rocsparse_index_base_
		.amdhsa_group_segment_fixed_size 9472
		.amdhsa_private_segment_fixed_size 0
		.amdhsa_kernarg_size 76
		.amdhsa_user_sgpr_count 6
		.amdhsa_user_sgpr_private_segment_buffer 1
		.amdhsa_user_sgpr_dispatch_ptr 0
		.amdhsa_user_sgpr_queue_ptr 0
		.amdhsa_user_sgpr_kernarg_segment_ptr 1
		.amdhsa_user_sgpr_dispatch_id 0
		.amdhsa_user_sgpr_flat_scratch_init 0
		.amdhsa_user_sgpr_private_segment_size 0
		.amdhsa_uses_dynamic_stack 0
		.amdhsa_system_sgpr_private_segment_wavefront_offset 0
		.amdhsa_system_sgpr_workgroup_id_x 1
		.amdhsa_system_sgpr_workgroup_id_y 0
		.amdhsa_system_sgpr_workgroup_id_z 0
		.amdhsa_system_sgpr_workgroup_info 0
		.amdhsa_system_vgpr_workitem_id 1
		.amdhsa_next_free_vgpr 85
		.amdhsa_next_free_sgpr 98
		.amdhsa_reserve_vcc 1
		.amdhsa_reserve_flat_scratch 0
		.amdhsa_float_round_mode_32 0
		.amdhsa_float_round_mode_16_64 0
		.amdhsa_float_denorm_mode_32 3
		.amdhsa_float_denorm_mode_16_64 3
		.amdhsa_dx10_clamp 1
		.amdhsa_ieee_mode 1
		.amdhsa_fp16_overflow 0
		.amdhsa_exception_fp_ieee_invalid_op 0
		.amdhsa_exception_fp_denorm_src 0
		.amdhsa_exception_fp_ieee_div_zero 0
		.amdhsa_exception_fp_ieee_overflow 0
		.amdhsa_exception_fp_ieee_underflow 0
		.amdhsa_exception_fp_ieee_inexact 0
		.amdhsa_exception_int_div_zero 0
	.end_amdhsa_kernel
	.section	.text._ZN9rocsparseL18bsric0_9_16_kernelILi64ELi64ELi16EdEEv20rocsparse_direction_iiPKiS3_PT2_S3_PiS3_S6_21rocsparse_index_base_,"axG",@progbits,_ZN9rocsparseL18bsric0_9_16_kernelILi64ELi64ELi16EdEEv20rocsparse_direction_iiPKiS3_PT2_S3_PiS3_S6_21rocsparse_index_base_,comdat
.Lfunc_end33:
	.size	_ZN9rocsparseL18bsric0_9_16_kernelILi64ELi64ELi16EdEEv20rocsparse_direction_iiPKiS3_PT2_S3_PiS3_S6_21rocsparse_index_base_, .Lfunc_end33-_ZN9rocsparseL18bsric0_9_16_kernelILi64ELi64ELi16EdEEv20rocsparse_direction_iiPKiS3_PT2_S3_PiS3_S6_21rocsparse_index_base_
                                        ; -- End function
	.set _ZN9rocsparseL18bsric0_9_16_kernelILi64ELi64ELi16EdEEv20rocsparse_direction_iiPKiS3_PT2_S3_PiS3_S6_21rocsparse_index_base_.num_vgpr, 30
	.set _ZN9rocsparseL18bsric0_9_16_kernelILi64ELi64ELi16EdEEv20rocsparse_direction_iiPKiS3_PT2_S3_PiS3_S6_21rocsparse_index_base_.num_agpr, 0
	.set _ZN9rocsparseL18bsric0_9_16_kernelILi64ELi64ELi16EdEEv20rocsparse_direction_iiPKiS3_PT2_S3_PiS3_S6_21rocsparse_index_base_.numbered_sgpr, 54
	.set _ZN9rocsparseL18bsric0_9_16_kernelILi64ELi64ELi16EdEEv20rocsparse_direction_iiPKiS3_PT2_S3_PiS3_S6_21rocsparse_index_base_.num_named_barrier, 0
	.set _ZN9rocsparseL18bsric0_9_16_kernelILi64ELi64ELi16EdEEv20rocsparse_direction_iiPKiS3_PT2_S3_PiS3_S6_21rocsparse_index_base_.private_seg_size, 0
	.set _ZN9rocsparseL18bsric0_9_16_kernelILi64ELi64ELi16EdEEv20rocsparse_direction_iiPKiS3_PT2_S3_PiS3_S6_21rocsparse_index_base_.uses_vcc, 1
	.set _ZN9rocsparseL18bsric0_9_16_kernelILi64ELi64ELi16EdEEv20rocsparse_direction_iiPKiS3_PT2_S3_PiS3_S6_21rocsparse_index_base_.uses_flat_scratch, 0
	.set _ZN9rocsparseL18bsric0_9_16_kernelILi64ELi64ELi16EdEEv20rocsparse_direction_iiPKiS3_PT2_S3_PiS3_S6_21rocsparse_index_base_.has_dyn_sized_stack, 0
	.set _ZN9rocsparseL18bsric0_9_16_kernelILi64ELi64ELi16EdEEv20rocsparse_direction_iiPKiS3_PT2_S3_PiS3_S6_21rocsparse_index_base_.has_recursion, 0
	.set _ZN9rocsparseL18bsric0_9_16_kernelILi64ELi64ELi16EdEEv20rocsparse_direction_iiPKiS3_PT2_S3_PiS3_S6_21rocsparse_index_base_.has_indirect_call, 0
	.section	.AMDGPU.csdata,"",@progbits
; Kernel info:
; codeLenInByte = 3856
; TotalNumSgprs: 58
; NumVgprs: 30
; ScratchSize: 0
; MemoryBound: 0
; FloatMode: 240
; IeeeMode: 1
; LDSByteSize: 9472 bytes/workgroup (compile time only)
; SGPRBlocks: 12
; VGPRBlocks: 21
; NumSGPRsForWavesPerEU: 102
; NumVGPRsForWavesPerEU: 85
; Occupancy: 2
; WaveLimiterHint : 1
; COMPUTE_PGM_RSRC2:SCRATCH_EN: 0
; COMPUTE_PGM_RSRC2:USER_SGPR: 6
; COMPUTE_PGM_RSRC2:TRAP_HANDLER: 0
; COMPUTE_PGM_RSRC2:TGID_X_EN: 1
; COMPUTE_PGM_RSRC2:TGID_Y_EN: 0
; COMPUTE_PGM_RSRC2:TGID_Z_EN: 0
; COMPUTE_PGM_RSRC2:TIDIG_COMP_CNT: 1
	.section	.text._ZN9rocsparseL19bsric0_17_32_kernelILi64ELi64ELi32EdEEv20rocsparse_direction_iiPKiS3_PT2_S3_PiS3_S6_21rocsparse_index_base_,"axG",@progbits,_ZN9rocsparseL19bsric0_17_32_kernelILi64ELi64ELi32EdEEv20rocsparse_direction_iiPKiS3_PT2_S3_PiS3_S6_21rocsparse_index_base_,comdat
	.globl	_ZN9rocsparseL19bsric0_17_32_kernelILi64ELi64ELi32EdEEv20rocsparse_direction_iiPKiS3_PT2_S3_PiS3_S6_21rocsparse_index_base_ ; -- Begin function _ZN9rocsparseL19bsric0_17_32_kernelILi64ELi64ELi32EdEEv20rocsparse_direction_iiPKiS3_PT2_S3_PiS3_S6_21rocsparse_index_base_
	.p2align	8
	.type	_ZN9rocsparseL19bsric0_17_32_kernelILi64ELi64ELi32EdEEv20rocsparse_direction_iiPKiS3_PT2_S3_PiS3_S6_21rocsparse_index_base_,@function
_ZN9rocsparseL19bsric0_17_32_kernelILi64ELi64ELi32EdEEv20rocsparse_direction_iiPKiS3_PT2_S3_PiS3_S6_21rocsparse_index_base_: ; @_ZN9rocsparseL19bsric0_17_32_kernelILi64ELi64ELi32EdEEv20rocsparse_direction_iiPKiS3_PT2_S3_PiS3_S6_21rocsparse_index_base_
; %bb.0:
	s_load_dwordx8 s[8:15], s[4:5], 0x28
	s_mov_b32 s7, 0
	s_lshl_b64 s[0:1], s[6:7], 2
	s_waitcnt lgkmcnt(0)
	s_add_u32 s0, s12, s0
	s_addc_u32 s1, s13, s1
	s_load_dword s12, s[0:1], 0x0
	s_waitcnt lgkmcnt(0)
	s_ashr_i32 s13, s12, 31
	s_lshl_b64 s[6:7], s[12:13], 2
	s_add_u32 s0, s8, s6
	s_addc_u32 s1, s9, s7
	s_load_dword s33, s[0:1], 0x0
	s_load_dword s13, s[4:5], 0x48
	s_waitcnt lgkmcnt(0)
	s_cmp_lg_u32 s33, -1
	s_cbranch_scc0 .LBB34_118
; %bb.1:
	s_load_dwordx4 s[16:19], s[4:5], 0x10
	s_load_dwordx2 s[20:21], s[4:5], 0x20
	v_lshlrev_b32_e32 v2, 1, v1
	v_lshlrev_b32_e32 v14, 3, v1
	s_waitcnt lgkmcnt(0)
	s_add_u32 s0, s16, s6
	s_addc_u32 s1, s17, s7
	s_load_dword s0, s[0:1], 0x0
	s_waitcnt lgkmcnt(0)
	s_sub_i32 s48, s0, s13
	v_add3_u32 v2, v2, v0, s48
	v_cmp_ge_i32_e32 vcc, s33, v2
	s_and_saveexec_b64 s[0:1], vcc
	s_cbranch_execz .LBB34_4
; %bb.2:
	v_lshlrev_b32_e32 v3, 2, v0
	s_movk_i32 s2, 0x6500
	v_add3_u32 v4, v14, v3, s2
	s_mov_b64 s[2:3], 0
	v_mov_b32_e32 v5, s19
.LBB34_3:                               ; =>This Inner Loop Header: Depth=1
	v_ashrrev_i32_e32 v3, 31, v2
	v_lshlrev_b64 v[6:7], 2, v[2:3]
	v_add_u32_e32 v2, 64, v2
	v_add_co_u32_e32 v6, vcc, s18, v6
	v_addc_co_u32_e32 v7, vcc, v5, v7, vcc
	global_load_dword v3, v[6:7], off
	v_cmp_lt_i32_e32 vcc, s33, v2
	s_or_b64 s[2:3], vcc, s[2:3]
	s_waitcnt vmcnt(0)
	v_subrev_u32_e32 v3, s13, v3
	ds_write_b32 v4, v3
	v_add_u32_e32 v4, 0x100, v4
	s_andn2_b64 exec, exec, s[2:3]
	s_cbranch_execnz .LBB34_3
.LBB34_4:
	s_or_b64 exec, exec, s[0:1]
	v_cmp_gt_u32_e32 vcc, 32, v0
	v_lshlrev_b32_e32 v13, 3, v0
	s_and_saveexec_b64 s[0:1], vcc
	s_cbranch_execz .LBB34_7
; %bb.5:
	v_mul_u32_u24_e32 v2, 0x108, v1
	s_movk_i32 s2, 0x4200
	v_add3_u32 v5, v2, v13, s2
	v_mov_b32_e32 v2, 0
	v_add_u32_e32 v4, -2, v0
	s_mov_b64 s[2:3], 0
	v_mov_b32_e32 v3, v2
.LBB34_6:                               ; =>This Inner Loop Header: Depth=1
	v_add_u32_e32 v4, 2, v4
	v_cmp_lt_u32_e32 vcc, 29, v4
	ds_write_b64 v5, v[2:3]
	s_or_b64 s[2:3], vcc, s[2:3]
	v_add_u32_e32 v5, 16, v5
	s_andn2_b64 exec, exec, s[2:3]
	s_cbranch_execnz .LBB34_6
.LBB34_7:
	s_or_b64 exec, exec, s[0:1]
	s_load_dword s46, s[4:5], 0x8
	s_load_dword s47, s[4:5], 0x0
	s_cmp_ge_i32 s48, s33
	s_waitcnt lgkmcnt(0)
	v_cmp_gt_i32_e64 s[0:1], s46, v0
	s_cbranch_scc1 .LBB34_79
; %bb.8:
	v_or_b32_e32 v3, v0, v1
	s_mul_i32 s29, s46, s48
	v_cmp_ne_u32_e64 s[4:5], 0, v3
	v_add_u32_e32 v3, s29, v1
	s_cmp_eq_u32 s47, 0
	v_mul_lo_u32 v17, s46, v1
	v_mul_lo_u32 v20, s46, v3
	v_mul_lo_u32 v19, v0, s46
	s_cselect_b64 s[22:23], -1, 0
	s_cmp_lg_u32 s47, 0
	s_movk_i32 s28, 0x108
	s_cselect_b64 s[24:25], -1, 0
	v_mov_b32_e32 v2, 0x2100
	s_cmp_gt_i32 s46, 0
	v_mad_u32_u24 v18, v1, s28, v13
	s_mul_i32 s49, s46, s46
	v_cmp_gt_i32_e64 s[2:3], s46, v1
	v_mul_u32_u24_e32 v15, 0x108, v1
	v_mad_u32_u24 v16, v1, s28, v2
	s_cselect_b64 s[26:27], -1, 0
	s_lshl_b32 s50, s46, 1
	v_add_u32_e32 v21, 0x4200, v18
	v_mad_u32_u24 v22, v0, s28, v2
	v_add_u32_e32 v23, 0x2100, v18
	v_mov_b32_e32 v2, 0
	v_mov_b32_e32 v24, 0x3ff00000
	s_mov_b32 s28, s48
	s_branch .LBB34_10
.LBB34_9:                               ;   in Loop: Header=BB34_10 Depth=1
	s_or_b64 exec, exec, s[30:31]
	s_add_i32 s28, s28, 1
	s_cmp_ge_i32 s28, s33
	s_waitcnt vmcnt(0)
	buffer_wbinvl1_vol
	v_add_u32_e32 v20, s49, v20
	s_cselect_b64 s[30:31], -1, 0
	s_and_b64 vcc, exec, s[30:31]
	s_cbranch_vccnz .LBB34_79
.LBB34_10:                              ; =>This Loop Header: Depth=1
                                        ;     Child Loop BB34_14 Depth 2
                                        ;     Child Loop BB34_26 Depth 2
                                        ;     Child Loop BB34_37 Depth 2
                                        ;     Child Loop BB34_41 Depth 2
                                        ;       Child Loop BB34_43 Depth 3
                                        ;         Child Loop BB34_48 Depth 4
                                        ;     Child Loop BB34_57 Depth 2
                                        ;       Child Loop BB34_64 Depth 3
                                        ;       Child Loop BB34_68 Depth 3
                                        ;     Child Loop BB34_73 Depth 2
	s_ashr_i32 s29, s28, 31
	s_lshl_b64 s[30:31], s[28:29], 2
	s_add_u32 s30, s18, s30
	s_addc_u32 s31, s19, s31
	s_load_dword s51, s[30:31], 0x0
	s_waitcnt lgkmcnt(0)
	s_sub_i32 s34, s51, s13
	s_ashr_i32 s35, s34, 31
	s_lshl_b64 s[30:31], s[34:35], 2
	s_add_u32 s36, s8, s30
	s_addc_u32 s37, s9, s31
	s_load_dword s52, s[36:37], 0x0
	s_waitcnt lgkmcnt(0)
	s_cmp_eq_u32 s52, -1
	s_cbranch_scc1 .LBB34_78
; %bb.11:                               ;   in Loop: Header=BB34_10 Depth=1
	s_add_u32 s36, s16, s30
	s_addc_u32 s37, s17, s31
	s_load_dword s35, s[36:37], 0x0
	s_mul_i32 s29, s28, s46
	s_and_saveexec_b64 s[36:37], s[0:1]
	s_cbranch_execz .LBB34_24
; %bb.12:                               ;   in Loop: Header=BB34_10 Depth=1
	s_mov_b64 s[38:39], 0
	v_mov_b32_e32 v6, v18
	v_mov_b32_e32 v7, v0
	s_branch .LBB34_14
.LBB34_13:                              ;   in Loop: Header=BB34_14 Depth=2
	s_or_b64 exec, exec, s[42:43]
	v_add_u32_e32 v7, 2, v7
	v_mov_b32_e32 v3, v2
	v_cmp_le_i32_e32 vcc, s46, v7
	s_waitcnt vmcnt(0)
	ds_write_b64 v6, v[4:5] offset:8448
	ds_write_b64 v6, v[2:3]
	s_or_b64 s[38:39], vcc, s[38:39]
	v_add_u32_e32 v6, 16, v6
	s_andn2_b64 exec, exec, s[38:39]
	s_cbranch_execz .LBB34_24
.LBB34_14:                              ;   Parent Loop BB34_10 Depth=1
                                        ; =>  This Inner Loop Header: Depth=2
	s_mov_b64 s[42:43], -1
	s_and_b64 vcc, exec, s[24:25]
	s_mov_b64 s[40:41], 0
                                        ; implicit-def: $vgpr3
	s_cbranch_vccz .LBB34_19
; %bb.15:                               ;   in Loop: Header=BB34_14 Depth=2
	s_mov_b64 s[42:43], 0
                                        ; implicit-def: $vgpr3
	s_and_saveexec_b64 s[44:45], s[2:3]
	s_xor_b64 s[44:45], exec, s[44:45]
; %bb.16:                               ;   in Loop: Header=BB34_14 Depth=2
	v_add_u32_e32 v3, s29, v7
	v_mad_u64_u32 v[3:4], s[54:55], v3, s46, v[1:2]
	s_mov_b64 s[40:41], exec
; %bb.17:                               ;   in Loop: Header=BB34_14 Depth=2
	s_or_b64 exec, exec, s[44:45]
	s_and_b64 vcc, exec, s[42:43]
	s_cbranch_vccnz .LBB34_20
.LBB34_18:                              ;   in Loop: Header=BB34_14 Depth=2
	v_mov_b32_e32 v4, 0
	v_mov_b32_e32 v5, 0
	s_and_saveexec_b64 s[42:43], s[40:41]
	s_cbranch_execz .LBB34_13
	s_branch .LBB34_23
.LBB34_19:                              ;   in Loop: Header=BB34_14 Depth=2
	s_and_b64 vcc, exec, s[42:43]
	s_cbranch_vccz .LBB34_18
.LBB34_20:                              ;   in Loop: Header=BB34_14 Depth=2
                                        ; implicit-def: $vgpr3
	s_and_saveexec_b64 s[42:43], s[2:3]
; %bb.21:                               ;   in Loop: Header=BB34_14 Depth=2
	v_add_u32_e32 v3, v20, v7
	s_or_b64 s[40:41], s[40:41], exec
; %bb.22:                               ;   in Loop: Header=BB34_14 Depth=2
	s_or_b64 exec, exec, s[42:43]
	v_mov_b32_e32 v4, 0
	v_mov_b32_e32 v5, 0
	s_and_saveexec_b64 s[42:43], s[40:41]
	s_cbranch_execz .LBB34_13
.LBB34_23:                              ;   in Loop: Header=BB34_14 Depth=2
	v_ashrrev_i32_e32 v4, 31, v3
	v_lshlrev_b64 v[3:4], 3, v[3:4]
	v_mov_b32_e32 v5, s21
	v_add_co_u32_e32 v3, vcc, s20, v3
	v_addc_co_u32_e32 v4, vcc, v5, v4, vcc
	global_load_dwordx2 v[4:5], v[3:4], off
	s_branch .LBB34_13
.LBB34_24:                              ;   in Loop: Header=BB34_10 Depth=1
	s_or_b64 exec, exec, s[36:37]
	ds_read_b32 v3, v2 offset:25856
	s_waitcnt lgkmcnt(0)
	s_sub_i32 s36, s35, s13
	s_cmp_le_i32 s36, s52
	s_cselect_b64 s[38:39], -1, 0
	s_mov_b32 s37, 0
	v_cmp_ge_i32_e32 vcc, s34, v3
	s_and_b64 s[38:39], s[38:39], vcc
	s_andn2_b64 vcc, exec, s[38:39]
	s_cbranch_vccnz .LBB34_36
; %bb.25:                               ;   in Loop: Header=BB34_10 Depth=1
	s_mov_b32 s35, 0
	s_mov_b32 s40, 0
.LBB34_26:                              ;   Parent Loop BB34_10 Depth=1
                                        ; =>  This Inner Loop Header: Depth=2
	s_ashr_i32 s37, s36, 31
	s_lshl_b64 s[38:39], s[36:37], 2
	s_add_u32 s38, s18, s38
	s_addc_u32 s39, s19, s39
	s_load_dword s37, s[38:39], 0x0
	s_lshl_b32 s38, s40, 2
	v_mov_b32_e32 v3, s38
	ds_read_b32 v3, v3 offset:25856
	s_mov_b64 s[38:39], -1
	s_waitcnt lgkmcnt(0)
	s_sub_i32 s44, s37, s13
                                        ; implicit-def: $sgpr37
                                        ; implicit-def: $sgpr43
                                        ; implicit-def: $sgpr42
	v_cmp_ge_i32_e32 vcc, s44, v3
	v_readfirstlane_b32 s41, v3
	s_cbranch_vccz .LBB34_32
; %bb.27:                               ;   in Loop: Header=BB34_26 Depth=2
	s_cmp_le_i32 s44, s41
                                        ; implicit-def: $sgpr37
                                        ; implicit-def: $sgpr43
                                        ; implicit-def: $sgpr42
	s_cbranch_scc0 .LBB34_29
; %bb.28:                               ;   in Loop: Header=BB34_26 Depth=2
	s_add_i32 s37, s40, s48
	s_mul_i32 s37, s37, s49
	s_lshl_b32 s38, s35, 2
	v_mov_b32_e32 v4, s37
	s_mul_i32 s37, s36, s49
	v_mov_b32_e32 v3, s38
	v_mov_b32_e32 v5, s37
	ds_write2st64_b32 v3, v5, v4 offset0:99 offset1:100
	s_add_i32 s42, s40, 1
	s_add_i32 s43, s36, 1
	;; [unrolled: 1-line block ×3, first 2 shown]
	s_mov_b64 s[38:39], 0
.LBB34_29:                              ;   in Loop: Header=BB34_26 Depth=2
	s_andn2_b64 vcc, exec, s[38:39]
	s_cbranch_vccnz .LBB34_31
; %bb.30:                               ;   in Loop: Header=BB34_26 Depth=2
	s_add_i32 s42, s40, 1
	s_mov_b32 s37, s35
	s_mov_b32 s43, s36
.LBB34_31:                              ;   in Loop: Header=BB34_26 Depth=2
	s_mov_b64 s[38:39], 0
.LBB34_32:                              ;   in Loop: Header=BB34_26 Depth=2
	s_andn2_b64 vcc, exec, s[38:39]
	s_cbranch_vccnz .LBB34_34
; %bb.33:                               ;   in Loop: Header=BB34_26 Depth=2
	s_add_i32 s43, s36, 1
	s_mov_b32 s42, s40
	s_mov_b32 s37, s35
.LBB34_34:                              ;   in Loop: Header=BB34_26 Depth=2
	s_cmp_le_i32 s43, s52
	s_cselect_b64 s[38:39], -1, 0
	s_cmp_le_i32 s41, s34
	s_cselect_b64 s[40:41], -1, 0
	s_and_b64 s[38:39], s[38:39], s[40:41]
	s_and_b64 vcc, exec, s[38:39]
	s_cbranch_vccz .LBB34_36
; %bb.35:                               ;   in Loop: Header=BB34_26 Depth=2
	s_mov_b32 s35, s37
	s_mov_b32 s36, s43
	;; [unrolled: 1-line block ×3, first 2 shown]
	s_branch .LBB34_26
.LBB34_36:                              ;   in Loop: Header=BB34_10 Depth=1
	s_add_u32 s30, s10, s30
	s_addc_u32 s31, s11, s31
	s_waitcnt lgkmcnt(0)
.LBB34_37:                              ;   Parent Loop BB34_10 Depth=1
                                        ; =>  This Inner Loop Header: Depth=2
	global_load_dword v3, v2, s[30:31] glc
	s_waitcnt vmcnt(0)
	v_cmp_eq_u32_e32 vcc, 0, v3
	s_cbranch_vccnz .LBB34_37
; %bb.38:                               ;   in Loop: Header=BB34_10 Depth=1
	s_cmp_lt_i32 s37, 2
	buffer_wbinvl1_vol
	s_cbranch_scc1 .LBB34_54
; %bb.39:                               ;   in Loop: Header=BB34_10 Depth=1
	s_add_i32 s38, s37, -2
	s_mov_b32 s39, 0
	s_branch .LBB34_41
.LBB34_40:                              ;   in Loop: Header=BB34_41 Depth=2
	s_or_b64 exec, exec, s[30:31]
	s_add_i32 s30, s39, 1
	s_cmp_eq_u32 s39, s38
	s_mov_b32 s39, s30
	s_cbranch_scc1 .LBB34_54
.LBB34_41:                              ;   Parent Loop BB34_10 Depth=1
                                        ; =>  This Loop Header: Depth=2
                                        ;       Child Loop BB34_43 Depth 3
                                        ;         Child Loop BB34_48 Depth 4
	s_and_saveexec_b64 s[30:31], s[0:1]
	s_cbranch_execz .LBB34_40
; %bb.42:                               ;   in Loop: Header=BB34_41 Depth=2
	s_lshl_b32 s34, s39, 2
	v_mov_b32_e32 v3, s34
	ds_read2st64_b32 v[3:4], v3 offset0:99 offset1:100
	s_mov_b64 s[34:35], 0
	v_mov_b32_e32 v29, v0
	s_waitcnt lgkmcnt(0)
	v_add_u32_e32 v25, v4, v17
	v_add_u32_e32 v26, v1, v4
	;; [unrolled: 1-line block ×4, first 2 shown]
.LBB34_43:                              ;   Parent Loop BB34_10 Depth=1
                                        ;     Parent Loop BB34_41 Depth=2
                                        ; =>    This Loop Header: Depth=3
                                        ;         Child Loop BB34_48 Depth 4
	v_mov_b32_e32 v7, 0
	v_mov_b32_e32 v8, 0
	s_mov_b32 s40, 0
	v_mov_b32_e32 v3, v27
	v_mov_b32_e32 v5, v26
	s_mov_b64 s[36:37], -1
	s_and_b64 vcc, exec, s[24:25]
                                        ; implicit-def: $vgpr9_vgpr10
	s_cbranch_vccz .LBB34_48
	s_branch .LBB34_45
.LBB34_44:                              ;   in Loop: Header=BB34_48 Depth=4
	v_mov_b32_e32 v7, v9
	v_mov_b32_e32 v8, v10
	s_mov_b64 s[36:37], -1
	s_and_b64 vcc, exec, s[24:25]
                                        ; implicit-def: $vgpr9_vgpr10
	s_cbranch_vccz .LBB34_48
.LBB34_45:                              ;   in Loop: Header=BB34_43 Depth=3
	v_ashrrev_i32_e32 v4, 31, v3
	v_lshlrev_b64 v[9:10], 3, v[3:4]
	v_mov_b32_e32 v4, s21
	v_add_co_u32_e32 v9, vcc, s20, v9
	v_addc_co_u32_e32 v10, vcc, v4, v10, vcc
	global_load_dwordx2 v[9:10], v[9:10], off
	v_mov_b32_e32 v11, 0
	v_mov_b32_e32 v12, 0
	s_and_saveexec_b64 s[36:37], s[2:3]
	s_cbranch_execz .LBB34_47
; %bb.46:                               ;   in Loop: Header=BB34_43 Depth=3
	v_ashrrev_i32_e32 v6, 31, v5
	v_lshlrev_b64 v[11:12], 3, v[5:6]
	v_mov_b32_e32 v4, s21
	v_add_co_u32_e32 v11, vcc, s20, v11
	v_addc_co_u32_e32 v12, vcc, v4, v12, vcc
	global_load_dwordx2 v[11:12], v[11:12], off
.LBB34_47:                              ;   in Loop: Header=BB34_43 Depth=3
	s_or_b64 exec, exec, s[36:37]
	s_waitcnt vmcnt(0)
	v_fma_f64 v[9:10], v[9:10], v[11:12], v[7:8]
	s_mov_b64 s[36:37], 0
.LBB34_48:                              ;   Parent Loop BB34_10 Depth=1
                                        ;     Parent Loop BB34_41 Depth=2
                                        ;       Parent Loop BB34_43 Depth=3
                                        ; =>      This Inner Loop Header: Depth=4
	s_and_b64 vcc, exec, s[36:37]
	s_cbranch_vccz .LBB34_52
; %bb.49:                               ;   in Loop: Header=BB34_48 Depth=4
	v_add_u32_e32 v9, s40, v28
	v_ashrrev_i32_e32 v10, 31, v9
	v_lshlrev_b64 v[9:10], 3, v[9:10]
	v_mov_b32_e32 v4, s21
	v_add_co_u32_e32 v9, vcc, s20, v9
	v_addc_co_u32_e32 v10, vcc, v4, v10, vcc
	global_load_dwordx2 v[9:10], v[9:10], off
	v_mov_b32_e32 v11, 0
	v_mov_b32_e32 v12, 0
	s_and_saveexec_b64 s[36:37], s[2:3]
	s_cbranch_execz .LBB34_51
; %bb.50:                               ;   in Loop: Header=BB34_48 Depth=4
	v_add_u32_e32 v11, s40, v25
	v_ashrrev_i32_e32 v12, 31, v11
	v_lshlrev_b64 v[11:12], 3, v[11:12]
	v_mov_b32_e32 v4, s21
	v_add_co_u32_e32 v11, vcc, s20, v11
	v_addc_co_u32_e32 v12, vcc, v4, v12, vcc
	global_load_dwordx2 v[11:12], v[11:12], off
.LBB34_51:                              ;   in Loop: Header=BB34_48 Depth=4
	s_or_b64 exec, exec, s[36:37]
	s_waitcnt vmcnt(0)
	v_fma_f64 v[9:10], v[9:10], v[11:12], v[7:8]
.LBB34_52:                              ;   in Loop: Header=BB34_48 Depth=4
	s_add_i32 s40, s40, 1
	v_add_u32_e32 v5, s46, v5
	s_cmp_eq_u32 s46, s40
	v_add_u32_e32 v3, s46, v3
	s_cbranch_scc0 .LBB34_44
; %bb.53:                               ;   in Loop: Header=BB34_43 Depth=3
	v_lshl_add_u32 v5, v29, 3, v15
	ds_read_b64 v[3:4], v5
	v_add_u32_e32 v29, 2, v29
	v_cmp_le_i32_e32 vcc, s46, v29
	v_add_u32_e32 v27, 2, v27
	s_or_b64 s[34:35], vcc, s[34:35]
	s_waitcnt lgkmcnt(0)
	v_add_f64 v[3:4], v[9:10], v[3:4]
	v_add_u32_e32 v28, s50, v28
	ds_write_b64 v5, v[3:4]
	s_andn2_b64 exec, exec, s[34:35]
	s_cbranch_execnz .LBB34_43
	s_branch .LBB34_40
.LBB34_54:                              ;   in Loop: Header=BB34_10 Depth=1
	s_andn2_b64 vcc, exec, s[26:27]
	s_waitcnt lgkmcnt(0)
	s_cbranch_vccnz .LBB34_69
; %bb.55:                               ;   in Loop: Header=BB34_10 Depth=1
	s_mul_i32 s36, s49, s52
	s_mov_b32 s37, 0
	v_mov_b32_e32 v9, v22
	s_mov_b32 s38, s36
	s_branch .LBB34_57
.LBB34_56:                              ;   in Loop: Header=BB34_57 Depth=2
	s_or_b64 exec, exec, s[30:31]
	s_add_i32 s37, s37, 1
	s_add_i32 s38, s38, 1
	s_cmp_eq_u32 s37, s46
	v_add_u32_e32 v9, 8, v9
	s_waitcnt lgkmcnt(0)
	s_cbranch_scc1 .LBB34_69
.LBB34_57:                              ;   Parent Loop BB34_10 Depth=1
                                        ; =>  This Loop Header: Depth=2
                                        ;       Child Loop BB34_64 Depth 3
                                        ;       Child Loop BB34_68 Depth 3
	s_mul_i32 s39, s37, s46
	s_add_i32 s39, s39, s36
	s_add_i32 s30, s39, s37
	s_ashr_i32 s31, s30, 31
	s_lshl_b64 s[30:31], s[30:31], 3
	s_add_u32 s30, s20, s30
	s_addc_u32 s31, s21, s31
	global_load_dwordx2 v[5:6], v2, s[30:31]
	v_lshl_add_u32 v10, s37, 3, v16
	ds_read_b64 v[3:4], v10
	s_waitcnt vmcnt(0)
	v_cmp_neq_f64_e32 vcc, 0, v[5:6]
	v_cndmask_b32_e32 v6, v24, v6, vcc
	s_nor_b64 s[34:35], vcc, s[4:5]
	v_cndmask_b32_e32 v5, 0, v5, vcc
	s_and_saveexec_b64 s[30:31], s[34:35]
	s_cbranch_execz .LBB34_61
; %bb.58:                               ;   in Loop: Header=BB34_57 Depth=2
	v_mbcnt_lo_u32_b32 v5, exec_lo, 0
	v_mbcnt_hi_u32_b32 v5, exec_hi, v5
	v_cmp_eq_u32_e32 vcc, 0, v5
	s_and_saveexec_b64 s[34:35], vcc
	s_cbranch_execz .LBB34_60
; %bb.59:                               ;   in Loop: Header=BB34_57 Depth=2
	v_mov_b32_e32 v5, s51
	global_atomic_smin v2, v5, s[14:15]
.LBB34_60:                              ;   in Loop: Header=BB34_57 Depth=2
	s_or_b64 exec, exec, s[34:35]
	v_mov_b32_e32 v5, 0
	v_mov_b32_e32 v6, 0x3ff00000
.LBB34_61:                              ;   in Loop: Header=BB34_57 Depth=2
	s_or_b64 exec, exec, s[30:31]
	v_lshl_add_u32 v7, s37, 3, v15
	ds_read_b64 v[7:8], v7
	s_cmp_eq_u32 s37, 0
	s_cbranch_scc1 .LBB34_66
; %bb.62:                               ;   in Loop: Header=BB34_57 Depth=2
	s_mov_b32 s34, 0
	s_mov_b32 s35, s37
	;; [unrolled: 1-line block ×3, first 2 shown]
	v_mov_b32_e32 v11, v16
	s_branch .LBB34_64
.LBB34_63:                              ;   in Loop: Header=BB34_64 Depth=3
	s_ashr_i32 s31, s30, 31
	s_lshl_b64 s[30:31], s[30:31], 3
	s_add_u32 s30, s20, s30
	s_addc_u32 s31, s21, s31
	global_load_dwordx2 v[25:26], v2, s[30:31]
	ds_read_b64 v[27:28], v11
	s_add_i32 s34, s34, 1
	s_add_i32 s40, s40, s46
	s_add_i32 s35, s35, -1
	s_cmp_eq_u32 s35, 0
	v_add_u32_e32 v11, 8, v11
	s_waitcnt vmcnt(0) lgkmcnt(0)
	v_fma_f64 v[7:8], v[25:26], v[27:28], v[7:8]
	s_cbranch_scc1 .LBB34_66
.LBB34_64:                              ;   Parent Loop BB34_10 Depth=1
                                        ;     Parent Loop BB34_57 Depth=2
                                        ; =>    This Inner Loop Header: Depth=3
	s_andn2_b64 vcc, exec, s[22:23]
	s_mov_b32 s30, s40
	s_cbranch_vccnz .LBB34_63
; %bb.65:                               ;   in Loop: Header=BB34_64 Depth=3
	s_add_i32 s30, s34, s39
	s_branch .LBB34_63
.LBB34_66:                              ;   in Loop: Header=BB34_57 Depth=2
	s_waitcnt lgkmcnt(0)
	v_add_f64 v[3:4], v[3:4], -v[7:8]
	v_div_scale_f64 v[7:8], s[30:31], v[5:6], v[5:6], v[3:4]
	v_rcp_f64_e32 v[11:12], v[7:8]
	v_fma_f64 v[25:26], -v[7:8], v[11:12], 1.0
	v_fma_f64 v[11:12], v[11:12], v[25:26], v[11:12]
	v_div_scale_f64 v[25:26], vcc, v[3:4], v[5:6], v[3:4]
	v_fma_f64 v[27:28], -v[7:8], v[11:12], 1.0
	v_fma_f64 v[11:12], v[11:12], v[27:28], v[11:12]
	v_mul_f64 v[27:28], v[25:26], v[11:12]
	v_fma_f64 v[7:8], -v[7:8], v[27:28], v[25:26]
	v_div_fmas_f64 v[7:8], v[7:8], v[11:12], v[27:28]
	v_div_fixup_f64 v[3:4], v[7:8], v[5:6], v[3:4]
	ds_write_b64 v10, v[3:4]
	s_waitcnt lgkmcnt(0)
	s_and_saveexec_b64 s[30:31], s[0:1]
	s_cbranch_execz .LBB34_56
; %bb.67:                               ;   in Loop: Header=BB34_57 Depth=2
	s_mov_b64 s[34:35], 0
	v_mov_b32_e32 v5, v9
	v_mov_b32_e32 v6, v21
	;; [unrolled: 1-line block ×3, first 2 shown]
.LBB34_68:                              ;   Parent Loop BB34_10 Depth=1
                                        ;     Parent Loop BB34_57 Depth=2
                                        ; =>    This Inner Loop Header: Depth=3
	ds_read_b64 v[10:11], v5
	ds_read_b64 v[25:26], v6
	v_add_u32_e32 v7, 2, v7
	v_cmp_le_i32_e32 vcc, s46, v7
	s_or_b64 s[34:35], vcc, s[34:35]
	v_add_u32_e32 v5, 0x210, v5
	s_waitcnt lgkmcnt(0)
	v_fma_f64 v[10:11], v[3:4], v[10:11], v[25:26]
	ds_write_b64 v6, v[10:11]
	v_add_u32_e32 v6, 16, v6
	s_andn2_b64 exec, exec, s[34:35]
	s_cbranch_execnz .LBB34_68
	s_branch .LBB34_56
.LBB34_69:                              ;   in Loop: Header=BB34_10 Depth=1
	s_and_saveexec_b64 s[30:31], s[0:1]
	s_cbranch_execz .LBB34_9
; %bb.70:                               ;   in Loop: Header=BB34_10 Depth=1
	s_mov_b64 s[34:35], 0
	v_mov_b32_e32 v7, v23
	v_mov_b32_e32 v8, v0
	s_branch .LBB34_73
.LBB34_71:                              ;   in Loop: Header=BB34_73 Depth=2
	v_ashrrev_i32_e32 v6, 31, v5
	v_lshlrev_b64 v[5:6], 3, v[5:6]
	v_mov_b32_e32 v9, s21
	v_add_co_u32_e32 v5, vcc, s20, v5
	v_addc_co_u32_e32 v6, vcc, v9, v6, vcc
	s_waitcnt lgkmcnt(0)
	global_store_dwordx2 v[5:6], v[3:4], off
.LBB34_72:                              ;   in Loop: Header=BB34_73 Depth=2
	s_or_b64 exec, exec, s[36:37]
	v_add_u32_e32 v8, 2, v8
	v_cmp_le_i32_e32 vcc, s46, v8
	s_or_b64 s[34:35], vcc, s[34:35]
	v_add_u32_e32 v7, 16, v7
	s_andn2_b64 exec, exec, s[34:35]
	s_cbranch_execz .LBB34_9
.LBB34_73:                              ;   Parent Loop BB34_10 Depth=1
                                        ; =>  This Inner Loop Header: Depth=2
	s_and_saveexec_b64 s[36:37], s[2:3]
	s_cbranch_execz .LBB34_72
; %bb.74:                               ;   in Loop: Header=BB34_73 Depth=2
	ds_read_b64 v[3:4], v7
	s_mov_b64 s[38:39], -1
	s_and_b64 vcc, exec, s[24:25]
                                        ; implicit-def: $vgpr5
	s_cbranch_vccz .LBB34_76
; %bb.75:                               ;   in Loop: Header=BB34_73 Depth=2
	v_add_u32_e32 v5, s29, v8
	v_mad_u64_u32 v[5:6], s[38:39], v5, s46, v[1:2]
	s_mov_b64 s[38:39], 0
.LBB34_76:                              ;   in Loop: Header=BB34_73 Depth=2
	s_andn2_b64 vcc, exec, s[38:39]
	s_cbranch_vccnz .LBB34_71
; %bb.77:                               ;   in Loop: Header=BB34_73 Depth=2
	v_add_u32_e32 v5, v20, v8
	s_branch .LBB34_71
.LBB34_78:                              ;   in Loop: Header=BB34_10 Depth=1
                                        ; implicit-def: $sgpr28
                                        ; implicit-def: $vgpr20
	s_cbranch_execz .LBB34_10
.LBB34_79:
	v_cmp_gt_i32_e64 s[0:1], s46, v0
	s_and_saveexec_b64 s[4:5], s[0:1]
	s_cbranch_execz .LBB34_92
; %bb.80:
	s_mul_i32 s26, s33, s46
	v_add_u32_e32 v2, s26, v1
	v_mul_lo_u32 v5, v2, s46
	s_cmp_lg_u32 s47, 0
	v_mul_u32_u24_e32 v2, 0x108, v1
	s_movk_i32 s16, 0x2100
	s_cselect_b64 s[8:9], -1, 0
	v_cmp_gt_i32_e64 s[2:3], s46, v1
	v_add3_u32 v6, v2, v13, s16
	s_mov_b64 s[16:17], 0
	v_mov_b32_e32 v7, v0
	s_branch .LBB34_82
.LBB34_81:                              ;   in Loop: Header=BB34_82 Depth=1
	s_or_b64 exec, exec, s[22:23]
	v_add_u32_e32 v7, 2, v7
	v_cmp_le_i32_e32 vcc, s46, v7
	s_waitcnt vmcnt(0)
	ds_write_b64 v6, v[3:4]
	s_or_b64 s[16:17], vcc, s[16:17]
	v_add_u32_e32 v6, 16, v6
	s_andn2_b64 exec, exec, s[16:17]
	s_cbranch_execz .LBB34_92
.LBB34_82:                              ; =>This Inner Loop Header: Depth=1
	s_and_b64 vcc, exec, s[8:9]
	s_cbranch_vccz .LBB34_89
; %bb.83:                               ;   in Loop: Header=BB34_82 Depth=1
	s_mov_b64 s[22:23], 0
	s_mov_b64 s[18:19], 0
                                        ; implicit-def: $vgpr2
	s_and_saveexec_b64 s[24:25], s[2:3]
	s_xor_b64 s[24:25], exec, s[24:25]
; %bb.84:                               ;   in Loop: Header=BB34_82 Depth=1
	v_add_u32_e32 v2, s26, v7
	s_mov_b64 s[18:19], exec
	v_mad_u64_u32 v[2:3], s[28:29], v2, s46, v[1:2]
; %bb.85:                               ;   in Loop: Header=BB34_82 Depth=1
	s_or_b64 exec, exec, s[24:25]
	s_and_b64 vcc, exec, s[22:23]
	s_cbranch_vccz .LBB34_90
.LBB34_86:                              ;   in Loop: Header=BB34_82 Depth=1
                                        ; implicit-def: $vgpr2
	s_and_saveexec_b64 s[22:23], s[2:3]
; %bb.87:                               ;   in Loop: Header=BB34_82 Depth=1
	v_add_u32_e32 v2, v5, v7
	s_or_b64 s[18:19], s[18:19], exec
; %bb.88:                               ;   in Loop: Header=BB34_82 Depth=1
	s_or_b64 exec, exec, s[22:23]
	v_mov_b32_e32 v3, 0
	v_mov_b32_e32 v4, 0
	s_and_saveexec_b64 s[22:23], s[18:19]
	s_cbranch_execz .LBB34_81
	s_branch .LBB34_91
.LBB34_89:                              ;   in Loop: Header=BB34_82 Depth=1
	s_mov_b64 s[18:19], 0
                                        ; implicit-def: $vgpr2
	s_cbranch_execnz .LBB34_86
.LBB34_90:                              ;   in Loop: Header=BB34_82 Depth=1
	v_mov_b32_e32 v3, 0
	v_mov_b32_e32 v4, 0
	s_and_saveexec_b64 s[22:23], s[18:19]
	s_cbranch_execz .LBB34_81
.LBB34_91:                              ;   in Loop: Header=BB34_82 Depth=1
	v_ashrrev_i32_e32 v3, 31, v2
	v_lshlrev_b64 v[2:3], 3, v[2:3]
	v_mov_b32_e32 v4, s21
	v_add_co_u32_e32 v2, vcc, s20, v2
	v_addc_co_u32_e32 v3, vcc, v4, v3, vcc
	global_load_dwordx2 v[3:4], v[2:3], off
	s_branch .LBB34_81
.LBB34_92:
	s_or_b64 exec, exec, s[4:5]
	s_cmp_lt_i32 s46, 1
	s_waitcnt lgkmcnt(0)
	s_cbranch_scc1 .LBB34_105
; %bb.93:
	v_or_b32_e32 v4, v0, v1
	s_movk_i32 s4, 0x108
	v_mov_b32_e32 v2, 0x2100
	v_mul_u32_u24_e32 v3, 0x108, v1
	v_cmp_ne_u32_e64 s[2:3], 0, v4
	s_movk_i32 s5, 0x4200
	v_mov_b32_e32 v4, 0x4200
	v_mad_u32_u24 v6, v1, s4, v2
	v_mad_u32_u24 v7, v1, s4, v4
	v_add3_u32 v10, v3, v13, s5
	v_mad_u32_u24 v11, v0, s4, v2
	s_mov_b32 s4, 0
	s_mov_b32 s18, 0
	s_add_i32 s19, s12, s13
	v_add_u32_e32 v8, v6, v14
	v_add_u32_e32 v9, v7, v14
	s_brev_b32 s5, 8
	v_mov_b32_e32 v12, 0x260
	v_mov_b32_e32 v14, 0x3ff00000
	;; [unrolled: 1-line block ×5, first 2 shown]
	s_branch .LBB34_95
.LBB34_94:                              ;   in Loop: Header=BB34_95 Depth=1
	s_or_b64 exec, exec, s[8:9]
	s_add_i32 s18, s18, 1
	s_cmp_eq_u32 s18, s46
	v_add_u32_e32 v11, 8, v11
	s_waitcnt lgkmcnt(0)
	s_cbranch_scc1 .LBB34_105
.LBB34_95:                              ; =>This Loop Header: Depth=1
                                        ;     Child Loop BB34_104 Depth 2
	v_cmp_eq_u32_e32 vcc, s18, v1
	s_and_saveexec_b64 s[8:9], vcc
	s_cbranch_execz .LBB34_97
; %bb.96:                               ;   in Loop: Header=BB34_95 Depth=1
	ds_read_b64 v[2:3], v8
	ds_read_b64 v[4:5], v9
	s_waitcnt lgkmcnt(0)
	v_add_f64 v[2:3], v[2:3], -v[4:5]
	v_cmp_gt_f64_e32 vcc, 0, v[2:3]
	v_xor_b32_e32 v4, 0x80000000, v3
	v_cndmask_b32_e32 v3, v3, v4, vcc
	v_cmp_gt_f64_e32 vcc, s[4:5], v[2:3]
	v_cndmask_b32_e32 v4, 0, v16, vcc
	v_ldexp_f64 v[2:3], v[2:3], v4
	v_rsq_f64_e32 v[4:5], v[2:3]
	v_mul_f64 v[18:19], v[2:3], v[4:5]
	v_mul_f64 v[4:5], v[4:5], 0.5
	v_fma_f64 v[20:21], -v[4:5], v[18:19], 0.5
	v_fma_f64 v[18:19], v[18:19], v[20:21], v[18:19]
	v_fma_f64 v[4:5], v[4:5], v[20:21], v[4:5]
	v_fma_f64 v[20:21], -v[18:19], v[18:19], v[2:3]
	v_fma_f64 v[18:19], v[20:21], v[4:5], v[18:19]
	v_fma_f64 v[20:21], -v[18:19], v[18:19], v[2:3]
	v_fma_f64 v[4:5], v[20:21], v[4:5], v[18:19]
	v_cndmask_b32_e32 v18, 0, v17, vcc
	v_cmp_class_f64_e32 vcc, v[2:3], v12
	v_ldexp_f64 v[4:5], v[4:5], v18
	v_cndmask_b32_e32 v3, v5, v3, vcc
	v_cndmask_b32_e32 v2, v4, v2, vcc
	ds_write_b64 v8, v[2:3]
.LBB34_97:                              ;   in Loop: Header=BB34_95 Depth=1
	s_or_b64 exec, exec, s[8:9]
	s_lshl_b32 s8, s18, 3
	s_mul_i32 s9, s18, 0x108
	s_add_i32 s9, s9, s8
	v_mov_b32_e32 v2, s9
	s_waitcnt lgkmcnt(0)
	ds_read_b64 v[4:5], v2 offset:8448
	v_add_u32_e32 v18, s8, v6
	ds_read_b64 v[2:3], v18
	s_waitcnt lgkmcnt(1)
	v_cmp_neq_f64_e32 vcc, 0, v[4:5]
	v_cndmask_b32_e32 v5, v14, v5, vcc
	s_nor_b64 s[16:17], vcc, s[2:3]
	v_cndmask_b32_e32 v4, 0, v4, vcc
	s_and_saveexec_b64 s[8:9], s[16:17]
	s_cbranch_execz .LBB34_101
; %bb.98:                               ;   in Loop: Header=BB34_95 Depth=1
	v_mbcnt_lo_u32_b32 v4, exec_lo, 0
	v_mbcnt_hi_u32_b32 v4, exec_hi, v4
	v_cmp_eq_u32_e32 vcc, 0, v4
	s_and_saveexec_b64 s[16:17], vcc
	s_cbranch_execz .LBB34_100
; %bb.99:                               ;   in Loop: Header=BB34_95 Depth=1
	v_mov_b32_e32 v4, s19
	global_atomic_smin v15, v4, s[14:15]
.LBB34_100:                             ;   in Loop: Header=BB34_95 Depth=1
	s_or_b64 exec, exec, s[16:17]
	v_mov_b32_e32 v4, 0
	v_mov_b32_e32 v5, 0x3ff00000
.LBB34_101:                             ;   in Loop: Header=BB34_95 Depth=1
	s_or_b64 exec, exec, s[8:9]
	v_cmp_lt_u32_e32 vcc, s18, v1
	s_and_saveexec_b64 s[8:9], vcc
	s_cbranch_execz .LBB34_94
; %bb.102:                              ;   in Loop: Header=BB34_95 Depth=1
	v_lshl_add_u32 v19, s18, 3, v7
	ds_read_b64 v[19:20], v19
	s_waitcnt lgkmcnt(0)
	v_add_f64 v[2:3], v[2:3], -v[19:20]
	v_div_scale_f64 v[19:20], s[16:17], v[4:5], v[4:5], v[2:3]
	v_rcp_f64_e32 v[21:22], v[19:20]
	v_fma_f64 v[23:24], -v[19:20], v[21:22], 1.0
	v_fma_f64 v[21:22], v[21:22], v[23:24], v[21:22]
	v_div_scale_f64 v[23:24], vcc, v[2:3], v[4:5], v[2:3]
	v_fma_f64 v[25:26], -v[19:20], v[21:22], 1.0
	v_fma_f64 v[21:22], v[21:22], v[25:26], v[21:22]
	v_mul_f64 v[25:26], v[23:24], v[21:22]
	v_fma_f64 v[19:20], -v[19:20], v[25:26], v[23:24]
	v_div_fmas_f64 v[19:20], v[19:20], v[21:22], v[25:26]
	v_div_fixup_f64 v[2:3], v[19:20], v[4:5], v[2:3]
	ds_write_b64 v18, v[2:3]
	s_waitcnt lgkmcnt(0)
	s_and_b64 exec, exec, s[0:1]
	s_cbranch_execz .LBB34_94
; %bb.103:                              ;   in Loop: Header=BB34_95 Depth=1
	s_mov_b64 s[16:17], 0
	v_mov_b32_e32 v4, v11
	v_mov_b32_e32 v5, v10
	;; [unrolled: 1-line block ×3, first 2 shown]
.LBB34_104:                             ;   Parent Loop BB34_95 Depth=1
                                        ; =>  This Inner Loop Header: Depth=2
	ds_read_b64 v[19:20], v4
	ds_read_b64 v[21:22], v5
	v_add_u32_e32 v18, 2, v18
	v_cmp_le_i32_e32 vcc, s46, v18
	s_or_b64 s[16:17], vcc, s[16:17]
	v_add_u32_e32 v4, 0x210, v4
	s_waitcnt lgkmcnt(0)
	v_fma_f64 v[19:20], v[2:3], v[19:20], v[21:22]
	ds_write_b64 v5, v[19:20]
	v_add_u32_e32 v5, 16, v5
	s_andn2_b64 exec, exec, s[16:17]
	s_cbranch_execnz .LBB34_104
	s_branch .LBB34_94
.LBB34_105:
	s_and_saveexec_b64 s[2:3], s[0:1]
	s_cbranch_execz .LBB34_114
; %bb.106:
	s_mul_i32 s33, s33, s46
	v_add_u32_e32 v2, s33, v1
	v_mul_lo_u32 v6, v2, s46
	s_cmp_lg_u32 s47, 0
	v_mul_u32_u24_e32 v2, 0x108, v1
	s_movk_i32 s8, 0x2100
	v_cmp_gt_i32_e64 s[0:1], s46, v1
	s_cselect_b64 s[4:5], -1, 0
	v_add3_u32 v7, v2, v13, s8
	s_mov_b64 s[8:9], 0
	v_mov_b32_e32 v8, v0
	s_branch .LBB34_110
.LBB34_107:                             ;   in Loop: Header=BB34_110 Depth=1
	v_add_u32_e32 v4, v6, v8
.LBB34_108:                             ;   in Loop: Header=BB34_110 Depth=1
	v_ashrrev_i32_e32 v5, 31, v4
	v_lshlrev_b64 v[4:5], 3, v[4:5]
	v_mov_b32_e32 v9, s21
	v_add_co_u32_e32 v4, vcc, s20, v4
	v_addc_co_u32_e32 v5, vcc, v9, v5, vcc
	s_waitcnt lgkmcnt(0)
	global_store_dwordx2 v[4:5], v[2:3], off
.LBB34_109:                             ;   in Loop: Header=BB34_110 Depth=1
	s_or_b64 exec, exec, s[16:17]
	v_add_u32_e32 v8, 2, v8
	v_cmp_le_i32_e32 vcc, s46, v8
	s_or_b64 s[8:9], vcc, s[8:9]
	v_add_u32_e32 v7, 16, v7
	s_andn2_b64 exec, exec, s[8:9]
	s_cbranch_execz .LBB34_114
.LBB34_110:                             ; =>This Inner Loop Header: Depth=1
	s_and_saveexec_b64 s[16:17], s[0:1]
	s_cbranch_execz .LBB34_109
; %bb.111:                              ;   in Loop: Header=BB34_110 Depth=1
	ds_read_b64 v[2:3], v7
	s_and_b64 vcc, exec, s[4:5]
	s_cbranch_vccz .LBB34_113
; %bb.112:                              ;   in Loop: Header=BB34_110 Depth=1
	v_add_u32_e32 v4, s33, v8
	s_waitcnt lgkmcnt(0)
	v_mad_u64_u32 v[4:5], s[18:19], v4, s46, v[1:2]
	s_cbranch_execnz .LBB34_108
	s_branch .LBB34_107
.LBB34_113:                             ;   in Loop: Header=BB34_110 Depth=1
                                        ; implicit-def: $vgpr4
	s_branch .LBB34_107
.LBB34_114:
	s_or_b64 exec, exec, s[2:3]
	v_or_b32_e32 v2, v0, v1
	v_cmp_eq_u32_e32 vcc, 0, v2
	s_and_saveexec_b64 s[0:1], vcc
	s_cbranch_execz .LBB34_116
; %bb.115:
	s_add_u32 s2, s10, s6
	s_addc_u32 s3, s11, s7
	v_mov_b32_e32 v2, 0
	v_mov_b32_e32 v3, 1
	s_waitcnt vmcnt(0)
	global_store_dword v2, v3, s[2:3]
.LBB34_116:
	s_or_b64 exec, exec, s[0:1]
.LBB34_117:
	s_endpgm
.LBB34_118:
	s_cbranch_execz .LBB34_117
; %bb.119:
	v_or_b32_e32 v0, v0, v1
	v_cmp_eq_u32_e32 vcc, 0, v0
	s_and_saveexec_b64 s[0:1], vcc
	s_cbranch_execz .LBB34_117
; %bb.120:
	v_mbcnt_lo_u32_b32 v0, exec_lo, 0
	v_mbcnt_hi_u32_b32 v0, exec_hi, v0
	v_cmp_eq_u32_e32 vcc, 0, v0
	s_and_saveexec_b64 s[0:1], vcc
	s_cbranch_execz .LBB34_122
; %bb.121:
	s_add_i32 s2, s12, s13
	v_mov_b32_e32 v0, 0
	v_mov_b32_e32 v1, s2
	global_atomic_smin v0, v1, s[14:15]
.LBB34_122:
	s_or_b64 exec, exec, s[0:1]
	s_add_u32 s0, s10, s6
	s_addc_u32 s1, s11, s7
	v_mov_b32_e32 v0, 0
	v_mov_b32_e32 v1, 1
	s_waitcnt vmcnt(0)
	global_store_dword v0, v1, s[0:1]
	s_endpgm
	.section	.rodata,"a",@progbits
	.p2align	6, 0x0
	.amdhsa_kernel _ZN9rocsparseL19bsric0_17_32_kernelILi64ELi64ELi32EdEEv20rocsparse_direction_iiPKiS3_PT2_S3_PiS3_S6_21rocsparse_index_base_
		.amdhsa_group_segment_fixed_size 26112
		.amdhsa_private_segment_fixed_size 0
		.amdhsa_kernarg_size 76
		.amdhsa_user_sgpr_count 6
		.amdhsa_user_sgpr_private_segment_buffer 1
		.amdhsa_user_sgpr_dispatch_ptr 0
		.amdhsa_user_sgpr_queue_ptr 0
		.amdhsa_user_sgpr_kernarg_segment_ptr 1
		.amdhsa_user_sgpr_dispatch_id 0
		.amdhsa_user_sgpr_flat_scratch_init 0
		.amdhsa_user_sgpr_private_segment_size 0
		.amdhsa_uses_dynamic_stack 0
		.amdhsa_system_sgpr_private_segment_wavefront_offset 0
		.amdhsa_system_sgpr_workgroup_id_x 1
		.amdhsa_system_sgpr_workgroup_id_y 0
		.amdhsa_system_sgpr_workgroup_id_z 0
		.amdhsa_system_sgpr_workgroup_info 0
		.amdhsa_system_vgpr_workitem_id 1
		.amdhsa_next_free_vgpr 129
		.amdhsa_next_free_sgpr 98
		.amdhsa_reserve_vcc 1
		.amdhsa_reserve_flat_scratch 0
		.amdhsa_float_round_mode_32 0
		.amdhsa_float_round_mode_16_64 0
		.amdhsa_float_denorm_mode_32 3
		.amdhsa_float_denorm_mode_16_64 3
		.amdhsa_dx10_clamp 1
		.amdhsa_ieee_mode 1
		.amdhsa_fp16_overflow 0
		.amdhsa_exception_fp_ieee_invalid_op 0
		.amdhsa_exception_fp_denorm_src 0
		.amdhsa_exception_fp_ieee_div_zero 0
		.amdhsa_exception_fp_ieee_overflow 0
		.amdhsa_exception_fp_ieee_underflow 0
		.amdhsa_exception_fp_ieee_inexact 0
		.amdhsa_exception_int_div_zero 0
	.end_amdhsa_kernel
	.section	.text._ZN9rocsparseL19bsric0_17_32_kernelILi64ELi64ELi32EdEEv20rocsparse_direction_iiPKiS3_PT2_S3_PiS3_S6_21rocsparse_index_base_,"axG",@progbits,_ZN9rocsparseL19bsric0_17_32_kernelILi64ELi64ELi32EdEEv20rocsparse_direction_iiPKiS3_PT2_S3_PiS3_S6_21rocsparse_index_base_,comdat
.Lfunc_end34:
	.size	_ZN9rocsparseL19bsric0_17_32_kernelILi64ELi64ELi32EdEEv20rocsparse_direction_iiPKiS3_PT2_S3_PiS3_S6_21rocsparse_index_base_, .Lfunc_end34-_ZN9rocsparseL19bsric0_17_32_kernelILi64ELi64ELi32EdEEv20rocsparse_direction_iiPKiS3_PT2_S3_PiS3_S6_21rocsparse_index_base_
                                        ; -- End function
	.set _ZN9rocsparseL19bsric0_17_32_kernelILi64ELi64ELi32EdEEv20rocsparse_direction_iiPKiS3_PT2_S3_PiS3_S6_21rocsparse_index_base_.num_vgpr, 30
	.set _ZN9rocsparseL19bsric0_17_32_kernelILi64ELi64ELi32EdEEv20rocsparse_direction_iiPKiS3_PT2_S3_PiS3_S6_21rocsparse_index_base_.num_agpr, 0
	.set _ZN9rocsparseL19bsric0_17_32_kernelILi64ELi64ELi32EdEEv20rocsparse_direction_iiPKiS3_PT2_S3_PiS3_S6_21rocsparse_index_base_.numbered_sgpr, 56
	.set _ZN9rocsparseL19bsric0_17_32_kernelILi64ELi64ELi32EdEEv20rocsparse_direction_iiPKiS3_PT2_S3_PiS3_S6_21rocsparse_index_base_.num_named_barrier, 0
	.set _ZN9rocsparseL19bsric0_17_32_kernelILi64ELi64ELi32EdEEv20rocsparse_direction_iiPKiS3_PT2_S3_PiS3_S6_21rocsparse_index_base_.private_seg_size, 0
	.set _ZN9rocsparseL19bsric0_17_32_kernelILi64ELi64ELi32EdEEv20rocsparse_direction_iiPKiS3_PT2_S3_PiS3_S6_21rocsparse_index_base_.uses_vcc, 1
	.set _ZN9rocsparseL19bsric0_17_32_kernelILi64ELi64ELi32EdEEv20rocsparse_direction_iiPKiS3_PT2_S3_PiS3_S6_21rocsparse_index_base_.uses_flat_scratch, 0
	.set _ZN9rocsparseL19bsric0_17_32_kernelILi64ELi64ELi32EdEEv20rocsparse_direction_iiPKiS3_PT2_S3_PiS3_S6_21rocsparse_index_base_.has_dyn_sized_stack, 0
	.set _ZN9rocsparseL19bsric0_17_32_kernelILi64ELi64ELi32EdEEv20rocsparse_direction_iiPKiS3_PT2_S3_PiS3_S6_21rocsparse_index_base_.has_recursion, 0
	.set _ZN9rocsparseL19bsric0_17_32_kernelILi64ELi64ELi32EdEEv20rocsparse_direction_iiPKiS3_PT2_S3_PiS3_S6_21rocsparse_index_base_.has_indirect_call, 0
	.section	.AMDGPU.csdata,"",@progbits
; Kernel info:
; codeLenInByte = 3692
; TotalNumSgprs: 60
; NumVgprs: 30
; ScratchSize: 0
; MemoryBound: 0
; FloatMode: 240
; IeeeMode: 1
; LDSByteSize: 26112 bytes/workgroup (compile time only)
; SGPRBlocks: 12
; VGPRBlocks: 32
; NumSGPRsForWavesPerEU: 102
; NumVGPRsForWavesPerEU: 129
; Occupancy: 1
; WaveLimiterHint : 1
; COMPUTE_PGM_RSRC2:SCRATCH_EN: 0
; COMPUTE_PGM_RSRC2:USER_SGPR: 6
; COMPUTE_PGM_RSRC2:TRAP_HANDLER: 0
; COMPUTE_PGM_RSRC2:TGID_X_EN: 1
; COMPUTE_PGM_RSRC2:TGID_Y_EN: 0
; COMPUTE_PGM_RSRC2:TGID_Z_EN: 0
; COMPUTE_PGM_RSRC2:TIDIG_COMP_CNT: 1
	.section	.text._ZN9rocsparseL17bsric0_2_8_kernelILi64ELi128ELi8EdEEv20rocsparse_direction_iiPKiS3_PT2_S3_PiS3_S6_21rocsparse_index_base_,"axG",@progbits,_ZN9rocsparseL17bsric0_2_8_kernelILi64ELi128ELi8EdEEv20rocsparse_direction_iiPKiS3_PT2_S3_PiS3_S6_21rocsparse_index_base_,comdat
	.globl	_ZN9rocsparseL17bsric0_2_8_kernelILi64ELi128ELi8EdEEv20rocsparse_direction_iiPKiS3_PT2_S3_PiS3_S6_21rocsparse_index_base_ ; -- Begin function _ZN9rocsparseL17bsric0_2_8_kernelILi64ELi128ELi8EdEEv20rocsparse_direction_iiPKiS3_PT2_S3_PiS3_S6_21rocsparse_index_base_
	.p2align	8
	.type	_ZN9rocsparseL17bsric0_2_8_kernelILi64ELi128ELi8EdEEv20rocsparse_direction_iiPKiS3_PT2_S3_PiS3_S6_21rocsparse_index_base_,@function
_ZN9rocsparseL17bsric0_2_8_kernelILi64ELi128ELi8EdEEv20rocsparse_direction_iiPKiS3_PT2_S3_PiS3_S6_21rocsparse_index_base_: ; @_ZN9rocsparseL17bsric0_2_8_kernelILi64ELi128ELi8EdEEv20rocsparse_direction_iiPKiS3_PT2_S3_PiS3_S6_21rocsparse_index_base_
; %bb.0:
	s_load_dwordx8 s[8:15], s[4:5], 0x28
	s_mov_b32 s7, 0
	s_lshl_b64 s[0:1], s[6:7], 2
	s_waitcnt lgkmcnt(0)
	s_add_u32 s0, s12, s0
	s_addc_u32 s1, s13, s1
	s_load_dword s20, s[0:1], 0x0
	s_waitcnt lgkmcnt(0)
	s_ashr_i32 s21, s20, 31
	s_lshl_b64 s[12:13], s[20:21], 2
	s_add_u32 s0, s8, s12
	s_addc_u32 s1, s9, s13
	s_load_dword s40, s[0:1], 0x0
	s_load_dword s21, s[4:5], 0x48
	s_waitcnt lgkmcnt(0)
	s_cmp_lg_u32 s40, -1
	s_cbranch_scc0 .LBB35_76
; %bb.1:
	s_load_dwordx4 s[16:19], s[4:5], 0x10
	s_load_dwordx2 s[22:23], s[4:5], 0x20
	v_lshlrev_b32_e32 v15, 3, v1
	s_waitcnt lgkmcnt(0)
	s_add_u32 s0, s16, s12
	s_addc_u32 s1, s17, s13
	s_load_dword s0, s[0:1], 0x0
	s_waitcnt lgkmcnt(0)
	s_sub_i32 s41, s0, s21
	v_add3_u32 v2, v15, v0, s41
	v_cmp_ge_i32_e32 vcc, s40, v2
	s_and_saveexec_b64 s[0:1], vcc
	s_cbranch_execz .LBB35_4
; %bb.2:
	v_lshlrev_b32_e32 v3, 5, v1
	v_lshlrev_b32_e32 v4, 2, v0
	s_movk_i32 s2, 0xd00
	v_add3_u32 v5, v3, v4, s2
	v_ashrrev_i32_e32 v3, 31, v2
	v_lshlrev_b64 v[3:4], 2, v[2:3]
	v_mov_b32_e32 v6, s19
	v_add_co_u32_e32 v3, vcc, s18, v3
	v_addc_co_u32_e32 v4, vcc, v6, v4, vcc
	s_mov_b64 s[2:3], 0
.LBB35_3:                               ; =>This Inner Loop Header: Depth=1
	global_load_dword v6, v[3:4], off
	v_add_co_u32_e32 v3, vcc, 0x100, v3
	v_add_u32_e32 v2, 64, v2
	v_addc_co_u32_e32 v4, vcc, 0, v4, vcc
	v_cmp_lt_i32_e32 vcc, s40, v2
	s_or_b64 s[2:3], vcc, s[2:3]
	s_waitcnt vmcnt(0)
	v_subrev_u32_e32 v6, s21, v6
	ds_write_b32 v5, v6
	v_add_u32_e32 v5, 0x100, v5
	s_andn2_b64 exec, exec, s[2:3]
	s_cbranch_execnz .LBB35_3
.LBB35_4:
	s_or_b64 exec, exec, s[0:1]
	s_load_dword s42, s[4:5], 0x0
	s_load_dword s33, s[4:5], 0x8
	s_movk_i32 s6, 0x48
	v_mov_b32_e32 v2, 0x6c0
	v_mad_u32_u24 v16, v1, s6, v2
	v_mov_b32_e32 v2, 0
	v_lshl_add_u32 v14, v0, 3, v16
	v_mov_b32_e32 v3, v2
	s_cmp_ge_i32 s41, s40
	ds_write_b64 v14, v[2:3]
	s_waitcnt lgkmcnt(0)
	s_cbranch_scc1 .LBB35_57
; %bb.5:
	s_cmp_lg_u32 s42, 0
	s_cselect_b64 s[24:25], -1, 0
	s_cmp_eq_u32 s42, 0
	v_cmp_gt_i32_e64 s[0:1], s33, v0
	v_cmp_gt_i32_e64 s[2:3], s33, v1
	s_cselect_b64 vcc, -1, 0
	s_and_b64 s[26:27], s[0:1], s[2:3]
	v_mov_b32_e32 v3, 0x480
	v_mov_b32_e32 v5, 0x240
	v_mad_u32_u24 v17, v1, s6, v3
	v_lshlrev_b32_e32 v4, 3, v0
	s_cmp_gt_i32 s33, 0
	v_mul_lo_u32 v20, s33, v0
	v_mul_lo_u32 v21, s33, v1
	v_mad_u32_u24 v22, v1, s6, v5
	v_add_u32_e32 v18, v17, v4
	v_mad_u32_u24 v19, v1, s6, v4
	v_add_u32_e32 v23, v22, v4
	v_or_b32_e32 v4, v0, v1
	v_mad_u32_u24 v24, v0, s6, v3
	s_cselect_b64 s[6:7], -1, 0
	v_cmp_ne_u32_e64 s[4:5], 0, v4
	v_cndmask_b32_e64 v4, 0, 1, s[6:7]
	s_mul_i32 s43, s33, s33
	v_cndmask_b32_e32 v3, v1, v0, vcc
	v_cndmask_b32_e32 v25, v0, v1, vcc
	v_cmp_ne_u32_e64 s[6:7], 1, v4
	v_mov_b32_e32 v26, 0x3ff00000
	s_mov_b32 s28, s41
	s_branch .LBB35_7
.LBB35_6:                               ;   in Loop: Header=BB35_7 Depth=1
	s_or_b64 exec, exec, s[30:31]
	s_add_i32 s28, s28, 1
	s_cmp_ge_i32 s28, s40
	s_cselect_b64 s[30:31], -1, 0
	s_waitcnt vmcnt(0)
	buffer_wbinvl1_vol
	s_and_b64 vcc, exec, s[30:31]
	s_cbranch_vccnz .LBB35_57
.LBB35_7:                               ; =>This Loop Header: Depth=1
                                        ;     Child Loop BB35_12 Depth 2
                                        ;     Child Loop BB35_23 Depth 2
	;; [unrolled: 1-line block ×4, first 2 shown]
                                        ;       Child Loop BB35_53 Depth 3
	s_ashr_i32 s29, s28, 31
	s_lshl_b64 s[30:31], s[28:29], 2
	s_add_u32 s30, s18, s30
	s_addc_u32 s31, s19, s31
	s_load_dword s29, s[30:31], 0x0
	s_waitcnt lgkmcnt(0)
	s_sub_i32 s34, s29, s21
	s_ashr_i32 s35, s34, 31
	s_lshl_b64 s[30:31], s[34:35], 2
	s_add_u32 s36, s8, s30
	s_addc_u32 s37, s9, s31
	s_load_dword s35, s[36:37], 0x0
	s_waitcnt lgkmcnt(0)
	s_cmp_eq_u32 s35, -1
	s_cbranch_scc1 .LBB35_56
; %bb.8:                                ;   in Loop: Header=BB35_7 Depth=1
	s_add_u32 s36, s16, s30
	v_mov_b32_e32 v4, 0
	s_mul_i32 s38, s28, s33
	s_addc_u32 s37, s17, s31
	v_mov_b32_e32 v5, 0
	v_add_u32_e32 v27, s38, v25
	s_and_saveexec_b64 s[38:39], s[26:27]
	s_cbranch_execz .LBB35_10
; %bb.9:                                ;   in Loop: Header=BB35_7 Depth=1
	v_mad_u64_u32 v[4:5], s[44:45], v27, s33, v[3:4]
	v_mov_b32_e32 v6, s23
	v_ashrrev_i32_e32 v5, 31, v4
	v_lshlrev_b64 v[4:5], 3, v[4:5]
	v_add_co_u32_e32 v4, vcc, s22, v4
	v_addc_co_u32_e32 v5, vcc, v6, v5, vcc
	global_load_dwordx2 v[4:5], v[4:5], off
.LBB35_10:                              ;   in Loop: Header=BB35_7 Depth=1
	s_or_b64 exec, exec, s[38:39]
	s_load_dword s36, s[36:37], 0x0
	ds_read_b32 v6, v2 offset:3328
	s_mov_b32 s37, 0
	s_waitcnt vmcnt(0)
	ds_write_b64 v18, v[4:5]
	s_waitcnt lgkmcnt(0)
	s_sub_i32 s36, s36, s21
	s_cmp_le_i32 s36, s35
	v_cmp_ge_i32_e32 vcc, s34, v6
	s_cselect_b64 s[38:39], -1, 0
	s_and_b64 s[38:39], s[38:39], vcc
	s_andn2_b64 vcc, exec, s[38:39]
	s_cbranch_vccnz .LBB35_22
; %bb.11:                               ;   in Loop: Header=BB35_7 Depth=1
	s_mov_b32 s44, 0
	s_mov_b32 s45, 0
.LBB35_12:                              ;   Parent Loop BB35_7 Depth=1
                                        ; =>  This Inner Loop Header: Depth=2
	s_ashr_i32 s37, s36, 31
	s_lshl_b64 s[38:39], s[36:37], 2
	s_add_u32 s38, s18, s38
	s_addc_u32 s39, s19, s39
	s_load_dword s37, s[38:39], 0x0
	s_lshl_b32 s38, s45, 2
	v_mov_b32_e32 v4, s38
	ds_read_b32 v4, v4 offset:3328
	s_mov_b64 s[38:39], -1
	s_waitcnt lgkmcnt(0)
	s_sub_i32 s49, s37, s21
                                        ; implicit-def: $sgpr37
                                        ; implicit-def: $sgpr48
                                        ; implicit-def: $sgpr47
	v_cmp_ge_i32_e32 vcc, s49, v4
	v_readfirstlane_b32 s46, v4
	s_cbranch_vccz .LBB35_18
; %bb.13:                               ;   in Loop: Header=BB35_12 Depth=2
	s_cmp_le_i32 s49, s46
                                        ; implicit-def: $sgpr37
                                        ; implicit-def: $sgpr48
                                        ; implicit-def: $sgpr47
	s_cbranch_scc0 .LBB35_15
; %bb.14:                               ;   in Loop: Header=BB35_12 Depth=2
	s_add_i32 s37, s45, s41
	s_mul_i32 s37, s37, s43
	s_lshl_b32 s38, s44, 2
	v_mov_b32_e32 v5, s37
	s_mul_i32 s37, s36, s43
	v_mov_b32_e32 v4, s38
	v_mov_b32_e32 v6, s37
	ds_write2st64_b32 v4, v6, v5 offset0:9 offset1:11
	s_add_i32 s47, s45, 1
	s_add_i32 s48, s36, 1
	;; [unrolled: 1-line block ×3, first 2 shown]
	s_mov_b64 s[38:39], 0
.LBB35_15:                              ;   in Loop: Header=BB35_12 Depth=2
	s_andn2_b64 vcc, exec, s[38:39]
	s_cbranch_vccnz .LBB35_17
; %bb.16:                               ;   in Loop: Header=BB35_12 Depth=2
	s_add_i32 s47, s45, 1
	s_mov_b32 s37, s44
	s_mov_b32 s48, s36
.LBB35_17:                              ;   in Loop: Header=BB35_12 Depth=2
	s_mov_b64 s[38:39], 0
.LBB35_18:                              ;   in Loop: Header=BB35_12 Depth=2
	s_andn2_b64 vcc, exec, s[38:39]
	s_cbranch_vccnz .LBB35_20
; %bb.19:                               ;   in Loop: Header=BB35_12 Depth=2
	s_add_i32 s48, s36, 1
	s_mov_b32 s47, s45
	s_mov_b32 s37, s44
.LBB35_20:                              ;   in Loop: Header=BB35_12 Depth=2
	s_cmp_le_i32 s48, s35
	s_cselect_b64 s[38:39], -1, 0
	s_cmp_le_i32 s46, s34
	s_cselect_b64 s[44:45], -1, 0
	s_and_b64 s[38:39], s[38:39], s[44:45]
	s_and_b64 vcc, exec, s[38:39]
	s_cbranch_vccz .LBB35_22
; %bb.21:                               ;   in Loop: Header=BB35_12 Depth=2
	s_mov_b32 s44, s37
	s_mov_b32 s36, s48
	;; [unrolled: 1-line block ×3, first 2 shown]
	s_branch .LBB35_12
.LBB35_22:                              ;   in Loop: Header=BB35_7 Depth=1
	s_add_u32 s30, s10, s30
	s_addc_u32 s31, s11, s31
	s_waitcnt lgkmcnt(0)
.LBB35_23:                              ;   Parent Loop BB35_7 Depth=1
                                        ; =>  This Inner Loop Header: Depth=2
	global_load_dword v4, v2, s[30:31] glc
	s_waitcnt vmcnt(0)
	v_cmp_eq_u32_e32 vcc, 0, v4
	s_cbranch_vccnz .LBB35_23
; %bb.24:                               ;   in Loop: Header=BB35_7 Depth=1
	v_mov_b32_e32 v9, 0
	v_mov_b32_e32 v4, 0
	;; [unrolled: 1-line block ×4, first 2 shown]
	buffer_wbinvl1_vol
	s_and_saveexec_b64 s[30:31], s[26:27]
	s_cbranch_execz .LBB35_26
; %bb.25:                               ;   in Loop: Header=BB35_7 Depth=1
	s_mul_i32 s35, s35, s33
	v_add_u32_e32 v4, s35, v25
	v_mad_u64_u32 v[4:5], s[34:35], v4, s33, v[3:4]
	v_mov_b32_e32 v6, s23
	v_ashrrev_i32_e32 v5, 31, v4
	v_lshlrev_b64 v[4:5], 3, v[4:5]
	v_add_co_u32_e32 v4, vcc, s22, v4
	v_addc_co_u32_e32 v5, vcc, v6, v5, vcc
	global_load_dwordx2 v[4:5], v[4:5], off
.LBB35_26:                              ;   in Loop: Header=BB35_7 Depth=1
	s_or_b64 exec, exec, s[30:31]
	s_cmp_lt_i32 s37, 2
	s_waitcnt vmcnt(0)
	ds_write_b64 v19, v[4:5]
	s_waitcnt lgkmcnt(0)
	s_cbranch_scc1 .LBB35_45
; %bb.27:                               ;   in Loop: Header=BB35_7 Depth=1
	v_mov_b32_e32 v4, 0
	s_add_i32 s34, s37, -2
	v_mov_b32_e32 v5, 0
	s_mov_b32 s35, 0
	s_and_b64 vcc, exec, s[6:7]
	s_cbranch_vccz .LBB35_30
	s_branch .LBB35_29
.LBB35_28:                              ;   in Loop: Header=BB35_7 Depth=1
	v_mov_b32_e32 v4, v9
	v_mov_b32_e32 v5, v10
	s_mov_b32 s35, s30
	s_and_b64 vcc, exec, s[6:7]
	s_cbranch_vccz .LBB35_30
.LBB35_29:                              ;   in Loop: Header=BB35_7 Depth=1
	v_mov_b32_e32 v10, v5
	v_mov_b32_e32 v9, v4
	s_branch .LBB35_44
.LBB35_30:                              ;   in Loop: Header=BB35_7 Depth=1
	s_lshl_b32 s30, s35, 2
	v_mov_b32_e32 v6, s30
	ds_read2st64_b32 v[7:8], v6 offset0:9 offset1:11
	s_mov_b32 s36, 0
	s_waitcnt lgkmcnt(0)
	v_add_u32_e32 v28, v7, v20
	v_add_u32_e32 v29, v8, v21
	;; [unrolled: 1-line block ×4, first 2 shown]
	s_mov_b64 s[30:31], -1
	s_and_b64 vcc, exec, s[24:25]
                                        ; implicit-def: $vgpr9_vgpr10
	s_cbranch_vccz .LBB35_37
	s_branch .LBB35_32
.LBB35_31:                              ;   in Loop: Header=BB35_37 Depth=2
	v_mov_b32_e32 v4, v9
	v_mov_b32_e32 v5, v10
	s_mov_b64 s[30:31], -1
	s_and_b64 vcc, exec, s[24:25]
                                        ; implicit-def: $vgpr9_vgpr10
	s_cbranch_vccz .LBB35_37
.LBB35_32:                              ;   in Loop: Header=BB35_7 Depth=1
	v_mov_b32_e32 v10, 0
	v_mov_b32_e32 v12, 0
	;; [unrolled: 1-line block ×4, first 2 shown]
	s_and_saveexec_b64 s[30:31], s[0:1]
	s_cbranch_execz .LBB35_34
; %bb.33:                               ;   in Loop: Header=BB35_7 Depth=1
	v_ashrrev_i32_e32 v9, 31, v8
	v_lshlrev_b64 v[12:13], 3, v[8:9]
	v_mov_b32_e32 v7, s23
	v_add_co_u32_e32 v12, vcc, s22, v12
	v_addc_co_u32_e32 v13, vcc, v7, v13, vcc
	global_load_dwordx2 v[12:13], v[12:13], off
.LBB35_34:                              ;   in Loop: Header=BB35_7 Depth=1
	s_or_b64 exec, exec, s[30:31]
	s_and_saveexec_b64 s[30:31], s[2:3]
	s_cbranch_execz .LBB35_36
; %bb.35:                               ;   in Loop: Header=BB35_7 Depth=1
	v_ashrrev_i32_e32 v7, 31, v6
	v_lshlrev_b64 v[9:10], 3, v[6:7]
	v_mov_b32_e32 v7, s23
	v_add_co_u32_e32 v9, vcc, s22, v9
	v_addc_co_u32_e32 v10, vcc, v7, v10, vcc
	global_load_dwordx2 v[10:11], v[9:10], off
.LBB35_36:                              ;   in Loop: Header=BB35_7 Depth=1
	s_or_b64 exec, exec, s[30:31]
	s_waitcnt vmcnt(0)
	v_fma_f64 v[9:10], v[12:13], v[10:11], v[4:5]
	s_mov_b64 s[30:31], 0
.LBB35_37:                              ;   Parent Loop BB35_7 Depth=1
                                        ; =>  This Inner Loop Header: Depth=2
	s_and_b64 vcc, exec, s[30:31]
	s_cbranch_vccz .LBB35_43
; %bb.38:                               ;   in Loop: Header=BB35_37 Depth=2
	v_mov_b32_e32 v9, 0
	v_mov_b32_e32 v11, 0
	v_mov_b32_e32 v10, 0
	v_mov_b32_e32 v12, 0
	s_and_saveexec_b64 s[30:31], s[0:1]
	s_cbranch_execz .LBB35_40
; %bb.39:                               ;   in Loop: Header=BB35_37 Depth=2
	v_add_u32_e32 v11, s36, v28
	v_ashrrev_i32_e32 v12, 31, v11
	v_lshlrev_b64 v[11:12], 3, v[11:12]
	v_mov_b32_e32 v7, s23
	v_add_co_u32_e32 v11, vcc, s22, v11
	v_addc_co_u32_e32 v12, vcc, v7, v12, vcc
	global_load_dwordx2 v[11:12], v[11:12], off
.LBB35_40:                              ;   in Loop: Header=BB35_37 Depth=2
	s_or_b64 exec, exec, s[30:31]
	s_and_saveexec_b64 s[30:31], s[2:3]
	s_cbranch_execz .LBB35_42
; %bb.41:                               ;   in Loop: Header=BB35_37 Depth=2
	v_add_u32_e32 v9, s36, v29
	v_ashrrev_i32_e32 v10, 31, v9
	v_lshlrev_b64 v[9:10], 3, v[9:10]
	v_mov_b32_e32 v7, s23
	v_add_co_u32_e32 v9, vcc, s22, v9
	v_addc_co_u32_e32 v10, vcc, v7, v10, vcc
	global_load_dwordx2 v[9:10], v[9:10], off
.LBB35_42:                              ;   in Loop: Header=BB35_37 Depth=2
	s_or_b64 exec, exec, s[30:31]
	s_waitcnt vmcnt(0)
	v_fma_f64 v[9:10], v[11:12], v[9:10], v[4:5]
.LBB35_43:                              ;   in Loop: Header=BB35_37 Depth=2
	s_add_i32 s36, s36, 1
	v_add_u32_e32 v6, s33, v6
	s_cmp_eq_u32 s33, s36
	v_add_u32_e32 v8, s33, v8
	s_cbranch_scc0 .LBB35_31
.LBB35_44:                              ;   in Loop: Header=BB35_7 Depth=1
	s_add_i32 s30, s35, 1
	s_cmp_eq_u32 s35, s34
	s_cbranch_scc0 .LBB35_28
.LBB35_45:                              ;   in Loop: Header=BB35_7 Depth=1
	s_and_b64 vcc, exec, s[6:7]
	ds_write_b64 v23, v[9:10]
	s_waitcnt lgkmcnt(0)
	s_cbranch_vccnz .LBB35_54
; %bb.46:                               ;   in Loop: Header=BB35_7 Depth=1
	s_mov_b32 s36, 0
	s_mov_b32 s37, 0
	s_branch .LBB35_48
.LBB35_47:                              ;   in Loop: Header=BB35_48 Depth=2
	s_waitcnt lgkmcnt(0)
	v_add_f64 v[4:5], v[4:5], -v[8:9]
	s_addk_i32 s36, 0x48
	v_div_scale_f64 v[8:9], s[30:31], v[6:7], v[6:7], v[4:5]
	v_rcp_f64_e32 v[11:12], v[8:9]
	v_fma_f64 v[28:29], -v[8:9], v[11:12], 1.0
	v_fma_f64 v[11:12], v[11:12], v[28:29], v[11:12]
	v_div_scale_f64 v[28:29], vcc, v[4:5], v[6:7], v[4:5]
	v_fma_f64 v[30:31], -v[8:9], v[11:12], 1.0
	v_fma_f64 v[11:12], v[11:12], v[30:31], v[11:12]
	v_mul_f64 v[30:31], v[28:29], v[11:12]
	v_fma_f64 v[8:9], -v[8:9], v[30:31], v[28:29]
	v_div_fmas_f64 v[8:9], v[8:9], v[11:12], v[30:31]
	v_div_fixup_f64 v[4:5], v[8:9], v[6:7], v[4:5]
	v_lshl_add_u32 v6, s37, 3, v24
	s_add_i32 s37, s37, 1
	s_cmp_eq_u32 s37, s33
	ds_write_b64 v10, v[4:5]
	s_waitcnt lgkmcnt(0)
	ds_read_b64 v[6:7], v6
	ds_read_b64 v[8:9], v14
	s_waitcnt lgkmcnt(0)
	v_fma_f64 v[4:5], v[4:5], v[6:7], v[8:9]
	ds_write_b64 v14, v[4:5]
	s_waitcnt lgkmcnt(0)
	s_cbranch_scc1 .LBB35_54
.LBB35_48:                              ;   Parent Loop BB35_7 Depth=1
                                        ; =>  This Loop Header: Depth=2
                                        ;       Child Loop BB35_53 Depth 3
	s_lshl_b32 s30, s37, 3
	s_mul_i32 s31, s37, 0x48
	s_add_i32 s31, s31, s30
	v_mov_b32_e32 v4, s31
	ds_read_b64 v[6:7], v4
	v_add_u32_e32 v10, s30, v17
	ds_read_b64 v[4:5], v10
	s_waitcnt lgkmcnt(1)
	v_cmp_neq_f64_e32 vcc, 0, v[6:7]
	v_cndmask_b32_e32 v7, v26, v7, vcc
	s_nor_b64 s[34:35], vcc, s[4:5]
	v_cndmask_b32_e32 v6, 0, v6, vcc
	s_and_saveexec_b64 s[30:31], s[34:35]
	s_cbranch_execz .LBB35_52
; %bb.49:                               ;   in Loop: Header=BB35_48 Depth=2
	v_mbcnt_lo_u32_b32 v6, exec_lo, 0
	v_mbcnt_hi_u32_b32 v6, exec_hi, v6
	v_cmp_eq_u32_e32 vcc, 0, v6
	s_and_saveexec_b64 s[34:35], vcc
	s_cbranch_execz .LBB35_51
; %bb.50:                               ;   in Loop: Header=BB35_48 Depth=2
	v_mov_b32_e32 v6, s29
	global_atomic_smin v2, v6, s[14:15]
.LBB35_51:                              ;   in Loop: Header=BB35_48 Depth=2
	s_or_b64 exec, exec, s[34:35]
	v_mov_b32_e32 v6, 0
	v_mov_b32_e32 v7, 0x3ff00000
.LBB35_52:                              ;   in Loop: Header=BB35_48 Depth=2
	s_or_b64 exec, exec, s[30:31]
	v_lshl_add_u32 v8, s37, 3, v22
	ds_read_b64 v[8:9], v8
	s_cmp_eq_u32 s37, 0
	v_mov_b32_e32 v11, v17
	s_mov_b32 s30, s36
	s_mov_b32 s31, s37
	s_cbranch_scc1 .LBB35_47
.LBB35_53:                              ;   Parent Loop BB35_7 Depth=1
                                        ;     Parent Loop BB35_48 Depth=2
                                        ; =>    This Inner Loop Header: Depth=3
	v_mov_b32_e32 v28, s30
	ds_read_b64 v[12:13], v11
	ds_read_b64 v[28:29], v28
	s_add_i32 s31, s31, -1
	s_add_i32 s30, s30, 8
	s_cmp_eq_u32 s31, 0
	v_add_u32_e32 v11, 8, v11
	s_waitcnt lgkmcnt(0)
	v_fma_f64 v[8:9], v[28:29], v[12:13], v[8:9]
	s_cbranch_scc0 .LBB35_53
	s_branch .LBB35_47
.LBB35_54:                              ;   in Loop: Header=BB35_7 Depth=1
	s_and_saveexec_b64 s[30:31], s[26:27]
	s_cbranch_execz .LBB35_6
; %bb.55:                               ;   in Loop: Header=BB35_7 Depth=1
	v_mad_u64_u32 v[4:5], s[34:35], v27, s33, v[3:4]
	ds_read_b64 v[6:7], v18
	v_mov_b32_e32 v8, s23
	v_ashrrev_i32_e32 v5, 31, v4
	v_lshlrev_b64 v[4:5], 3, v[4:5]
	v_add_co_u32_e32 v4, vcc, s22, v4
	v_addc_co_u32_e32 v5, vcc, v8, v5, vcc
	s_waitcnt lgkmcnt(0)
	global_store_dwordx2 v[4:5], v[6:7], off
	s_branch .LBB35_6
.LBB35_56:                              ;   in Loop: Header=BB35_7 Depth=1
                                        ; implicit-def: $sgpr28
	s_cbranch_execz .LBB35_7
.LBB35_57:
	s_cmp_eq_u32 s42, 0
	s_cselect_b64 vcc, -1, 0
	v_max_i32_e32 v2, v0, v1
	v_mov_b32_e32 v3, 0
	v_cndmask_b32_e32 v5, v0, v1, vcc
	s_mul_i32 s40, s40, s33
	v_cmp_gt_i32_e64 s[0:1], s33, v2
	v_mov_b32_e32 v4, 0
	v_cndmask_b32_e32 v2, v1, v0, vcc
	v_add_u32_e32 v5, s40, v5
	s_and_saveexec_b64 s[2:3], s[0:1]
	s_cbranch_execz .LBB35_59
; %bb.58:
	v_mad_u64_u32 v[3:4], s[4:5], v5, s33, v[2:3]
	v_mov_b32_e32 v6, s23
	v_ashrrev_i32_e32 v4, 31, v3
	v_lshlrev_b64 v[3:4], 3, v[3:4]
	v_add_co_u32_e32 v3, vcc, s22, v3
	v_addc_co_u32_e32 v4, vcc, v6, v4, vcc
	global_load_dwordx2 v[3:4], v[3:4], off
.LBB35_59:
	s_or_b64 exec, exec, s[2:3]
	s_movk_i32 s4, 0x48
	v_mov_b32_e32 v10, 0x480
	v_mad_u32_u24 v7, v1, s4, v10
	s_movk_i32 s16, 0x480
	v_lshl_add_u32 v6, v0, 3, v7
	s_cmp_lt_i32 s33, 1
	s_waitcnt vmcnt(0)
	ds_write_b64 v6, v[3:4]
	s_waitcnt lgkmcnt(0)
	s_cbranch_scc1 .LBB35_70
; %bb.60:
	v_or_b32_e32 v3, v0, v1
	v_mad_u32_u24 v10, v0, s4, v10
	s_mov_b32 s4, 0
	s_mov_b32 s17, 0
	v_cmp_ne_u32_e64 s[2:3], 0, v3
	s_add_i32 s18, s20, s21
	v_add_u32_e32 v8, v7, v15
	v_add_u32_e32 v9, v16, v15
	s_brev_b32 s5, 8
	v_mov_b32_e32 v11, 0x260
	v_mov_b32_e32 v12, 0x3ff00000
	;; [unrolled: 1-line block ×5, first 2 shown]
	s_branch .LBB35_62
.LBB35_61:                              ;   in Loop: Header=BB35_62 Depth=1
	s_or_b64 exec, exec, s[6:7]
	s_add_i32 s17, s17, 1
	s_addk_i32 s16, 0x50
	v_add_u32_e32 v7, 8, v7
	s_cmp_eq_u32 s33, s17
	v_add_u32_e32 v10, 8, v10
	s_waitcnt lgkmcnt(0)
	s_cbranch_scc1 .LBB35_70
.LBB35_62:                              ; =>This Inner Loop Header: Depth=1
	v_cmp_eq_u32_e32 vcc, s17, v1
	s_and_saveexec_b64 s[6:7], vcc
	s_cbranch_execz .LBB35_64
; %bb.63:                               ;   in Loop: Header=BB35_62 Depth=1
	ds_read_b64 v[3:4], v8
	ds_read_b64 v[17:18], v9
	s_waitcnt lgkmcnt(0)
	v_add_f64 v[3:4], v[3:4], -v[17:18]
	v_cmp_gt_f64_e32 vcc, 0, v[3:4]
	v_xor_b32_e32 v17, 0x80000000, v4
	v_cndmask_b32_e32 v4, v4, v17, vcc
	v_cmp_gt_f64_e32 vcc, s[4:5], v[3:4]
	v_cndmask_b32_e32 v17, 0, v15, vcc
	v_ldexp_f64 v[3:4], v[3:4], v17
	v_rsq_f64_e32 v[17:18], v[3:4]
	v_mul_f64 v[19:20], v[3:4], v[17:18]
	v_mul_f64 v[17:18], v[17:18], 0.5
	v_fma_f64 v[21:22], -v[17:18], v[19:20], 0.5
	v_fma_f64 v[19:20], v[19:20], v[21:22], v[19:20]
	v_fma_f64 v[17:18], v[17:18], v[21:22], v[17:18]
	v_fma_f64 v[21:22], -v[19:20], v[19:20], v[3:4]
	v_fma_f64 v[19:20], v[21:22], v[17:18], v[19:20]
	v_fma_f64 v[21:22], -v[19:20], v[19:20], v[3:4]
	v_fma_f64 v[17:18], v[21:22], v[17:18], v[19:20]
	v_cndmask_b32_e32 v19, 0, v16, vcc
	v_cmp_class_f64_e32 vcc, v[3:4], v11
	v_ldexp_f64 v[17:18], v[17:18], v19
	v_cndmask_b32_e32 v4, v18, v4, vcc
	v_cndmask_b32_e32 v3, v17, v3, vcc
	ds_write_b64 v8, v[3:4]
.LBB35_64:                              ;   in Loop: Header=BB35_62 Depth=1
	s_or_b64 exec, exec, s[6:7]
	v_mov_b32_e32 v3, s16
	s_waitcnt lgkmcnt(0)
	ds_read_b64 v[3:4], v3
	s_waitcnt lgkmcnt(0)
	v_cmp_neq_f64_e32 vcc, 0, v[3:4]
	v_cndmask_b32_e32 v4, v12, v4, vcc
	s_nor_b64 s[8:9], vcc, s[2:3]
	v_cndmask_b32_e32 v3, 0, v3, vcc
	s_and_saveexec_b64 s[6:7], s[8:9]
	s_cbranch_execz .LBB35_68
; %bb.65:                               ;   in Loop: Header=BB35_62 Depth=1
	v_mbcnt_lo_u32_b32 v3, exec_lo, 0
	v_mbcnt_hi_u32_b32 v3, exec_hi, v3
	v_cmp_eq_u32_e32 vcc, 0, v3
	s_and_saveexec_b64 s[8:9], vcc
	s_cbranch_execz .LBB35_67
; %bb.66:                               ;   in Loop: Header=BB35_62 Depth=1
	v_mov_b32_e32 v3, s18
	global_atomic_smin v13, v3, s[14:15]
.LBB35_67:                              ;   in Loop: Header=BB35_62 Depth=1
	s_or_b64 exec, exec, s[8:9]
	v_mov_b32_e32 v3, 0
	v_mov_b32_e32 v4, 0x3ff00000
.LBB35_68:                              ;   in Loop: Header=BB35_62 Depth=1
	s_or_b64 exec, exec, s[6:7]
	v_cmp_lt_u32_e32 vcc, s17, v1
	s_and_saveexec_b64 s[6:7], vcc
	s_cbranch_execz .LBB35_61
; %bb.69:                               ;   in Loop: Header=BB35_62 Depth=1
	ds_read2_b64 v[17:20], v7 offset1:72
	s_waitcnt lgkmcnt(0)
	v_add_f64 v[17:18], v[17:18], -v[19:20]
	v_div_scale_f64 v[19:20], s[8:9], v[3:4], v[3:4], v[17:18]
	v_rcp_f64_e32 v[21:22], v[19:20]
	v_fma_f64 v[23:24], -v[19:20], v[21:22], 1.0
	v_fma_f64 v[21:22], v[21:22], v[23:24], v[21:22]
	v_div_scale_f64 v[23:24], vcc, v[17:18], v[3:4], v[17:18]
	v_fma_f64 v[25:26], -v[19:20], v[21:22], 1.0
	v_fma_f64 v[21:22], v[21:22], v[25:26], v[21:22]
	v_mul_f64 v[25:26], v[23:24], v[21:22]
	v_fma_f64 v[19:20], -v[19:20], v[25:26], v[23:24]
	v_div_fmas_f64 v[19:20], v[19:20], v[21:22], v[25:26]
	v_div_fixup_f64 v[3:4], v[19:20], v[3:4], v[17:18]
	ds_write_b64 v7, v[3:4]
	s_waitcnt lgkmcnt(0)
	ds_read_b64 v[17:18], v10
	ds_read_b64 v[19:20], v14
	s_waitcnt lgkmcnt(0)
	v_fma_f64 v[3:4], v[3:4], v[17:18], v[19:20]
	ds_write_b64 v14, v[3:4]
	s_branch .LBB35_61
.LBB35_70:
	s_and_saveexec_b64 s[2:3], s[0:1]
	s_cbranch_execz .LBB35_72
; %bb.71:
	v_mad_u64_u32 v[2:3], s[0:1], v5, s33, v[2:3]
	ds_read_b64 v[4:5], v6
	v_mov_b32_e32 v6, s23
	v_ashrrev_i32_e32 v3, 31, v2
	v_lshlrev_b64 v[2:3], 3, v[2:3]
	v_add_co_u32_e32 v2, vcc, s22, v2
	v_addc_co_u32_e32 v3, vcc, v6, v3, vcc
	s_waitcnt lgkmcnt(0)
	global_store_dwordx2 v[2:3], v[4:5], off
.LBB35_72:
	s_or_b64 exec, exec, s[2:3]
	v_or_b32_e32 v2, v0, v1
	v_cmp_eq_u32_e32 vcc, 0, v2
	s_and_saveexec_b64 s[0:1], vcc
	s_cbranch_execz .LBB35_74
; %bb.73:
	s_add_u32 s2, s10, s12
	s_addc_u32 s3, s11, s13
	v_mov_b32_e32 v2, 0
	v_mov_b32_e32 v3, 1
	s_waitcnt vmcnt(0)
	global_store_dword v2, v3, s[2:3]
.LBB35_74:
	s_or_b64 exec, exec, s[0:1]
.LBB35_75:
	s_endpgm
.LBB35_76:
	s_cbranch_execz .LBB35_75
; %bb.77:
	v_or_b32_e32 v0, v0, v1
	v_cmp_eq_u32_e32 vcc, 0, v0
	s_and_saveexec_b64 s[0:1], vcc
	s_cbranch_execz .LBB35_75
; %bb.78:
	v_mbcnt_lo_u32_b32 v0, exec_lo, 0
	v_mbcnt_hi_u32_b32 v0, exec_hi, v0
	v_cmp_eq_u32_e32 vcc, 0, v0
	s_and_saveexec_b64 s[0:1], vcc
	s_cbranch_execz .LBB35_80
; %bb.79:
	s_add_i32 s2, s20, s21
	v_mov_b32_e32 v0, 0
	v_mov_b32_e32 v1, s2
	global_atomic_smin v0, v1, s[14:15]
.LBB35_80:
	s_or_b64 exec, exec, s[0:1]
	s_add_u32 s0, s10, s12
	s_addc_u32 s1, s11, s13
	v_mov_b32_e32 v0, 0
	v_mov_b32_e32 v1, 1
	s_waitcnt vmcnt(0)
	global_store_dword v0, v1, s[0:1]
	s_endpgm
	.section	.rodata,"a",@progbits
	.p2align	6, 0x0
	.amdhsa_kernel _ZN9rocsparseL17bsric0_2_8_kernelILi64ELi128ELi8EdEEv20rocsparse_direction_iiPKiS3_PT2_S3_PiS3_S6_21rocsparse_index_base_
		.amdhsa_group_segment_fixed_size 3840
		.amdhsa_private_segment_fixed_size 0
		.amdhsa_kernarg_size 76
		.amdhsa_user_sgpr_count 6
		.amdhsa_user_sgpr_private_segment_buffer 1
		.amdhsa_user_sgpr_dispatch_ptr 0
		.amdhsa_user_sgpr_queue_ptr 0
		.amdhsa_user_sgpr_kernarg_segment_ptr 1
		.amdhsa_user_sgpr_dispatch_id 0
		.amdhsa_user_sgpr_flat_scratch_init 0
		.amdhsa_user_sgpr_private_segment_size 0
		.amdhsa_uses_dynamic_stack 0
		.amdhsa_system_sgpr_private_segment_wavefront_offset 0
		.amdhsa_system_sgpr_workgroup_id_x 1
		.amdhsa_system_sgpr_workgroup_id_y 0
		.amdhsa_system_sgpr_workgroup_id_z 0
		.amdhsa_system_sgpr_workgroup_info 0
		.amdhsa_system_vgpr_workitem_id 1
		.amdhsa_next_free_vgpr 41
		.amdhsa_next_free_sgpr 98
		.amdhsa_reserve_vcc 1
		.amdhsa_reserve_flat_scratch 0
		.amdhsa_float_round_mode_32 0
		.amdhsa_float_round_mode_16_64 0
		.amdhsa_float_denorm_mode_32 3
		.amdhsa_float_denorm_mode_16_64 3
		.amdhsa_dx10_clamp 1
		.amdhsa_ieee_mode 1
		.amdhsa_fp16_overflow 0
		.amdhsa_exception_fp_ieee_invalid_op 0
		.amdhsa_exception_fp_denorm_src 0
		.amdhsa_exception_fp_ieee_div_zero 0
		.amdhsa_exception_fp_ieee_overflow 0
		.amdhsa_exception_fp_ieee_underflow 0
		.amdhsa_exception_fp_ieee_inexact 0
		.amdhsa_exception_int_div_zero 0
	.end_amdhsa_kernel
	.section	.text._ZN9rocsparseL17bsric0_2_8_kernelILi64ELi128ELi8EdEEv20rocsparse_direction_iiPKiS3_PT2_S3_PiS3_S6_21rocsparse_index_base_,"axG",@progbits,_ZN9rocsparseL17bsric0_2_8_kernelILi64ELi128ELi8EdEEv20rocsparse_direction_iiPKiS3_PT2_S3_PiS3_S6_21rocsparse_index_base_,comdat
.Lfunc_end35:
	.size	_ZN9rocsparseL17bsric0_2_8_kernelILi64ELi128ELi8EdEEv20rocsparse_direction_iiPKiS3_PT2_S3_PiS3_S6_21rocsparse_index_base_, .Lfunc_end35-_ZN9rocsparseL17bsric0_2_8_kernelILi64ELi128ELi8EdEEv20rocsparse_direction_iiPKiS3_PT2_S3_PiS3_S6_21rocsparse_index_base_
                                        ; -- End function
	.set _ZN9rocsparseL17bsric0_2_8_kernelILi64ELi128ELi8EdEEv20rocsparse_direction_iiPKiS3_PT2_S3_PiS3_S6_21rocsparse_index_base_.num_vgpr, 32
	.set _ZN9rocsparseL17bsric0_2_8_kernelILi64ELi128ELi8EdEEv20rocsparse_direction_iiPKiS3_PT2_S3_PiS3_S6_21rocsparse_index_base_.num_agpr, 0
	.set _ZN9rocsparseL17bsric0_2_8_kernelILi64ELi128ELi8EdEEv20rocsparse_direction_iiPKiS3_PT2_S3_PiS3_S6_21rocsparse_index_base_.numbered_sgpr, 50
	.set _ZN9rocsparseL17bsric0_2_8_kernelILi64ELi128ELi8EdEEv20rocsparse_direction_iiPKiS3_PT2_S3_PiS3_S6_21rocsparse_index_base_.num_named_barrier, 0
	.set _ZN9rocsparseL17bsric0_2_8_kernelILi64ELi128ELi8EdEEv20rocsparse_direction_iiPKiS3_PT2_S3_PiS3_S6_21rocsparse_index_base_.private_seg_size, 0
	.set _ZN9rocsparseL17bsric0_2_8_kernelILi64ELi128ELi8EdEEv20rocsparse_direction_iiPKiS3_PT2_S3_PiS3_S6_21rocsparse_index_base_.uses_vcc, 1
	.set _ZN9rocsparseL17bsric0_2_8_kernelILi64ELi128ELi8EdEEv20rocsparse_direction_iiPKiS3_PT2_S3_PiS3_S6_21rocsparse_index_base_.uses_flat_scratch, 0
	.set _ZN9rocsparseL17bsric0_2_8_kernelILi64ELi128ELi8EdEEv20rocsparse_direction_iiPKiS3_PT2_S3_PiS3_S6_21rocsparse_index_base_.has_dyn_sized_stack, 0
	.set _ZN9rocsparseL17bsric0_2_8_kernelILi64ELi128ELi8EdEEv20rocsparse_direction_iiPKiS3_PT2_S3_PiS3_S6_21rocsparse_index_base_.has_recursion, 0
	.set _ZN9rocsparseL17bsric0_2_8_kernelILi64ELi128ELi8EdEEv20rocsparse_direction_iiPKiS3_PT2_S3_PiS3_S6_21rocsparse_index_base_.has_indirect_call, 0
	.section	.AMDGPU.csdata,"",@progbits
; Kernel info:
; codeLenInByte = 2976
; TotalNumSgprs: 54
; NumVgprs: 32
; ScratchSize: 0
; MemoryBound: 0
; FloatMode: 240
; IeeeMode: 1
; LDSByteSize: 3840 bytes/workgroup (compile time only)
; SGPRBlocks: 12
; VGPRBlocks: 10
; NumSGPRsForWavesPerEU: 102
; NumVGPRsForWavesPerEU: 41
; Occupancy: 5
; WaveLimiterHint : 1
; COMPUTE_PGM_RSRC2:SCRATCH_EN: 0
; COMPUTE_PGM_RSRC2:USER_SGPR: 6
; COMPUTE_PGM_RSRC2:TRAP_HANDLER: 0
; COMPUTE_PGM_RSRC2:TGID_X_EN: 1
; COMPUTE_PGM_RSRC2:TGID_Y_EN: 0
; COMPUTE_PGM_RSRC2:TGID_Z_EN: 0
; COMPUTE_PGM_RSRC2:TIDIG_COMP_CNT: 1
	.section	.text._ZN9rocsparseL18bsric0_9_16_kernelILi64ELi128ELi16EdEEv20rocsparse_direction_iiPKiS3_PT2_S3_PiS3_S6_21rocsparse_index_base_,"axG",@progbits,_ZN9rocsparseL18bsric0_9_16_kernelILi64ELi128ELi16EdEEv20rocsparse_direction_iiPKiS3_PT2_S3_PiS3_S6_21rocsparse_index_base_,comdat
	.globl	_ZN9rocsparseL18bsric0_9_16_kernelILi64ELi128ELi16EdEEv20rocsparse_direction_iiPKiS3_PT2_S3_PiS3_S6_21rocsparse_index_base_ ; -- Begin function _ZN9rocsparseL18bsric0_9_16_kernelILi64ELi128ELi16EdEEv20rocsparse_direction_iiPKiS3_PT2_S3_PiS3_S6_21rocsparse_index_base_
	.p2align	8
	.type	_ZN9rocsparseL18bsric0_9_16_kernelILi64ELi128ELi16EdEEv20rocsparse_direction_iiPKiS3_PT2_S3_PiS3_S6_21rocsparse_index_base_,@function
_ZN9rocsparseL18bsric0_9_16_kernelILi64ELi128ELi16EdEEv20rocsparse_direction_iiPKiS3_PT2_S3_PiS3_S6_21rocsparse_index_base_: ; @_ZN9rocsparseL18bsric0_9_16_kernelILi64ELi128ELi16EdEEv20rocsparse_direction_iiPKiS3_PT2_S3_PiS3_S6_21rocsparse_index_base_
; %bb.0:
	s_load_dwordx8 s[8:15], s[4:5], 0x28
	s_mov_b32 s7, 0
	s_lshl_b64 s[0:1], s[6:7], 2
	s_waitcnt lgkmcnt(0)
	s_add_u32 s0, s12, s0
	s_addc_u32 s1, s13, s1
	s_load_dword s12, s[0:1], 0x0
	s_waitcnt lgkmcnt(0)
	s_ashr_i32 s13, s12, 31
	s_lshl_b64 s[6:7], s[12:13], 2
	s_add_u32 s0, s8, s6
	s_addc_u32 s1, s9, s7
	s_load_dword s33, s[0:1], 0x0
	s_load_dword s13, s[4:5], 0x48
	s_waitcnt lgkmcnt(0)
	s_cmp_lg_u32 s33, -1
	s_cbranch_scc0 .LBB36_128
; %bb.1:
	s_load_dwordx4 s[16:19], s[4:5], 0x10
	s_load_dwordx2 s[20:21], s[4:5], 0x20
	v_lshlrev_b32_e32 v2, 2, v1
	s_waitcnt lgkmcnt(0)
	s_add_u32 s0, s16, s6
	s_addc_u32 s1, s17, s7
	s_load_dword s0, s[0:1], 0x0
	s_waitcnt lgkmcnt(0)
	s_sub_i32 s46, s0, s13
	v_add3_u32 v2, v2, v0, s46
	v_cmp_ge_i32_e32 vcc, s33, v2
	s_and_saveexec_b64 s[0:1], vcc
	s_cbranch_execz .LBB36_4
; %bb.2:
	v_lshlrev_b32_e32 v3, 4, v1
	v_lshlrev_b32_e32 v4, 2, v0
	s_movk_i32 s2, 0x2600
	v_add3_u32 v4, v3, v4, s2
	s_mov_b64 s[2:3], 0
	v_mov_b32_e32 v5, s19
.LBB36_3:                               ; =>This Inner Loop Header: Depth=1
	v_ashrrev_i32_e32 v3, 31, v2
	v_lshlrev_b64 v[6:7], 2, v[2:3]
	v_add_u32_e32 v2, 64, v2
	v_add_co_u32_e32 v6, vcc, s18, v6
	v_addc_co_u32_e32 v7, vcc, v5, v7, vcc
	global_load_dword v3, v[6:7], off
	v_cmp_lt_i32_e32 vcc, s33, v2
	s_or_b64 s[2:3], vcc, s[2:3]
	s_waitcnt vmcnt(0)
	v_subrev_u32_e32 v3, s13, v3
	ds_write_b32 v4, v3
	v_add_u32_e32 v4, 0x100, v4
	s_andn2_b64 exec, exec, s[2:3]
	s_cbranch_execnz .LBB36_3
.LBB36_4:
	s_or_b64 exec, exec, s[0:1]
	v_cmp_gt_u32_e32 vcc, 16, v0
	v_lshlrev_b32_e32 v13, 3, v0
	s_and_saveexec_b64 s[0:1], vcc
	s_cbranch_execz .LBB36_7
; %bb.5:
	v_mul_u32_u24_e32 v2, 0x88, v1
	s_movk_i32 s2, 0x1980
	v_add3_u32 v5, v2, v13, s2
	v_mov_b32_e32 v2, 0
	v_add_u32_e32 v4, -4, v0
	s_mov_b64 s[2:3], 0
	v_mov_b32_e32 v3, v2
.LBB36_6:                               ; =>This Inner Loop Header: Depth=1
	v_add_u32_e32 v4, 4, v4
	v_cmp_lt_u32_e32 vcc, 11, v4
	ds_write_b64 v5, v[2:3]
	s_or_b64 s[2:3], vcc, s[2:3]
	v_add_u32_e32 v5, 32, v5
	s_andn2_b64 exec, exec, s[2:3]
	s_cbranch_execnz .LBB36_6
.LBB36_7:
	s_or_b64 exec, exec, s[0:1]
	s_load_dword s44, s[4:5], 0x8
	s_load_dword s45, s[4:5], 0x0
	s_cmp_ge_i32 s46, s33
	s_waitcnt lgkmcnt(0)
	v_cmp_gt_i32_e64 s[0:1], s44, v0
	s_cbranch_scc1 .LBB36_89
; %bb.8:
	s_movk_i32 s26, 0x88
	v_mov_b32_e32 v3, 0x880
	v_mad_u32_u24 v15, v1, s26, v3
	v_or_b32_e32 v3, v0, v1
	s_mul_i32 s27, s44, s46
	v_cmp_ne_u32_e64 s[4:5], 0, v3
	v_add_u32_e32 v3, s27, v1
	v_mul_lo_u32 v16, s44, v1
	v_mul_lo_u32 v20, s44, v3
	;; [unrolled: 1-line block ×3, first 2 shown]
	s_cmp_lg_u32 s45, 0
	s_cselect_b64 s[22:23], -1, 0
	v_mov_b32_e32 v2, 0x1100
	s_cmp_gt_i32 s44, 0
	v_mad_u32_u24 v17, v1, s26, v13
	v_cmp_gt_i32_e64 s[2:3], s44, v1
	v_mad_u32_u24 v14, v1, s26, v2
	s_mul_i32 s47, s44, s44
	s_cselect_b64 s[24:25], -1, 0
	v_add_u32_e32 v18, 0x880, v17
	s_lshl_b32 s48, s44, 2
	v_add_u32_e32 v21, 0x1980, v17
	v_mad_u32_u24 v22, v0, s26, v2
	v_add_u32_e32 v23, 0x1100, v17
	v_mov_b32_e32 v2, 0
	v_mov_b32_e32 v24, 0x3ff00000
	s_mov_b32 s26, s46
	s_branch .LBB36_10
.LBB36_9:                               ;   in Loop: Header=BB36_10 Depth=1
	s_or_b64 exec, exec, s[28:29]
	s_add_i32 s26, s26, 1
	s_cmp_ge_i32 s26, s33
	s_waitcnt vmcnt(0)
	buffer_wbinvl1_vol
	v_add_u32_e32 v20, s47, v20
	s_cselect_b64 s[28:29], -1, 0
	s_and_b64 vcc, exec, s[28:29]
	s_cbranch_vccnz .LBB36_89
.LBB36_10:                              ; =>This Loop Header: Depth=1
                                        ;     Child Loop BB36_14 Depth 2
                                        ;     Child Loop BB36_26 Depth 2
	;; [unrolled: 1-line block ×5, first 2 shown]
                                        ;       Child Loop BB36_56 Depth 3
                                        ;     Child Loop BB36_70 Depth 2
                                        ;       Child Loop BB36_75 Depth 3
                                        ;       Child Loop BB36_78 Depth 3
                                        ;     Child Loop BB36_84 Depth 2
	s_ashr_i32 s27, s26, 31
	s_lshl_b64 s[28:29], s[26:27], 2
	s_add_u32 s28, s18, s28
	s_addc_u32 s29, s19, s29
	s_load_dword s49, s[28:29], 0x0
	s_waitcnt lgkmcnt(0)
	s_sub_i32 s30, s49, s13
	s_ashr_i32 s31, s30, 31
	s_lshl_b64 s[28:29], s[30:31], 2
	s_add_u32 s34, s8, s28
	s_addc_u32 s35, s9, s29
	s_load_dword s31, s[34:35], 0x0
	s_waitcnt lgkmcnt(0)
	s_cmp_eq_u32 s31, -1
	s_cbranch_scc1 .LBB36_88
; %bb.11:                               ;   in Loop: Header=BB36_10 Depth=1
	s_add_u32 s34, s16, s28
	s_addc_u32 s35, s17, s29
	s_load_dword s50, s[34:35], 0x0
	s_mul_i32 s27, s26, s44
	s_and_saveexec_b64 s[34:35], s[0:1]
	s_cbranch_execz .LBB36_24
; %bb.12:                               ;   in Loop: Header=BB36_10 Depth=1
	s_mov_b64 s[36:37], 0
	v_mov_b32_e32 v6, v18
	v_mov_b32_e32 v7, v0
	s_branch .LBB36_14
.LBB36_13:                              ;   in Loop: Header=BB36_14 Depth=2
	s_or_b64 exec, exec, s[40:41]
	v_add_u32_e32 v7, 4, v7
	v_mov_b32_e32 v3, v2
	v_cmp_le_i32_e32 vcc, s44, v7
	s_waitcnt vmcnt(0)
	ds_write_b64 v6, v[4:5] offset:2176
	ds_write_b64 v6, v[2:3]
	s_or_b64 s[36:37], vcc, s[36:37]
	v_add_u32_e32 v6, 32, v6
	s_andn2_b64 exec, exec, s[36:37]
	s_cbranch_execz .LBB36_24
.LBB36_14:                              ;   Parent Loop BB36_10 Depth=1
                                        ; =>  This Inner Loop Header: Depth=2
	s_and_b64 vcc, exec, s[22:23]
	s_cbranch_vccz .LBB36_21
; %bb.15:                               ;   in Loop: Header=BB36_14 Depth=2
	s_mov_b64 s[40:41], 0
	s_mov_b64 s[38:39], 0
                                        ; implicit-def: $vgpr3
	s_and_saveexec_b64 s[42:43], s[2:3]
	s_xor_b64 s[42:43], exec, s[42:43]
; %bb.16:                               ;   in Loop: Header=BB36_14 Depth=2
	v_add_u32_e32 v3, s27, v7
	s_mov_b64 s[38:39], exec
	v_mad_u64_u32 v[3:4], s[52:53], v3, s44, v[1:2]
; %bb.17:                               ;   in Loop: Header=BB36_14 Depth=2
	s_or_b64 exec, exec, s[42:43]
	s_and_b64 vcc, exec, s[40:41]
	s_cbranch_vccz .LBB36_22
.LBB36_18:                              ;   in Loop: Header=BB36_14 Depth=2
                                        ; implicit-def: $vgpr3
	s_and_saveexec_b64 s[40:41], s[2:3]
; %bb.19:                               ;   in Loop: Header=BB36_14 Depth=2
	v_add_u32_e32 v3, v20, v7
	s_or_b64 s[38:39], s[38:39], exec
; %bb.20:                               ;   in Loop: Header=BB36_14 Depth=2
	s_or_b64 exec, exec, s[40:41]
	v_mov_b32_e32 v4, 0
	v_mov_b32_e32 v5, 0
	s_and_saveexec_b64 s[40:41], s[38:39]
	s_cbranch_execz .LBB36_13
	s_branch .LBB36_23
.LBB36_21:                              ;   in Loop: Header=BB36_14 Depth=2
	s_mov_b64 s[38:39], 0
                                        ; implicit-def: $vgpr3
	s_cbranch_execnz .LBB36_18
.LBB36_22:                              ;   in Loop: Header=BB36_14 Depth=2
	v_mov_b32_e32 v4, 0
	v_mov_b32_e32 v5, 0
	s_and_saveexec_b64 s[40:41], s[38:39]
	s_cbranch_execz .LBB36_13
.LBB36_23:                              ;   in Loop: Header=BB36_14 Depth=2
	v_ashrrev_i32_e32 v4, 31, v3
	v_lshlrev_b64 v[3:4], 3, v[3:4]
	v_mov_b32_e32 v5, s21
	v_add_co_u32_e32 v3, vcc, s20, v3
	v_addc_co_u32_e32 v4, vcc, v5, v4, vcc
	global_load_dwordx2 v[4:5], v[3:4], off
	s_branch .LBB36_13
.LBB36_24:                              ;   in Loop: Header=BB36_10 Depth=1
	s_or_b64 exec, exec, s[34:35]
	ds_read_b32 v3, v2 offset:9728
	s_waitcnt lgkmcnt(0)
	s_sub_i32 s34, s50, s13
	s_cmp_le_i32 s34, s31
	s_cselect_b64 s[36:37], -1, 0
	s_mov_b32 s40, 0
	v_cmp_ge_i32_e32 vcc, s30, v3
	s_and_b64 s[36:37], s[36:37], vcc
	s_andn2_b64 vcc, exec, s[36:37]
	s_cbranch_vccnz .LBB36_36
; %bb.25:                               ;   in Loop: Header=BB36_10 Depth=1
	s_mov_b32 s38, 0
	s_mov_b32 s39, 0
.LBB36_26:                              ;   Parent Loop BB36_10 Depth=1
                                        ; =>  This Inner Loop Header: Depth=2
	s_ashr_i32 s35, s34, 31
	s_lshl_b64 s[36:37], s[34:35], 2
	s_add_u32 s36, s18, s36
	s_addc_u32 s37, s19, s37
	s_load_dword s35, s[36:37], 0x0
	s_lshl_b32 s36, s39, 2
	v_mov_b32_e32 v3, s36
	ds_read_b32 v3, v3 offset:9728
	s_mov_b64 s[36:37], -1
	s_waitcnt lgkmcnt(0)
	s_sub_i32 s43, s35, s13
                                        ; implicit-def: $sgpr40
                                        ; implicit-def: $sgpr42
                                        ; implicit-def: $sgpr41
	v_cmp_ge_i32_e32 vcc, s43, v3
	v_readfirstlane_b32 s35, v3
	s_cbranch_vccz .LBB36_32
; %bb.27:                               ;   in Loop: Header=BB36_26 Depth=2
	s_cmp_le_i32 s43, s35
                                        ; implicit-def: $sgpr40
                                        ; implicit-def: $sgpr42
                                        ; implicit-def: $sgpr41
	s_cbranch_scc0 .LBB36_29
; %bb.28:                               ;   in Loop: Header=BB36_26 Depth=2
	s_add_i32 s36, s39, s46
	s_mul_i32 s36, s36, s47
	s_lshl_b32 s37, s38, 2
	v_mov_b32_e32 v4, s36
	s_mul_i32 s36, s34, s47
	v_mov_b32_e32 v3, s37
	v_mov_b32_e32 v5, s36
	ds_write2st64_b32 v3, v5, v4 offset0:34 offset1:36
	s_add_i32 s41, s39, 1
	s_add_i32 s42, s34, 1
	;; [unrolled: 1-line block ×3, first 2 shown]
	s_mov_b64 s[36:37], 0
.LBB36_29:                              ;   in Loop: Header=BB36_26 Depth=2
	s_andn2_b64 vcc, exec, s[36:37]
	s_cbranch_vccnz .LBB36_31
; %bb.30:                               ;   in Loop: Header=BB36_26 Depth=2
	s_add_i32 s41, s39, 1
	s_mov_b32 s40, s38
	s_mov_b32 s42, s34
.LBB36_31:                              ;   in Loop: Header=BB36_26 Depth=2
	s_mov_b64 s[36:37], 0
.LBB36_32:                              ;   in Loop: Header=BB36_26 Depth=2
	s_andn2_b64 vcc, exec, s[36:37]
	s_cbranch_vccnz .LBB36_34
; %bb.33:                               ;   in Loop: Header=BB36_26 Depth=2
	s_add_i32 s42, s34, 1
	s_mov_b32 s41, s39
	s_mov_b32 s40, s38
.LBB36_34:                              ;   in Loop: Header=BB36_26 Depth=2
	s_cmp_le_i32 s42, s31
	s_cselect_b64 s[36:37], -1, 0
	s_cmp_le_i32 s35, s30
	s_cselect_b64 s[34:35], -1, 0
	s_and_b64 s[34:35], s[36:37], s[34:35]
	s_and_b64 vcc, exec, s[34:35]
	s_cbranch_vccz .LBB36_36
; %bb.35:                               ;   in Loop: Header=BB36_26 Depth=2
	s_mov_b32 s38, s40
	s_mov_b32 s34, s42
	;; [unrolled: 1-line block ×3, first 2 shown]
	s_branch .LBB36_26
.LBB36_36:                              ;   in Loop: Header=BB36_10 Depth=1
	s_add_u32 s28, s10, s28
	s_addc_u32 s29, s11, s29
	s_waitcnt lgkmcnt(0)
.LBB36_37:                              ;   Parent Loop BB36_10 Depth=1
                                        ; =>  This Inner Loop Header: Depth=2
	global_load_dword v3, v2, s[28:29] glc
	s_waitcnt vmcnt(0)
	v_cmp_eq_u32_e32 vcc, 0, v3
	s_cbranch_vccnz .LBB36_37
; %bb.38:                               ;   in Loop: Header=BB36_10 Depth=1
	buffer_wbinvl1_vol
	s_and_saveexec_b64 s[28:29], s[0:1]
	s_cbranch_execz .LBB36_51
; %bb.39:                               ;   in Loop: Header=BB36_10 Depth=1
	s_mul_i32 s41, s31, s44
	v_add_u32_e32 v3, s41, v1
	v_mul_lo_u32 v6, v3, s44
	s_mov_b64 s[30:31], 0
	v_mov_b32_e32 v7, v17
	v_mov_b32_e32 v8, v0
	s_branch .LBB36_41
.LBB36_40:                              ;   in Loop: Header=BB36_41 Depth=2
	s_or_b64 exec, exec, s[36:37]
	v_add_u32_e32 v8, 4, v8
	v_cmp_le_i32_e32 vcc, s44, v8
	s_waitcnt vmcnt(0)
	ds_write_b64 v7, v[4:5]
	s_or_b64 s[30:31], vcc, s[30:31]
	v_add_u32_e32 v7, 32, v7
	s_andn2_b64 exec, exec, s[30:31]
	s_cbranch_execz .LBB36_51
.LBB36_41:                              ;   Parent Loop BB36_10 Depth=1
                                        ; =>  This Inner Loop Header: Depth=2
	s_and_b64 vcc, exec, s[22:23]
	s_cbranch_vccz .LBB36_48
; %bb.42:                               ;   in Loop: Header=BB36_41 Depth=2
	s_mov_b64 s[36:37], 0
	s_mov_b64 s[34:35], 0
                                        ; implicit-def: $vgpr3
	s_and_saveexec_b64 s[38:39], s[2:3]
	s_xor_b64 s[38:39], exec, s[38:39]
; %bb.43:                               ;   in Loop: Header=BB36_41 Depth=2
	v_add_u32_e32 v3, s41, v8
	s_mov_b64 s[34:35], exec
	v_mad_u64_u32 v[3:4], s[42:43], v3, s44, v[1:2]
; %bb.44:                               ;   in Loop: Header=BB36_41 Depth=2
	s_or_b64 exec, exec, s[38:39]
	s_and_b64 vcc, exec, s[36:37]
	s_cbranch_vccz .LBB36_49
.LBB36_45:                              ;   in Loop: Header=BB36_41 Depth=2
                                        ; implicit-def: $vgpr3
	s_and_saveexec_b64 s[36:37], s[2:3]
; %bb.46:                               ;   in Loop: Header=BB36_41 Depth=2
	v_add_u32_e32 v3, v6, v8
	s_or_b64 s[34:35], s[34:35], exec
; %bb.47:                               ;   in Loop: Header=BB36_41 Depth=2
	s_or_b64 exec, exec, s[36:37]
	v_mov_b32_e32 v4, 0
	v_mov_b32_e32 v5, 0
	s_and_saveexec_b64 s[36:37], s[34:35]
	s_cbranch_execz .LBB36_40
	s_branch .LBB36_50
.LBB36_48:                              ;   in Loop: Header=BB36_41 Depth=2
	s_mov_b64 s[34:35], 0
                                        ; implicit-def: $vgpr3
	s_cbranch_execnz .LBB36_45
.LBB36_49:                              ;   in Loop: Header=BB36_41 Depth=2
	v_mov_b32_e32 v4, 0
	v_mov_b32_e32 v5, 0
	s_and_saveexec_b64 s[36:37], s[34:35]
	s_cbranch_execz .LBB36_40
.LBB36_50:                              ;   in Loop: Header=BB36_41 Depth=2
	v_ashrrev_i32_e32 v4, 31, v3
	v_lshlrev_b64 v[3:4], 3, v[3:4]
	v_mov_b32_e32 v5, s21
	v_add_co_u32_e32 v3, vcc, s20, v3
	v_addc_co_u32_e32 v4, vcc, v5, v4, vcc
	global_load_dwordx2 v[4:5], v[3:4], off
	s_branch .LBB36_40
.LBB36_51:                              ;   in Loop: Header=BB36_10 Depth=1
	s_or_b64 exec, exec, s[28:29]
	s_cmp_lt_i32 s40, 2
	s_cbranch_scc1 .LBB36_67
; %bb.52:                               ;   in Loop: Header=BB36_10 Depth=1
	s_add_i32 s36, s40, -2
	s_mov_b32 s37, 0
	s_branch .LBB36_54
.LBB36_53:                              ;   in Loop: Header=BB36_54 Depth=2
	s_or_b64 exec, exec, s[28:29]
	s_add_i32 s28, s37, 1
	s_cmp_eq_u32 s37, s36
	s_mov_b32 s37, s28
	s_cbranch_scc1 .LBB36_67
.LBB36_54:                              ;   Parent Loop BB36_10 Depth=1
                                        ; =>  This Loop Header: Depth=2
                                        ;       Child Loop BB36_56 Depth 3
	s_and_saveexec_b64 s[28:29], s[0:1]
	s_cbranch_execz .LBB36_53
; %bb.55:                               ;   in Loop: Header=BB36_54 Depth=2
	s_lshl_b32 s30, s37, 2
	v_mov_b32_e32 v3, s30
	ds_read2st64_b32 v[3:4], v3 offset0:34 offset1:36
	s_mov_b64 s[30:31], 0
	v_mov_b32_e32 v29, v0
	s_waitcnt lgkmcnt(0)
	v_add_u32_e32 v25, v4, v16
	v_add_u32_e32 v26, v1, v4
	v_add_u32_e32 v27, v0, v3
	v_add_u32_e32 v28, v19, v3
.LBB36_56:                              ;   Parent Loop BB36_10 Depth=1
                                        ;     Parent Loop BB36_54 Depth=2
                                        ; =>    This Inner Loop Header: Depth=3
	v_mov_b32_e32 v7, 0
	v_mov_b32_e32 v8, 0
	s_mov_b32 s38, 0
	v_mov_b32_e32 v3, v27
	v_mov_b32_e32 v5, v26
	s_and_b64 vcc, exec, s[22:23]
	s_cbranch_vccnz .LBB36_59
	s_branch .LBB36_58
.LBB36_57:                              ;   in Loop: Header=BB36_56 Depth=3
	v_mov_b32_e32 v7, v9
	v_mov_b32_e32 v8, v10
	s_and_b64 vcc, exec, s[22:23]
	s_cbranch_vccnz .LBB36_59
.LBB36_58:                              ;   in Loop: Header=BB36_56 Depth=3
                                        ; implicit-def: $vgpr9_vgpr10
	s_cbranch_execz .LBB36_65
	s_branch .LBB36_62
.LBB36_59:                              ;   in Loop: Header=BB36_56 Depth=3
	v_ashrrev_i32_e32 v4, 31, v3
	v_lshlrev_b64 v[9:10], 3, v[3:4]
	v_mov_b32_e32 v4, s21
	v_add_co_u32_e32 v9, vcc, s20, v9
	v_addc_co_u32_e32 v10, vcc, v4, v10, vcc
	global_load_dwordx2 v[9:10], v[9:10], off
	v_mov_b32_e32 v11, 0
	v_mov_b32_e32 v12, 0
	s_and_saveexec_b64 s[34:35], s[2:3]
	s_cbranch_execz .LBB36_61
; %bb.60:                               ;   in Loop: Header=BB36_56 Depth=3
	v_ashrrev_i32_e32 v6, 31, v5
	v_lshlrev_b64 v[11:12], 3, v[5:6]
	v_mov_b32_e32 v4, s21
	v_add_co_u32_e32 v11, vcc, s20, v11
	v_addc_co_u32_e32 v12, vcc, v4, v12, vcc
	global_load_dwordx2 v[11:12], v[11:12], off
.LBB36_61:                              ;   in Loop: Header=BB36_56 Depth=3
	s_or_b64 exec, exec, s[34:35]
	s_waitcnt vmcnt(0)
	v_fma_f64 v[9:10], v[9:10], v[11:12], v[7:8]
	s_branch .LBB36_65
.LBB36_62:                              ;   in Loop: Header=BB36_56 Depth=3
	v_add_u32_e32 v9, s38, v28
	v_ashrrev_i32_e32 v10, 31, v9
	v_lshlrev_b64 v[9:10], 3, v[9:10]
	v_mov_b32_e32 v4, s21
	v_add_co_u32_e32 v9, vcc, s20, v9
	v_addc_co_u32_e32 v10, vcc, v4, v10, vcc
	global_load_dwordx2 v[9:10], v[9:10], off
	v_mov_b32_e32 v11, 0
	v_mov_b32_e32 v12, 0
	s_and_saveexec_b64 s[34:35], s[2:3]
	s_cbranch_execz .LBB36_64
; %bb.63:                               ;   in Loop: Header=BB36_56 Depth=3
	v_add_u32_e32 v11, s38, v25
	v_ashrrev_i32_e32 v12, 31, v11
	v_lshlrev_b64 v[11:12], 3, v[11:12]
	v_mov_b32_e32 v4, s21
	v_add_co_u32_e32 v11, vcc, s20, v11
	v_addc_co_u32_e32 v12, vcc, v4, v12, vcc
	global_load_dwordx2 v[11:12], v[11:12], off
.LBB36_64:                              ;   in Loop: Header=BB36_56 Depth=3
	s_or_b64 exec, exec, s[34:35]
	s_waitcnt vmcnt(0)
	v_fma_f64 v[9:10], v[9:10], v[11:12], v[7:8]
.LBB36_65:                              ;   in Loop: Header=BB36_56 Depth=3
	s_add_i32 s38, s38, 1
	v_add_u32_e32 v5, s44, v5
	s_cmp_eq_u32 s44, s38
	v_add_u32_e32 v3, s44, v3
	s_cbranch_scc0 .LBB36_57
; %bb.66:                               ;   in Loop: Header=BB36_56 Depth=3
	v_lshl_add_u32 v5, v29, 3, v15
	ds_read_b64 v[3:4], v5
	v_add_u32_e32 v29, 4, v29
	v_cmp_le_i32_e32 vcc, s44, v29
	v_add_u32_e32 v27, 4, v27
	s_or_b64 s[30:31], vcc, s[30:31]
	s_waitcnt lgkmcnt(0)
	v_add_f64 v[3:4], v[9:10], v[3:4]
	v_add_u32_e32 v28, s48, v28
	ds_write_b64 v5, v[3:4]
	s_andn2_b64 exec, exec, s[30:31]
	s_cbranch_execnz .LBB36_56
	s_branch .LBB36_53
.LBB36_67:                              ;   in Loop: Header=BB36_10 Depth=1
	s_andn2_b64 vcc, exec, s[24:25]
	s_waitcnt lgkmcnt(0)
	s_cbranch_vccnz .LBB36_79
; %bb.68:                               ;   in Loop: Header=BB36_10 Depth=1
	s_mov_b32 s34, 0
	v_mov_b32_e32 v9, v22
	s_mov_b32 s35, 0
	s_branch .LBB36_70
.LBB36_69:                              ;   in Loop: Header=BB36_70 Depth=2
	s_or_b64 exec, exec, s[28:29]
	s_add_i32 s35, s35, 1
	s_addk_i32 s34, 0x88
	s_cmp_eq_u32 s35, s44
	v_add_u32_e32 v9, 8, v9
	s_waitcnt lgkmcnt(0)
	s_cbranch_scc1 .LBB36_79
.LBB36_70:                              ;   Parent Loop BB36_10 Depth=1
                                        ; =>  This Loop Header: Depth=2
                                        ;       Child Loop BB36_75 Depth 3
                                        ;       Child Loop BB36_78 Depth 3
	s_lshl_b32 s28, s35, 3
	s_mul_i32 s29, s35, 0x88
	s_add_i32 s29, s29, s28
	v_mov_b32_e32 v3, s29
	ds_read_b64 v[5:6], v3
	v_add_u32_e32 v10, s28, v14
	ds_read_b64 v[3:4], v10
	s_waitcnt lgkmcnt(1)
	v_cmp_neq_f64_e32 vcc, 0, v[5:6]
	v_cndmask_b32_e32 v6, v24, v6, vcc
	s_nor_b64 s[30:31], vcc, s[4:5]
	v_cndmask_b32_e32 v5, 0, v5, vcc
	s_and_saveexec_b64 s[28:29], s[30:31]
	s_cbranch_execz .LBB36_74
; %bb.71:                               ;   in Loop: Header=BB36_70 Depth=2
	v_mbcnt_lo_u32_b32 v5, exec_lo, 0
	v_mbcnt_hi_u32_b32 v5, exec_hi, v5
	v_cmp_eq_u32_e32 vcc, 0, v5
	s_and_saveexec_b64 s[30:31], vcc
	s_cbranch_execz .LBB36_73
; %bb.72:                               ;   in Loop: Header=BB36_70 Depth=2
	v_mov_b32_e32 v5, s49
	global_atomic_smin v2, v5, s[14:15]
.LBB36_73:                              ;   in Loop: Header=BB36_70 Depth=2
	s_or_b64 exec, exec, s[30:31]
	v_mov_b32_e32 v5, 0
	v_mov_b32_e32 v6, 0x3ff00000
.LBB36_74:                              ;   in Loop: Header=BB36_70 Depth=2
	s_or_b64 exec, exec, s[28:29]
	v_lshl_add_u32 v7, s35, 3, v15
	ds_read_b64 v[7:8], v7
	s_cmp_eq_u32 s35, 0
	v_mov_b32_e32 v11, v14
	s_mov_b32 s28, s34
	s_mov_b32 s29, s35
	s_cbranch_scc1 .LBB36_76
.LBB36_75:                              ;   Parent Loop BB36_10 Depth=1
                                        ;     Parent Loop BB36_70 Depth=2
                                        ; =>    This Inner Loop Header: Depth=3
	v_mov_b32_e32 v12, s28
	ds_read_b64 v[25:26], v11
	ds_read_b64 v[27:28], v12
	s_add_i32 s29, s29, -1
	s_add_i32 s28, s28, 8
	s_cmp_eq_u32 s29, 0
	v_add_u32_e32 v11, 8, v11
	s_waitcnt lgkmcnt(0)
	v_fma_f64 v[7:8], v[27:28], v[25:26], v[7:8]
	s_cbranch_scc0 .LBB36_75
.LBB36_76:                              ;   in Loop: Header=BB36_70 Depth=2
	s_waitcnt lgkmcnt(0)
	v_add_f64 v[3:4], v[3:4], -v[7:8]
	v_div_scale_f64 v[7:8], s[28:29], v[5:6], v[5:6], v[3:4]
	v_rcp_f64_e32 v[11:12], v[7:8]
	v_fma_f64 v[25:26], -v[7:8], v[11:12], 1.0
	v_fma_f64 v[11:12], v[11:12], v[25:26], v[11:12]
	v_div_scale_f64 v[25:26], vcc, v[3:4], v[5:6], v[3:4]
	v_fma_f64 v[27:28], -v[7:8], v[11:12], 1.0
	v_fma_f64 v[11:12], v[11:12], v[27:28], v[11:12]
	v_mul_f64 v[27:28], v[25:26], v[11:12]
	v_fma_f64 v[7:8], -v[7:8], v[27:28], v[25:26]
	v_div_fmas_f64 v[7:8], v[7:8], v[11:12], v[27:28]
	v_div_fixup_f64 v[3:4], v[7:8], v[5:6], v[3:4]
	ds_write_b64 v10, v[3:4]
	s_waitcnt lgkmcnt(0)
	s_and_saveexec_b64 s[28:29], s[0:1]
	s_cbranch_execz .LBB36_69
; %bb.77:                               ;   in Loop: Header=BB36_70 Depth=2
	s_mov_b64 s[30:31], 0
	v_mov_b32_e32 v5, v9
	v_mov_b32_e32 v6, v21
	;; [unrolled: 1-line block ×3, first 2 shown]
.LBB36_78:                              ;   Parent Loop BB36_10 Depth=1
                                        ;     Parent Loop BB36_70 Depth=2
                                        ; =>    This Inner Loop Header: Depth=3
	ds_read_b64 v[10:11], v5
	ds_read_b64 v[25:26], v6
	v_add_u32_e32 v7, 4, v7
	v_cmp_le_i32_e32 vcc, s44, v7
	s_or_b64 s[30:31], vcc, s[30:31]
	v_add_u32_e32 v5, 0x220, v5
	s_waitcnt lgkmcnt(0)
	v_fma_f64 v[10:11], v[3:4], v[10:11], v[25:26]
	ds_write_b64 v6, v[10:11]
	v_add_u32_e32 v6, 32, v6
	s_andn2_b64 exec, exec, s[30:31]
	s_cbranch_execnz .LBB36_78
	s_branch .LBB36_69
.LBB36_79:                              ;   in Loop: Header=BB36_10 Depth=1
	s_and_saveexec_b64 s[28:29], s[0:1]
	s_cbranch_execz .LBB36_9
; %bb.80:                               ;   in Loop: Header=BB36_10 Depth=1
	s_mov_b64 s[30:31], 0
	v_mov_b32_e32 v7, v23
	v_mov_b32_e32 v8, v0
	s_branch .LBB36_84
.LBB36_81:                              ;   in Loop: Header=BB36_84 Depth=2
	v_add_u32_e32 v5, v20, v8
.LBB36_82:                              ;   in Loop: Header=BB36_84 Depth=2
	v_ashrrev_i32_e32 v6, 31, v5
	v_lshlrev_b64 v[5:6], 3, v[5:6]
	v_mov_b32_e32 v9, s21
	v_add_co_u32_e32 v5, vcc, s20, v5
	v_addc_co_u32_e32 v6, vcc, v9, v6, vcc
	s_waitcnt lgkmcnt(0)
	global_store_dwordx2 v[5:6], v[3:4], off
.LBB36_83:                              ;   in Loop: Header=BB36_84 Depth=2
	s_or_b64 exec, exec, s[34:35]
	v_add_u32_e32 v8, 4, v8
	v_cmp_le_i32_e32 vcc, s44, v8
	s_or_b64 s[30:31], vcc, s[30:31]
	v_add_u32_e32 v7, 32, v7
	s_andn2_b64 exec, exec, s[30:31]
	s_cbranch_execz .LBB36_9
.LBB36_84:                              ;   Parent Loop BB36_10 Depth=1
                                        ; =>  This Inner Loop Header: Depth=2
	s_and_saveexec_b64 s[34:35], s[2:3]
	s_cbranch_execz .LBB36_83
; %bb.85:                               ;   in Loop: Header=BB36_84 Depth=2
	ds_read_b64 v[3:4], v7
	s_and_b64 vcc, exec, s[22:23]
	s_cbranch_vccz .LBB36_87
; %bb.86:                               ;   in Loop: Header=BB36_84 Depth=2
	v_add_u32_e32 v5, s27, v8
	v_mad_u64_u32 v[5:6], s[36:37], v5, s44, v[1:2]
	s_cbranch_execnz .LBB36_82
	s_branch .LBB36_81
.LBB36_87:                              ;   in Loop: Header=BB36_84 Depth=2
                                        ; implicit-def: $vgpr5
	s_branch .LBB36_81
.LBB36_88:                              ;   in Loop: Header=BB36_10 Depth=1
                                        ; implicit-def: $sgpr26
                                        ; implicit-def: $vgpr20
	s_cbranch_execz .LBB36_10
.LBB36_89:
	v_cmp_gt_i32_e64 s[0:1], s44, v0
	s_and_saveexec_b64 s[4:5], s[0:1]
	s_cbranch_execz .LBB36_102
; %bb.90:
	s_mul_i32 s26, s33, s44
	v_add_u32_e32 v2, s26, v1
	v_mul_lo_u32 v5, v2, s44
	s_cmp_lg_u32 s45, 0
	v_mul_u32_u24_e32 v2, 0x88, v1
	s_movk_i32 s16, 0x1100
	s_cselect_b64 s[8:9], -1, 0
	v_cmp_gt_i32_e64 s[2:3], s44, v1
	v_add3_u32 v6, v2, v13, s16
	s_mov_b64 s[16:17], 0
	v_mov_b32_e32 v7, v0
	s_branch .LBB36_92
.LBB36_91:                              ;   in Loop: Header=BB36_92 Depth=1
	s_or_b64 exec, exec, s[22:23]
	v_add_u32_e32 v7, 4, v7
	v_cmp_le_i32_e32 vcc, s44, v7
	s_waitcnt vmcnt(0)
	ds_write_b64 v6, v[3:4]
	s_or_b64 s[16:17], vcc, s[16:17]
	v_add_u32_e32 v6, 32, v6
	s_andn2_b64 exec, exec, s[16:17]
	s_cbranch_execz .LBB36_102
.LBB36_92:                              ; =>This Inner Loop Header: Depth=1
	s_and_b64 vcc, exec, s[8:9]
	s_cbranch_vccz .LBB36_99
; %bb.93:                               ;   in Loop: Header=BB36_92 Depth=1
	s_mov_b64 s[22:23], 0
	s_mov_b64 s[18:19], 0
                                        ; implicit-def: $vgpr2
	s_and_saveexec_b64 s[24:25], s[2:3]
	s_xor_b64 s[24:25], exec, s[24:25]
; %bb.94:                               ;   in Loop: Header=BB36_92 Depth=1
	v_add_u32_e32 v2, s26, v7
	s_mov_b64 s[18:19], exec
	v_mad_u64_u32 v[2:3], s[28:29], v2, s44, v[1:2]
; %bb.95:                               ;   in Loop: Header=BB36_92 Depth=1
	s_or_b64 exec, exec, s[24:25]
	s_and_b64 vcc, exec, s[22:23]
	s_cbranch_vccz .LBB36_100
.LBB36_96:                              ;   in Loop: Header=BB36_92 Depth=1
                                        ; implicit-def: $vgpr2
	s_and_saveexec_b64 s[22:23], s[2:3]
; %bb.97:                               ;   in Loop: Header=BB36_92 Depth=1
	v_add_u32_e32 v2, v5, v7
	s_or_b64 s[18:19], s[18:19], exec
; %bb.98:                               ;   in Loop: Header=BB36_92 Depth=1
	s_or_b64 exec, exec, s[22:23]
	v_mov_b32_e32 v3, 0
	v_mov_b32_e32 v4, 0
	s_and_saveexec_b64 s[22:23], s[18:19]
	s_cbranch_execz .LBB36_91
	s_branch .LBB36_101
.LBB36_99:                              ;   in Loop: Header=BB36_92 Depth=1
	s_mov_b64 s[18:19], 0
                                        ; implicit-def: $vgpr2
	s_cbranch_execnz .LBB36_96
.LBB36_100:                             ;   in Loop: Header=BB36_92 Depth=1
	v_mov_b32_e32 v3, 0
	v_mov_b32_e32 v4, 0
	s_and_saveexec_b64 s[22:23], s[18:19]
	s_cbranch_execz .LBB36_91
.LBB36_101:                             ;   in Loop: Header=BB36_92 Depth=1
	v_ashrrev_i32_e32 v3, 31, v2
	v_lshlrev_b64 v[2:3], 3, v[2:3]
	v_mov_b32_e32 v4, s21
	v_add_co_u32_e32 v2, vcc, s20, v2
	v_addc_co_u32_e32 v3, vcc, v4, v3, vcc
	global_load_dwordx2 v[3:4], v[2:3], off
	s_branch .LBB36_91
.LBB36_102:
	s_or_b64 exec, exec, s[4:5]
	s_cmp_lt_i32 s44, 1
	s_waitcnt lgkmcnt(0)
	s_cbranch_scc1 .LBB36_115
; %bb.103:
	v_or_b32_e32 v4, v0, v1
	s_movk_i32 s4, 0x88
	v_mov_b32_e32 v2, 0x1100
	v_mul_u32_u24_e32 v3, 0x88, v1
	v_cmp_ne_u32_e64 s[2:3], 0, v4
	s_movk_i32 s5, 0x1980
	v_mov_b32_e32 v4, 0x1980
	v_mad_u32_u24 v6, v1, s4, v2
	v_mad_u32_u24 v7, v1, s4, v4
	v_lshlrev_b32_e32 v4, 3, v1
	v_add3_u32 v10, v3, v13, s5
	v_mad_u32_u24 v11, v0, s4, v2
	s_mov_b32 s4, 0
	s_mov_b32 s18, 0
	s_add_i32 s19, s12, s13
	v_add_u32_e32 v8, v6, v4
	v_add_u32_e32 v9, v7, v4
	s_brev_b32 s5, 8
	v_mov_b32_e32 v12, 0x260
	v_mov_b32_e32 v14, 0x3ff00000
	;; [unrolled: 1-line block ×5, first 2 shown]
	s_branch .LBB36_105
.LBB36_104:                             ;   in Loop: Header=BB36_105 Depth=1
	s_or_b64 exec, exec, s[8:9]
	s_add_i32 s18, s18, 1
	s_cmp_eq_u32 s18, s44
	v_add_u32_e32 v11, 8, v11
	s_waitcnt lgkmcnt(0)
	s_cbranch_scc1 .LBB36_115
.LBB36_105:                             ; =>This Loop Header: Depth=1
                                        ;     Child Loop BB36_114 Depth 2
	v_cmp_eq_u32_e32 vcc, s18, v1
	s_and_saveexec_b64 s[8:9], vcc
	s_cbranch_execz .LBB36_107
; %bb.106:                              ;   in Loop: Header=BB36_105 Depth=1
	ds_read_b64 v[2:3], v8
	ds_read_b64 v[4:5], v9
	s_waitcnt lgkmcnt(0)
	v_add_f64 v[2:3], v[2:3], -v[4:5]
	v_cmp_gt_f64_e32 vcc, 0, v[2:3]
	v_xor_b32_e32 v4, 0x80000000, v3
	v_cndmask_b32_e32 v3, v3, v4, vcc
	v_cmp_gt_f64_e32 vcc, s[4:5], v[2:3]
	v_cndmask_b32_e32 v4, 0, v16, vcc
	v_ldexp_f64 v[2:3], v[2:3], v4
	v_rsq_f64_e32 v[4:5], v[2:3]
	v_mul_f64 v[18:19], v[2:3], v[4:5]
	v_mul_f64 v[4:5], v[4:5], 0.5
	v_fma_f64 v[20:21], -v[4:5], v[18:19], 0.5
	v_fma_f64 v[18:19], v[18:19], v[20:21], v[18:19]
	v_fma_f64 v[4:5], v[4:5], v[20:21], v[4:5]
	v_fma_f64 v[20:21], -v[18:19], v[18:19], v[2:3]
	v_fma_f64 v[18:19], v[20:21], v[4:5], v[18:19]
	v_fma_f64 v[20:21], -v[18:19], v[18:19], v[2:3]
	v_fma_f64 v[4:5], v[20:21], v[4:5], v[18:19]
	v_cndmask_b32_e32 v18, 0, v17, vcc
	v_cmp_class_f64_e32 vcc, v[2:3], v12
	v_ldexp_f64 v[4:5], v[4:5], v18
	v_cndmask_b32_e32 v3, v5, v3, vcc
	v_cndmask_b32_e32 v2, v4, v2, vcc
	ds_write_b64 v8, v[2:3]
.LBB36_107:                             ;   in Loop: Header=BB36_105 Depth=1
	s_or_b64 exec, exec, s[8:9]
	s_lshl_b32 s8, s18, 3
	s_mul_i32 s9, s18, 0x88
	s_add_i32 s9, s9, s8
	v_mov_b32_e32 v2, s9
	s_waitcnt lgkmcnt(0)
	ds_read_b64 v[4:5], v2 offset:4352
	v_add_u32_e32 v18, s8, v6
	ds_read_b64 v[2:3], v18
	s_waitcnt lgkmcnt(1)
	v_cmp_neq_f64_e32 vcc, 0, v[4:5]
	v_cndmask_b32_e32 v5, v14, v5, vcc
	s_nor_b64 s[16:17], vcc, s[2:3]
	v_cndmask_b32_e32 v4, 0, v4, vcc
	s_and_saveexec_b64 s[8:9], s[16:17]
	s_cbranch_execz .LBB36_111
; %bb.108:                              ;   in Loop: Header=BB36_105 Depth=1
	v_mbcnt_lo_u32_b32 v4, exec_lo, 0
	v_mbcnt_hi_u32_b32 v4, exec_hi, v4
	v_cmp_eq_u32_e32 vcc, 0, v4
	s_and_saveexec_b64 s[16:17], vcc
	s_cbranch_execz .LBB36_110
; %bb.109:                              ;   in Loop: Header=BB36_105 Depth=1
	v_mov_b32_e32 v4, s19
	global_atomic_smin v15, v4, s[14:15]
.LBB36_110:                             ;   in Loop: Header=BB36_105 Depth=1
	s_or_b64 exec, exec, s[16:17]
	v_mov_b32_e32 v4, 0
	v_mov_b32_e32 v5, 0x3ff00000
.LBB36_111:                             ;   in Loop: Header=BB36_105 Depth=1
	s_or_b64 exec, exec, s[8:9]
	v_cmp_lt_u32_e32 vcc, s18, v1
	s_and_saveexec_b64 s[8:9], vcc
	s_cbranch_execz .LBB36_104
; %bb.112:                              ;   in Loop: Header=BB36_105 Depth=1
	v_lshl_add_u32 v19, s18, 3, v7
	ds_read_b64 v[19:20], v19
	s_waitcnt lgkmcnt(0)
	v_add_f64 v[2:3], v[2:3], -v[19:20]
	v_div_scale_f64 v[19:20], s[16:17], v[4:5], v[4:5], v[2:3]
	v_rcp_f64_e32 v[21:22], v[19:20]
	v_fma_f64 v[23:24], -v[19:20], v[21:22], 1.0
	v_fma_f64 v[21:22], v[21:22], v[23:24], v[21:22]
	v_div_scale_f64 v[23:24], vcc, v[2:3], v[4:5], v[2:3]
	v_fma_f64 v[25:26], -v[19:20], v[21:22], 1.0
	v_fma_f64 v[21:22], v[21:22], v[25:26], v[21:22]
	v_mul_f64 v[25:26], v[23:24], v[21:22]
	v_fma_f64 v[19:20], -v[19:20], v[25:26], v[23:24]
	v_div_fmas_f64 v[19:20], v[19:20], v[21:22], v[25:26]
	v_div_fixup_f64 v[2:3], v[19:20], v[4:5], v[2:3]
	ds_write_b64 v18, v[2:3]
	s_waitcnt lgkmcnt(0)
	s_and_b64 exec, exec, s[0:1]
	s_cbranch_execz .LBB36_104
; %bb.113:                              ;   in Loop: Header=BB36_105 Depth=1
	s_mov_b64 s[16:17], 0
	v_mov_b32_e32 v4, v11
	v_mov_b32_e32 v5, v10
	;; [unrolled: 1-line block ×3, first 2 shown]
.LBB36_114:                             ;   Parent Loop BB36_105 Depth=1
                                        ; =>  This Inner Loop Header: Depth=2
	ds_read_b64 v[19:20], v4
	ds_read_b64 v[21:22], v5
	v_add_u32_e32 v18, 4, v18
	v_cmp_le_i32_e32 vcc, s44, v18
	s_or_b64 s[16:17], vcc, s[16:17]
	v_add_u32_e32 v4, 0x220, v4
	s_waitcnt lgkmcnt(0)
	v_fma_f64 v[19:20], v[2:3], v[19:20], v[21:22]
	ds_write_b64 v5, v[19:20]
	v_add_u32_e32 v5, 32, v5
	s_andn2_b64 exec, exec, s[16:17]
	s_cbranch_execnz .LBB36_114
	s_branch .LBB36_104
.LBB36_115:
	s_and_saveexec_b64 s[2:3], s[0:1]
	s_cbranch_execz .LBB36_124
; %bb.116:
	s_mul_i32 s33, s33, s44
	v_add_u32_e32 v2, s33, v1
	v_mul_lo_u32 v6, v2, s44
	s_cmp_lg_u32 s45, 0
	v_mul_u32_u24_e32 v2, 0x88, v1
	s_movk_i32 s8, 0x1100
	v_cmp_gt_i32_e64 s[0:1], s44, v1
	s_cselect_b64 s[4:5], -1, 0
	v_add3_u32 v7, v2, v13, s8
	s_mov_b64 s[8:9], 0
	v_mov_b32_e32 v8, v0
	s_branch .LBB36_120
.LBB36_117:                             ;   in Loop: Header=BB36_120 Depth=1
	v_add_u32_e32 v4, v6, v8
.LBB36_118:                             ;   in Loop: Header=BB36_120 Depth=1
	v_ashrrev_i32_e32 v5, 31, v4
	v_lshlrev_b64 v[4:5], 3, v[4:5]
	v_mov_b32_e32 v9, s21
	v_add_co_u32_e32 v4, vcc, s20, v4
	v_addc_co_u32_e32 v5, vcc, v9, v5, vcc
	s_waitcnt lgkmcnt(0)
	global_store_dwordx2 v[4:5], v[2:3], off
.LBB36_119:                             ;   in Loop: Header=BB36_120 Depth=1
	s_or_b64 exec, exec, s[16:17]
	v_add_u32_e32 v8, 4, v8
	v_cmp_le_i32_e32 vcc, s44, v8
	s_or_b64 s[8:9], vcc, s[8:9]
	v_add_u32_e32 v7, 32, v7
	s_andn2_b64 exec, exec, s[8:9]
	s_cbranch_execz .LBB36_124
.LBB36_120:                             ; =>This Inner Loop Header: Depth=1
	s_and_saveexec_b64 s[16:17], s[0:1]
	s_cbranch_execz .LBB36_119
; %bb.121:                              ;   in Loop: Header=BB36_120 Depth=1
	ds_read_b64 v[2:3], v7
	s_and_b64 vcc, exec, s[4:5]
	s_cbranch_vccz .LBB36_123
; %bb.122:                              ;   in Loop: Header=BB36_120 Depth=1
	v_add_u32_e32 v4, s33, v8
	s_waitcnt lgkmcnt(0)
	v_mad_u64_u32 v[4:5], s[18:19], v4, s44, v[1:2]
	s_cbranch_execnz .LBB36_118
	s_branch .LBB36_117
.LBB36_123:                             ;   in Loop: Header=BB36_120 Depth=1
                                        ; implicit-def: $vgpr4
	s_branch .LBB36_117
.LBB36_124:
	s_or_b64 exec, exec, s[2:3]
	v_or_b32_e32 v2, v0, v1
	v_cmp_eq_u32_e32 vcc, 0, v2
	s_and_saveexec_b64 s[0:1], vcc
	s_cbranch_execz .LBB36_126
; %bb.125:
	s_add_u32 s2, s10, s6
	s_addc_u32 s3, s11, s7
	v_mov_b32_e32 v2, 0
	v_mov_b32_e32 v3, 1
	s_waitcnt vmcnt(0)
	global_store_dword v2, v3, s[2:3]
.LBB36_126:
	s_or_b64 exec, exec, s[0:1]
.LBB36_127:
	s_endpgm
.LBB36_128:
	s_cbranch_execz .LBB36_127
; %bb.129:
	v_or_b32_e32 v0, v0, v1
	v_cmp_eq_u32_e32 vcc, 0, v0
	s_and_saveexec_b64 s[0:1], vcc
	s_cbranch_execz .LBB36_127
; %bb.130:
	v_mbcnt_lo_u32_b32 v0, exec_lo, 0
	v_mbcnt_hi_u32_b32 v0, exec_hi, v0
	v_cmp_eq_u32_e32 vcc, 0, v0
	s_and_saveexec_b64 s[0:1], vcc
	s_cbranch_execz .LBB36_132
; %bb.131:
	s_add_i32 s2, s12, s13
	v_mov_b32_e32 v0, 0
	v_mov_b32_e32 v1, s2
	global_atomic_smin v0, v1, s[14:15]
.LBB36_132:
	s_or_b64 exec, exec, s[0:1]
	s_add_u32 s0, s10, s6
	s_addc_u32 s1, s11, s7
	v_mov_b32_e32 v0, 0
	v_mov_b32_e32 v1, 1
	s_waitcnt vmcnt(0)
	global_store_dword v0, v1, s[0:1]
	s_endpgm
	.section	.rodata,"a",@progbits
	.p2align	6, 0x0
	.amdhsa_kernel _ZN9rocsparseL18bsric0_9_16_kernelILi64ELi128ELi16EdEEv20rocsparse_direction_iiPKiS3_PT2_S3_PiS3_S6_21rocsparse_index_base_
		.amdhsa_group_segment_fixed_size 10240
		.amdhsa_private_segment_fixed_size 0
		.amdhsa_kernarg_size 76
		.amdhsa_user_sgpr_count 6
		.amdhsa_user_sgpr_private_segment_buffer 1
		.amdhsa_user_sgpr_dispatch_ptr 0
		.amdhsa_user_sgpr_queue_ptr 0
		.amdhsa_user_sgpr_kernarg_segment_ptr 1
		.amdhsa_user_sgpr_dispatch_id 0
		.amdhsa_user_sgpr_flat_scratch_init 0
		.amdhsa_user_sgpr_private_segment_size 0
		.amdhsa_uses_dynamic_stack 0
		.amdhsa_system_sgpr_private_segment_wavefront_offset 0
		.amdhsa_system_sgpr_workgroup_id_x 1
		.amdhsa_system_sgpr_workgroup_id_y 0
		.amdhsa_system_sgpr_workgroup_id_z 0
		.amdhsa_system_sgpr_workgroup_info 0
		.amdhsa_system_vgpr_workitem_id 1
		.amdhsa_next_free_vgpr 85
		.amdhsa_next_free_sgpr 98
		.amdhsa_reserve_vcc 1
		.amdhsa_reserve_flat_scratch 0
		.amdhsa_float_round_mode_32 0
		.amdhsa_float_round_mode_16_64 0
		.amdhsa_float_denorm_mode_32 3
		.amdhsa_float_denorm_mode_16_64 3
		.amdhsa_dx10_clamp 1
		.amdhsa_ieee_mode 1
		.amdhsa_fp16_overflow 0
		.amdhsa_exception_fp_ieee_invalid_op 0
		.amdhsa_exception_fp_denorm_src 0
		.amdhsa_exception_fp_ieee_div_zero 0
		.amdhsa_exception_fp_ieee_overflow 0
		.amdhsa_exception_fp_ieee_underflow 0
		.amdhsa_exception_fp_ieee_inexact 0
		.amdhsa_exception_int_div_zero 0
	.end_amdhsa_kernel
	.section	.text._ZN9rocsparseL18bsric0_9_16_kernelILi64ELi128ELi16EdEEv20rocsparse_direction_iiPKiS3_PT2_S3_PiS3_S6_21rocsparse_index_base_,"axG",@progbits,_ZN9rocsparseL18bsric0_9_16_kernelILi64ELi128ELi16EdEEv20rocsparse_direction_iiPKiS3_PT2_S3_PiS3_S6_21rocsparse_index_base_,comdat
.Lfunc_end36:
	.size	_ZN9rocsparseL18bsric0_9_16_kernelILi64ELi128ELi16EdEEv20rocsparse_direction_iiPKiS3_PT2_S3_PiS3_S6_21rocsparse_index_base_, .Lfunc_end36-_ZN9rocsparseL18bsric0_9_16_kernelILi64ELi128ELi16EdEEv20rocsparse_direction_iiPKiS3_PT2_S3_PiS3_S6_21rocsparse_index_base_
                                        ; -- End function
	.set _ZN9rocsparseL18bsric0_9_16_kernelILi64ELi128ELi16EdEEv20rocsparse_direction_iiPKiS3_PT2_S3_PiS3_S6_21rocsparse_index_base_.num_vgpr, 30
	.set _ZN9rocsparseL18bsric0_9_16_kernelILi64ELi128ELi16EdEEv20rocsparse_direction_iiPKiS3_PT2_S3_PiS3_S6_21rocsparse_index_base_.num_agpr, 0
	.set _ZN9rocsparseL18bsric0_9_16_kernelILi64ELi128ELi16EdEEv20rocsparse_direction_iiPKiS3_PT2_S3_PiS3_S6_21rocsparse_index_base_.numbered_sgpr, 54
	.set _ZN9rocsparseL18bsric0_9_16_kernelILi64ELi128ELi16EdEEv20rocsparse_direction_iiPKiS3_PT2_S3_PiS3_S6_21rocsparse_index_base_.num_named_barrier, 0
	.set _ZN9rocsparseL18bsric0_9_16_kernelILi64ELi128ELi16EdEEv20rocsparse_direction_iiPKiS3_PT2_S3_PiS3_S6_21rocsparse_index_base_.private_seg_size, 0
	.set _ZN9rocsparseL18bsric0_9_16_kernelILi64ELi128ELi16EdEEv20rocsparse_direction_iiPKiS3_PT2_S3_PiS3_S6_21rocsparse_index_base_.uses_vcc, 1
	.set _ZN9rocsparseL18bsric0_9_16_kernelILi64ELi128ELi16EdEEv20rocsparse_direction_iiPKiS3_PT2_S3_PiS3_S6_21rocsparse_index_base_.uses_flat_scratch, 0
	.set _ZN9rocsparseL18bsric0_9_16_kernelILi64ELi128ELi16EdEEv20rocsparse_direction_iiPKiS3_PT2_S3_PiS3_S6_21rocsparse_index_base_.has_dyn_sized_stack, 0
	.set _ZN9rocsparseL18bsric0_9_16_kernelILi64ELi128ELi16EdEEv20rocsparse_direction_iiPKiS3_PT2_S3_PiS3_S6_21rocsparse_index_base_.has_recursion, 0
	.set _ZN9rocsparseL18bsric0_9_16_kernelILi64ELi128ELi16EdEEv20rocsparse_direction_iiPKiS3_PT2_S3_PiS3_S6_21rocsparse_index_base_.has_indirect_call, 0
	.section	.AMDGPU.csdata,"",@progbits
; Kernel info:
; codeLenInByte = 3856
; TotalNumSgprs: 58
; NumVgprs: 30
; ScratchSize: 0
; MemoryBound: 0
; FloatMode: 240
; IeeeMode: 1
; LDSByteSize: 10240 bytes/workgroup (compile time only)
; SGPRBlocks: 12
; VGPRBlocks: 21
; NumSGPRsForWavesPerEU: 102
; NumVGPRsForWavesPerEU: 85
; Occupancy: 2
; WaveLimiterHint : 1
; COMPUTE_PGM_RSRC2:SCRATCH_EN: 0
; COMPUTE_PGM_RSRC2:USER_SGPR: 6
; COMPUTE_PGM_RSRC2:TRAP_HANDLER: 0
; COMPUTE_PGM_RSRC2:TGID_X_EN: 1
; COMPUTE_PGM_RSRC2:TGID_Y_EN: 0
; COMPUTE_PGM_RSRC2:TGID_Z_EN: 0
; COMPUTE_PGM_RSRC2:TIDIG_COMP_CNT: 1
	.section	.text._ZN9rocsparseL19bsric0_17_32_kernelILi64ELi128ELi32EdEEv20rocsparse_direction_iiPKiS3_PT2_S3_PiS3_S6_21rocsparse_index_base_,"axG",@progbits,_ZN9rocsparseL19bsric0_17_32_kernelILi64ELi128ELi32EdEEv20rocsparse_direction_iiPKiS3_PT2_S3_PiS3_S6_21rocsparse_index_base_,comdat
	.globl	_ZN9rocsparseL19bsric0_17_32_kernelILi64ELi128ELi32EdEEv20rocsparse_direction_iiPKiS3_PT2_S3_PiS3_S6_21rocsparse_index_base_ ; -- Begin function _ZN9rocsparseL19bsric0_17_32_kernelILi64ELi128ELi32EdEEv20rocsparse_direction_iiPKiS3_PT2_S3_PiS3_S6_21rocsparse_index_base_
	.p2align	8
	.type	_ZN9rocsparseL19bsric0_17_32_kernelILi64ELi128ELi32EdEEv20rocsparse_direction_iiPKiS3_PT2_S3_PiS3_S6_21rocsparse_index_base_,@function
_ZN9rocsparseL19bsric0_17_32_kernelILi64ELi128ELi32EdEEv20rocsparse_direction_iiPKiS3_PT2_S3_PiS3_S6_21rocsparse_index_base_: ; @_ZN9rocsparseL19bsric0_17_32_kernelILi64ELi128ELi32EdEEv20rocsparse_direction_iiPKiS3_PT2_S3_PiS3_S6_21rocsparse_index_base_
; %bb.0:
	s_load_dwordx8 s[8:15], s[4:5], 0x28
	s_mov_b32 s7, 0
	s_lshl_b64 s[0:1], s[6:7], 2
	s_waitcnt lgkmcnt(0)
	s_add_u32 s0, s12, s0
	s_addc_u32 s1, s13, s1
	s_load_dword s12, s[0:1], 0x0
	s_waitcnt lgkmcnt(0)
	s_ashr_i32 s13, s12, 31
	s_lshl_b64 s[6:7], s[12:13], 2
	s_add_u32 s0, s8, s6
	s_addc_u32 s1, s9, s7
	s_load_dword s33, s[0:1], 0x0
	s_load_dword s13, s[4:5], 0x48
	s_waitcnt lgkmcnt(0)
	s_cmp_lg_u32 s33, -1
	s_cbranch_scc0 .LBB37_118
; %bb.1:
	s_load_dwordx4 s[16:19], s[4:5], 0x10
	s_load_dwordx2 s[20:21], s[4:5], 0x20
	v_lshlrev_b32_e32 v2, 1, v1
	v_lshlrev_b32_e32 v14, 3, v1
	s_waitcnt lgkmcnt(0)
	s_add_u32 s0, s16, s6
	s_addc_u32 s1, s17, s7
	s_load_dword s0, s[0:1], 0x0
	s_waitcnt lgkmcnt(0)
	s_sub_i32 s48, s0, s13
	v_add3_u32 v2, v2, v0, s48
	v_cmp_ge_i32_e32 vcc, s33, v2
	s_and_saveexec_b64 s[0:1], vcc
	s_cbranch_execz .LBB37_4
; %bb.2:
	v_lshlrev_b32_e32 v3, 2, v0
	s_movk_i32 s2, 0x6700
	v_add3_u32 v4, v14, v3, s2
	s_mov_b64 s[2:3], 0
	v_mov_b32_e32 v5, s19
.LBB37_3:                               ; =>This Inner Loop Header: Depth=1
	v_ashrrev_i32_e32 v3, 31, v2
	v_lshlrev_b64 v[6:7], 2, v[2:3]
	v_add_u32_e32 v2, 64, v2
	v_add_co_u32_e32 v6, vcc, s18, v6
	v_addc_co_u32_e32 v7, vcc, v5, v7, vcc
	global_load_dword v3, v[6:7], off
	v_cmp_lt_i32_e32 vcc, s33, v2
	s_or_b64 s[2:3], vcc, s[2:3]
	s_waitcnt vmcnt(0)
	v_subrev_u32_e32 v3, s13, v3
	ds_write_b32 v4, v3
	v_add_u32_e32 v4, 0x100, v4
	s_andn2_b64 exec, exec, s[2:3]
	s_cbranch_execnz .LBB37_3
.LBB37_4:
	s_or_b64 exec, exec, s[0:1]
	v_cmp_gt_u32_e32 vcc, 32, v0
	v_lshlrev_b32_e32 v13, 3, v0
	s_and_saveexec_b64 s[0:1], vcc
	s_cbranch_execz .LBB37_7
; %bb.5:
	v_mul_u32_u24_e32 v2, 0x108, v1
	s_movk_i32 s2, 0x4200
	v_add3_u32 v5, v2, v13, s2
	v_mov_b32_e32 v2, 0
	v_add_u32_e32 v4, -2, v0
	s_mov_b64 s[2:3], 0
	v_mov_b32_e32 v3, v2
.LBB37_6:                               ; =>This Inner Loop Header: Depth=1
	v_add_u32_e32 v4, 2, v4
	v_cmp_lt_u32_e32 vcc, 29, v4
	ds_write_b64 v5, v[2:3]
	s_or_b64 s[2:3], vcc, s[2:3]
	v_add_u32_e32 v5, 16, v5
	s_andn2_b64 exec, exec, s[2:3]
	s_cbranch_execnz .LBB37_6
.LBB37_7:
	s_or_b64 exec, exec, s[0:1]
	s_load_dword s46, s[4:5], 0x8
	s_load_dword s47, s[4:5], 0x0
	s_cmp_ge_i32 s48, s33
	s_waitcnt lgkmcnt(0)
	v_cmp_gt_i32_e64 s[0:1], s46, v0
	s_cbranch_scc1 .LBB37_79
; %bb.8:
	v_or_b32_e32 v3, v0, v1
	s_mul_i32 s29, s46, s48
	v_cmp_ne_u32_e64 s[4:5], 0, v3
	v_add_u32_e32 v3, s29, v1
	s_cmp_eq_u32 s47, 0
	v_mul_lo_u32 v17, s46, v1
	v_mul_lo_u32 v20, s46, v3
	;; [unrolled: 1-line block ×3, first 2 shown]
	s_cselect_b64 s[22:23], -1, 0
	s_cmp_lg_u32 s47, 0
	s_movk_i32 s28, 0x108
	s_cselect_b64 s[24:25], -1, 0
	v_mov_b32_e32 v2, 0x2100
	s_cmp_gt_i32 s46, 0
	v_mad_u32_u24 v18, v1, s28, v13
	s_mul_i32 s49, s46, s46
	v_cmp_gt_i32_e64 s[2:3], s46, v1
	v_mul_u32_u24_e32 v15, 0x108, v1
	v_mad_u32_u24 v16, v1, s28, v2
	s_cselect_b64 s[26:27], -1, 0
	s_lshl_b32 s50, s46, 1
	v_add_u32_e32 v21, 0x4200, v18
	v_mad_u32_u24 v22, v0, s28, v2
	v_add_u32_e32 v23, 0x2100, v18
	v_mov_b32_e32 v2, 0
	v_mov_b32_e32 v24, 0x3ff00000
	s_mov_b32 s28, s48
	s_branch .LBB37_10
.LBB37_9:                               ;   in Loop: Header=BB37_10 Depth=1
	s_or_b64 exec, exec, s[30:31]
	s_add_i32 s28, s28, 1
	s_cmp_ge_i32 s28, s33
	s_waitcnt vmcnt(0)
	buffer_wbinvl1_vol
	v_add_u32_e32 v20, s49, v20
	s_cselect_b64 s[30:31], -1, 0
	s_and_b64 vcc, exec, s[30:31]
	s_cbranch_vccnz .LBB37_79
.LBB37_10:                              ; =>This Loop Header: Depth=1
                                        ;     Child Loop BB37_14 Depth 2
                                        ;     Child Loop BB37_26 Depth 2
	;; [unrolled: 1-line block ×4, first 2 shown]
                                        ;       Child Loop BB37_43 Depth 3
                                        ;         Child Loop BB37_48 Depth 4
                                        ;     Child Loop BB37_57 Depth 2
                                        ;       Child Loop BB37_64 Depth 3
                                        ;       Child Loop BB37_68 Depth 3
                                        ;     Child Loop BB37_73 Depth 2
	s_ashr_i32 s29, s28, 31
	s_lshl_b64 s[30:31], s[28:29], 2
	s_add_u32 s30, s18, s30
	s_addc_u32 s31, s19, s31
	s_load_dword s51, s[30:31], 0x0
	s_waitcnt lgkmcnt(0)
	s_sub_i32 s34, s51, s13
	s_ashr_i32 s35, s34, 31
	s_lshl_b64 s[30:31], s[34:35], 2
	s_add_u32 s36, s8, s30
	s_addc_u32 s37, s9, s31
	s_load_dword s52, s[36:37], 0x0
	s_waitcnt lgkmcnt(0)
	s_cmp_eq_u32 s52, -1
	s_cbranch_scc1 .LBB37_78
; %bb.11:                               ;   in Loop: Header=BB37_10 Depth=1
	s_add_u32 s36, s16, s30
	s_addc_u32 s37, s17, s31
	s_load_dword s35, s[36:37], 0x0
	s_mul_i32 s29, s28, s46
	s_and_saveexec_b64 s[36:37], s[0:1]
	s_cbranch_execz .LBB37_24
; %bb.12:                               ;   in Loop: Header=BB37_10 Depth=1
	s_mov_b64 s[38:39], 0
	v_mov_b32_e32 v6, v18
	v_mov_b32_e32 v7, v0
	s_branch .LBB37_14
.LBB37_13:                              ;   in Loop: Header=BB37_14 Depth=2
	s_or_b64 exec, exec, s[42:43]
	v_add_u32_e32 v7, 2, v7
	v_mov_b32_e32 v3, v2
	v_cmp_le_i32_e32 vcc, s46, v7
	s_waitcnt vmcnt(0)
	ds_write_b64 v6, v[4:5] offset:8448
	ds_write_b64 v6, v[2:3]
	s_or_b64 s[38:39], vcc, s[38:39]
	v_add_u32_e32 v6, 16, v6
	s_andn2_b64 exec, exec, s[38:39]
	s_cbranch_execz .LBB37_24
.LBB37_14:                              ;   Parent Loop BB37_10 Depth=1
                                        ; =>  This Inner Loop Header: Depth=2
	s_mov_b64 s[42:43], -1
	s_and_b64 vcc, exec, s[24:25]
	s_mov_b64 s[40:41], 0
                                        ; implicit-def: $vgpr3
	s_cbranch_vccz .LBB37_19
; %bb.15:                               ;   in Loop: Header=BB37_14 Depth=2
	s_mov_b64 s[42:43], 0
                                        ; implicit-def: $vgpr3
	s_and_saveexec_b64 s[44:45], s[2:3]
	s_xor_b64 s[44:45], exec, s[44:45]
; %bb.16:                               ;   in Loop: Header=BB37_14 Depth=2
	v_add_u32_e32 v3, s29, v7
	v_mad_u64_u32 v[3:4], s[54:55], v3, s46, v[1:2]
	s_mov_b64 s[40:41], exec
; %bb.17:                               ;   in Loop: Header=BB37_14 Depth=2
	s_or_b64 exec, exec, s[44:45]
	s_and_b64 vcc, exec, s[42:43]
	s_cbranch_vccnz .LBB37_20
.LBB37_18:                              ;   in Loop: Header=BB37_14 Depth=2
	v_mov_b32_e32 v4, 0
	v_mov_b32_e32 v5, 0
	s_and_saveexec_b64 s[42:43], s[40:41]
	s_cbranch_execz .LBB37_13
	s_branch .LBB37_23
.LBB37_19:                              ;   in Loop: Header=BB37_14 Depth=2
	s_and_b64 vcc, exec, s[42:43]
	s_cbranch_vccz .LBB37_18
.LBB37_20:                              ;   in Loop: Header=BB37_14 Depth=2
                                        ; implicit-def: $vgpr3
	s_and_saveexec_b64 s[42:43], s[2:3]
; %bb.21:                               ;   in Loop: Header=BB37_14 Depth=2
	v_add_u32_e32 v3, v20, v7
	s_or_b64 s[40:41], s[40:41], exec
; %bb.22:                               ;   in Loop: Header=BB37_14 Depth=2
	s_or_b64 exec, exec, s[42:43]
	v_mov_b32_e32 v4, 0
	v_mov_b32_e32 v5, 0
	s_and_saveexec_b64 s[42:43], s[40:41]
	s_cbranch_execz .LBB37_13
.LBB37_23:                              ;   in Loop: Header=BB37_14 Depth=2
	v_ashrrev_i32_e32 v4, 31, v3
	v_lshlrev_b64 v[3:4], 3, v[3:4]
	v_mov_b32_e32 v5, s21
	v_add_co_u32_e32 v3, vcc, s20, v3
	v_addc_co_u32_e32 v4, vcc, v5, v4, vcc
	global_load_dwordx2 v[4:5], v[3:4], off
	s_branch .LBB37_13
.LBB37_24:                              ;   in Loop: Header=BB37_10 Depth=1
	s_or_b64 exec, exec, s[36:37]
	ds_read_b32 v3, v2 offset:26368
	s_waitcnt lgkmcnt(0)
	s_sub_i32 s36, s35, s13
	s_cmp_le_i32 s36, s52
	s_cselect_b64 s[38:39], -1, 0
	s_mov_b32 s37, 0
	v_cmp_ge_i32_e32 vcc, s34, v3
	s_and_b64 s[38:39], s[38:39], vcc
	s_andn2_b64 vcc, exec, s[38:39]
	s_cbranch_vccnz .LBB37_36
; %bb.25:                               ;   in Loop: Header=BB37_10 Depth=1
	s_mov_b32 s35, 0
	s_mov_b32 s40, 0
.LBB37_26:                              ;   Parent Loop BB37_10 Depth=1
                                        ; =>  This Inner Loop Header: Depth=2
	s_ashr_i32 s37, s36, 31
	s_lshl_b64 s[38:39], s[36:37], 2
	s_add_u32 s38, s18, s38
	s_addc_u32 s39, s19, s39
	s_load_dword s37, s[38:39], 0x0
	s_lshl_b32 s38, s40, 2
	v_mov_b32_e32 v3, s38
	ds_read_b32 v3, v3 offset:26368
	s_mov_b64 s[38:39], -1
	s_waitcnt lgkmcnt(0)
	s_sub_i32 s44, s37, s13
                                        ; implicit-def: $sgpr37
                                        ; implicit-def: $sgpr43
                                        ; implicit-def: $sgpr42
	v_cmp_ge_i32_e32 vcc, s44, v3
	v_readfirstlane_b32 s41, v3
	s_cbranch_vccz .LBB37_32
; %bb.27:                               ;   in Loop: Header=BB37_26 Depth=2
	s_cmp_le_i32 s44, s41
                                        ; implicit-def: $sgpr37
                                        ; implicit-def: $sgpr43
                                        ; implicit-def: $sgpr42
	s_cbranch_scc0 .LBB37_29
; %bb.28:                               ;   in Loop: Header=BB37_26 Depth=2
	s_add_i32 s37, s40, s48
	s_mul_i32 s37, s37, s49
	s_lshl_b32 s38, s35, 2
	v_mov_b32_e32 v4, s37
	s_mul_i32 s37, s36, s49
	v_mov_b32_e32 v3, s38
	v_mov_b32_e32 v5, s37
	ds_write2st64_b32 v3, v5, v4 offset0:99 offset1:101
	s_add_i32 s42, s40, 1
	s_add_i32 s43, s36, 1
	;; [unrolled: 1-line block ×3, first 2 shown]
	s_mov_b64 s[38:39], 0
.LBB37_29:                              ;   in Loop: Header=BB37_26 Depth=2
	s_andn2_b64 vcc, exec, s[38:39]
	s_cbranch_vccnz .LBB37_31
; %bb.30:                               ;   in Loop: Header=BB37_26 Depth=2
	s_add_i32 s42, s40, 1
	s_mov_b32 s37, s35
	s_mov_b32 s43, s36
.LBB37_31:                              ;   in Loop: Header=BB37_26 Depth=2
	s_mov_b64 s[38:39], 0
.LBB37_32:                              ;   in Loop: Header=BB37_26 Depth=2
	s_andn2_b64 vcc, exec, s[38:39]
	s_cbranch_vccnz .LBB37_34
; %bb.33:                               ;   in Loop: Header=BB37_26 Depth=2
	s_add_i32 s43, s36, 1
	s_mov_b32 s42, s40
	s_mov_b32 s37, s35
.LBB37_34:                              ;   in Loop: Header=BB37_26 Depth=2
	s_cmp_le_i32 s43, s52
	s_cselect_b64 s[38:39], -1, 0
	s_cmp_le_i32 s41, s34
	s_cselect_b64 s[40:41], -1, 0
	s_and_b64 s[38:39], s[38:39], s[40:41]
	s_and_b64 vcc, exec, s[38:39]
	s_cbranch_vccz .LBB37_36
; %bb.35:                               ;   in Loop: Header=BB37_26 Depth=2
	s_mov_b32 s35, s37
	s_mov_b32 s36, s43
	;; [unrolled: 1-line block ×3, first 2 shown]
	s_branch .LBB37_26
.LBB37_36:                              ;   in Loop: Header=BB37_10 Depth=1
	s_add_u32 s30, s10, s30
	s_addc_u32 s31, s11, s31
	s_waitcnt lgkmcnt(0)
.LBB37_37:                              ;   Parent Loop BB37_10 Depth=1
                                        ; =>  This Inner Loop Header: Depth=2
	global_load_dword v3, v2, s[30:31] glc
	s_waitcnt vmcnt(0)
	v_cmp_eq_u32_e32 vcc, 0, v3
	s_cbranch_vccnz .LBB37_37
; %bb.38:                               ;   in Loop: Header=BB37_10 Depth=1
	s_cmp_lt_i32 s37, 2
	buffer_wbinvl1_vol
	s_cbranch_scc1 .LBB37_54
; %bb.39:                               ;   in Loop: Header=BB37_10 Depth=1
	s_add_i32 s38, s37, -2
	s_mov_b32 s39, 0
	s_branch .LBB37_41
.LBB37_40:                              ;   in Loop: Header=BB37_41 Depth=2
	s_or_b64 exec, exec, s[30:31]
	s_add_i32 s30, s39, 1
	s_cmp_eq_u32 s39, s38
	s_mov_b32 s39, s30
	s_cbranch_scc1 .LBB37_54
.LBB37_41:                              ;   Parent Loop BB37_10 Depth=1
                                        ; =>  This Loop Header: Depth=2
                                        ;       Child Loop BB37_43 Depth 3
                                        ;         Child Loop BB37_48 Depth 4
	s_and_saveexec_b64 s[30:31], s[0:1]
	s_cbranch_execz .LBB37_40
; %bb.42:                               ;   in Loop: Header=BB37_41 Depth=2
	s_lshl_b32 s34, s39, 2
	v_mov_b32_e32 v3, s34
	ds_read2st64_b32 v[3:4], v3 offset0:99 offset1:101
	s_mov_b64 s[34:35], 0
	v_mov_b32_e32 v29, v0
	s_waitcnt lgkmcnt(0)
	v_add_u32_e32 v25, v4, v17
	v_add_u32_e32 v26, v1, v4
	;; [unrolled: 1-line block ×4, first 2 shown]
.LBB37_43:                              ;   Parent Loop BB37_10 Depth=1
                                        ;     Parent Loop BB37_41 Depth=2
                                        ; =>    This Loop Header: Depth=3
                                        ;         Child Loop BB37_48 Depth 4
	v_mov_b32_e32 v7, 0
	v_mov_b32_e32 v8, 0
	s_mov_b32 s40, 0
	v_mov_b32_e32 v3, v27
	v_mov_b32_e32 v5, v26
	s_mov_b64 s[36:37], -1
	s_and_b64 vcc, exec, s[24:25]
                                        ; implicit-def: $vgpr9_vgpr10
	s_cbranch_vccz .LBB37_48
	s_branch .LBB37_45
.LBB37_44:                              ;   in Loop: Header=BB37_48 Depth=4
	v_mov_b32_e32 v7, v9
	v_mov_b32_e32 v8, v10
	s_mov_b64 s[36:37], -1
	s_and_b64 vcc, exec, s[24:25]
                                        ; implicit-def: $vgpr9_vgpr10
	s_cbranch_vccz .LBB37_48
.LBB37_45:                              ;   in Loop: Header=BB37_43 Depth=3
	v_ashrrev_i32_e32 v4, 31, v3
	v_lshlrev_b64 v[9:10], 3, v[3:4]
	v_mov_b32_e32 v4, s21
	v_add_co_u32_e32 v9, vcc, s20, v9
	v_addc_co_u32_e32 v10, vcc, v4, v10, vcc
	global_load_dwordx2 v[9:10], v[9:10], off
	v_mov_b32_e32 v11, 0
	v_mov_b32_e32 v12, 0
	s_and_saveexec_b64 s[36:37], s[2:3]
	s_cbranch_execz .LBB37_47
; %bb.46:                               ;   in Loop: Header=BB37_43 Depth=3
	v_ashrrev_i32_e32 v6, 31, v5
	v_lshlrev_b64 v[11:12], 3, v[5:6]
	v_mov_b32_e32 v4, s21
	v_add_co_u32_e32 v11, vcc, s20, v11
	v_addc_co_u32_e32 v12, vcc, v4, v12, vcc
	global_load_dwordx2 v[11:12], v[11:12], off
.LBB37_47:                              ;   in Loop: Header=BB37_43 Depth=3
	s_or_b64 exec, exec, s[36:37]
	s_waitcnt vmcnt(0)
	v_fma_f64 v[9:10], v[9:10], v[11:12], v[7:8]
	s_mov_b64 s[36:37], 0
.LBB37_48:                              ;   Parent Loop BB37_10 Depth=1
                                        ;     Parent Loop BB37_41 Depth=2
                                        ;       Parent Loop BB37_43 Depth=3
                                        ; =>      This Inner Loop Header: Depth=4
	s_and_b64 vcc, exec, s[36:37]
	s_cbranch_vccz .LBB37_52
; %bb.49:                               ;   in Loop: Header=BB37_48 Depth=4
	v_add_u32_e32 v9, s40, v28
	v_ashrrev_i32_e32 v10, 31, v9
	v_lshlrev_b64 v[9:10], 3, v[9:10]
	v_mov_b32_e32 v4, s21
	v_add_co_u32_e32 v9, vcc, s20, v9
	v_addc_co_u32_e32 v10, vcc, v4, v10, vcc
	global_load_dwordx2 v[9:10], v[9:10], off
	v_mov_b32_e32 v11, 0
	v_mov_b32_e32 v12, 0
	s_and_saveexec_b64 s[36:37], s[2:3]
	s_cbranch_execz .LBB37_51
; %bb.50:                               ;   in Loop: Header=BB37_48 Depth=4
	v_add_u32_e32 v11, s40, v25
	v_ashrrev_i32_e32 v12, 31, v11
	v_lshlrev_b64 v[11:12], 3, v[11:12]
	v_mov_b32_e32 v4, s21
	v_add_co_u32_e32 v11, vcc, s20, v11
	v_addc_co_u32_e32 v12, vcc, v4, v12, vcc
	global_load_dwordx2 v[11:12], v[11:12], off
.LBB37_51:                              ;   in Loop: Header=BB37_48 Depth=4
	s_or_b64 exec, exec, s[36:37]
	s_waitcnt vmcnt(0)
	v_fma_f64 v[9:10], v[9:10], v[11:12], v[7:8]
.LBB37_52:                              ;   in Loop: Header=BB37_48 Depth=4
	s_add_i32 s40, s40, 1
	v_add_u32_e32 v5, s46, v5
	s_cmp_eq_u32 s46, s40
	v_add_u32_e32 v3, s46, v3
	s_cbranch_scc0 .LBB37_44
; %bb.53:                               ;   in Loop: Header=BB37_43 Depth=3
	v_lshl_add_u32 v5, v29, 3, v15
	ds_read_b64 v[3:4], v5
	v_add_u32_e32 v29, 2, v29
	v_cmp_le_i32_e32 vcc, s46, v29
	v_add_u32_e32 v27, 2, v27
	s_or_b64 s[34:35], vcc, s[34:35]
	s_waitcnt lgkmcnt(0)
	v_add_f64 v[3:4], v[9:10], v[3:4]
	v_add_u32_e32 v28, s50, v28
	ds_write_b64 v5, v[3:4]
	s_andn2_b64 exec, exec, s[34:35]
	s_cbranch_execnz .LBB37_43
	s_branch .LBB37_40
.LBB37_54:                              ;   in Loop: Header=BB37_10 Depth=1
	s_andn2_b64 vcc, exec, s[26:27]
	s_waitcnt lgkmcnt(0)
	s_cbranch_vccnz .LBB37_69
; %bb.55:                               ;   in Loop: Header=BB37_10 Depth=1
	s_mul_i32 s36, s49, s52
	s_mov_b32 s37, 0
	v_mov_b32_e32 v9, v22
	s_mov_b32 s38, s36
	s_branch .LBB37_57
.LBB37_56:                              ;   in Loop: Header=BB37_57 Depth=2
	s_or_b64 exec, exec, s[30:31]
	s_add_i32 s37, s37, 1
	s_add_i32 s38, s38, 1
	s_cmp_eq_u32 s37, s46
	v_add_u32_e32 v9, 8, v9
	s_waitcnt lgkmcnt(0)
	s_cbranch_scc1 .LBB37_69
.LBB37_57:                              ;   Parent Loop BB37_10 Depth=1
                                        ; =>  This Loop Header: Depth=2
                                        ;       Child Loop BB37_64 Depth 3
                                        ;       Child Loop BB37_68 Depth 3
	s_mul_i32 s39, s37, s46
	s_add_i32 s39, s39, s36
	s_add_i32 s30, s39, s37
	s_ashr_i32 s31, s30, 31
	s_lshl_b64 s[30:31], s[30:31], 3
	s_add_u32 s30, s20, s30
	s_addc_u32 s31, s21, s31
	global_load_dwordx2 v[5:6], v2, s[30:31]
	v_lshl_add_u32 v10, s37, 3, v16
	ds_read_b64 v[3:4], v10
	s_waitcnt vmcnt(0)
	v_cmp_neq_f64_e32 vcc, 0, v[5:6]
	v_cndmask_b32_e32 v6, v24, v6, vcc
	s_nor_b64 s[34:35], vcc, s[4:5]
	v_cndmask_b32_e32 v5, 0, v5, vcc
	s_and_saveexec_b64 s[30:31], s[34:35]
	s_cbranch_execz .LBB37_61
; %bb.58:                               ;   in Loop: Header=BB37_57 Depth=2
	v_mbcnt_lo_u32_b32 v5, exec_lo, 0
	v_mbcnt_hi_u32_b32 v5, exec_hi, v5
	v_cmp_eq_u32_e32 vcc, 0, v5
	s_and_saveexec_b64 s[34:35], vcc
	s_cbranch_execz .LBB37_60
; %bb.59:                               ;   in Loop: Header=BB37_57 Depth=2
	v_mov_b32_e32 v5, s51
	global_atomic_smin v2, v5, s[14:15]
.LBB37_60:                              ;   in Loop: Header=BB37_57 Depth=2
	s_or_b64 exec, exec, s[34:35]
	v_mov_b32_e32 v5, 0
	v_mov_b32_e32 v6, 0x3ff00000
.LBB37_61:                              ;   in Loop: Header=BB37_57 Depth=2
	s_or_b64 exec, exec, s[30:31]
	v_lshl_add_u32 v7, s37, 3, v15
	ds_read_b64 v[7:8], v7
	s_cmp_eq_u32 s37, 0
	s_cbranch_scc1 .LBB37_66
; %bb.62:                               ;   in Loop: Header=BB37_57 Depth=2
	s_mov_b32 s34, 0
	s_mov_b32 s35, s37
	;; [unrolled: 1-line block ×3, first 2 shown]
	v_mov_b32_e32 v11, v16
	s_branch .LBB37_64
.LBB37_63:                              ;   in Loop: Header=BB37_64 Depth=3
	s_ashr_i32 s31, s30, 31
	s_lshl_b64 s[30:31], s[30:31], 3
	s_add_u32 s30, s20, s30
	s_addc_u32 s31, s21, s31
	global_load_dwordx2 v[25:26], v2, s[30:31]
	ds_read_b64 v[27:28], v11
	s_add_i32 s34, s34, 1
	s_add_i32 s40, s40, s46
	s_add_i32 s35, s35, -1
	s_cmp_eq_u32 s35, 0
	v_add_u32_e32 v11, 8, v11
	s_waitcnt vmcnt(0) lgkmcnt(0)
	v_fma_f64 v[7:8], v[25:26], v[27:28], v[7:8]
	s_cbranch_scc1 .LBB37_66
.LBB37_64:                              ;   Parent Loop BB37_10 Depth=1
                                        ;     Parent Loop BB37_57 Depth=2
                                        ; =>    This Inner Loop Header: Depth=3
	s_andn2_b64 vcc, exec, s[22:23]
	s_mov_b32 s30, s40
	s_cbranch_vccnz .LBB37_63
; %bb.65:                               ;   in Loop: Header=BB37_64 Depth=3
	s_add_i32 s30, s34, s39
	s_branch .LBB37_63
.LBB37_66:                              ;   in Loop: Header=BB37_57 Depth=2
	s_waitcnt lgkmcnt(0)
	v_add_f64 v[3:4], v[3:4], -v[7:8]
	v_div_scale_f64 v[7:8], s[30:31], v[5:6], v[5:6], v[3:4]
	v_rcp_f64_e32 v[11:12], v[7:8]
	v_fma_f64 v[25:26], -v[7:8], v[11:12], 1.0
	v_fma_f64 v[11:12], v[11:12], v[25:26], v[11:12]
	v_div_scale_f64 v[25:26], vcc, v[3:4], v[5:6], v[3:4]
	v_fma_f64 v[27:28], -v[7:8], v[11:12], 1.0
	v_fma_f64 v[11:12], v[11:12], v[27:28], v[11:12]
	v_mul_f64 v[27:28], v[25:26], v[11:12]
	v_fma_f64 v[7:8], -v[7:8], v[27:28], v[25:26]
	v_div_fmas_f64 v[7:8], v[7:8], v[11:12], v[27:28]
	v_div_fixup_f64 v[3:4], v[7:8], v[5:6], v[3:4]
	ds_write_b64 v10, v[3:4]
	s_waitcnt lgkmcnt(0)
	s_and_saveexec_b64 s[30:31], s[0:1]
	s_cbranch_execz .LBB37_56
; %bb.67:                               ;   in Loop: Header=BB37_57 Depth=2
	s_mov_b64 s[34:35], 0
	v_mov_b32_e32 v5, v9
	v_mov_b32_e32 v6, v21
	;; [unrolled: 1-line block ×3, first 2 shown]
.LBB37_68:                              ;   Parent Loop BB37_10 Depth=1
                                        ;     Parent Loop BB37_57 Depth=2
                                        ; =>    This Inner Loop Header: Depth=3
	ds_read_b64 v[10:11], v5
	ds_read_b64 v[25:26], v6
	v_add_u32_e32 v7, 2, v7
	v_cmp_le_i32_e32 vcc, s46, v7
	s_or_b64 s[34:35], vcc, s[34:35]
	v_add_u32_e32 v5, 0x210, v5
	s_waitcnt lgkmcnt(0)
	v_fma_f64 v[10:11], v[3:4], v[10:11], v[25:26]
	ds_write_b64 v6, v[10:11]
	v_add_u32_e32 v6, 16, v6
	s_andn2_b64 exec, exec, s[34:35]
	s_cbranch_execnz .LBB37_68
	s_branch .LBB37_56
.LBB37_69:                              ;   in Loop: Header=BB37_10 Depth=1
	s_and_saveexec_b64 s[30:31], s[0:1]
	s_cbranch_execz .LBB37_9
; %bb.70:                               ;   in Loop: Header=BB37_10 Depth=1
	s_mov_b64 s[34:35], 0
	v_mov_b32_e32 v7, v23
	v_mov_b32_e32 v8, v0
	s_branch .LBB37_73
.LBB37_71:                              ;   in Loop: Header=BB37_73 Depth=2
	v_ashrrev_i32_e32 v6, 31, v5
	v_lshlrev_b64 v[5:6], 3, v[5:6]
	v_mov_b32_e32 v9, s21
	v_add_co_u32_e32 v5, vcc, s20, v5
	v_addc_co_u32_e32 v6, vcc, v9, v6, vcc
	s_waitcnt lgkmcnt(0)
	global_store_dwordx2 v[5:6], v[3:4], off
.LBB37_72:                              ;   in Loop: Header=BB37_73 Depth=2
	s_or_b64 exec, exec, s[36:37]
	v_add_u32_e32 v8, 2, v8
	v_cmp_le_i32_e32 vcc, s46, v8
	s_or_b64 s[34:35], vcc, s[34:35]
	v_add_u32_e32 v7, 16, v7
	s_andn2_b64 exec, exec, s[34:35]
	s_cbranch_execz .LBB37_9
.LBB37_73:                              ;   Parent Loop BB37_10 Depth=1
                                        ; =>  This Inner Loop Header: Depth=2
	s_and_saveexec_b64 s[36:37], s[2:3]
	s_cbranch_execz .LBB37_72
; %bb.74:                               ;   in Loop: Header=BB37_73 Depth=2
	ds_read_b64 v[3:4], v7
	s_mov_b64 s[38:39], -1
	s_and_b64 vcc, exec, s[24:25]
                                        ; implicit-def: $vgpr5
	s_cbranch_vccz .LBB37_76
; %bb.75:                               ;   in Loop: Header=BB37_73 Depth=2
	v_add_u32_e32 v5, s29, v8
	v_mad_u64_u32 v[5:6], s[38:39], v5, s46, v[1:2]
	s_mov_b64 s[38:39], 0
.LBB37_76:                              ;   in Loop: Header=BB37_73 Depth=2
	s_andn2_b64 vcc, exec, s[38:39]
	s_cbranch_vccnz .LBB37_71
; %bb.77:                               ;   in Loop: Header=BB37_73 Depth=2
	v_add_u32_e32 v5, v20, v8
	s_branch .LBB37_71
.LBB37_78:                              ;   in Loop: Header=BB37_10 Depth=1
                                        ; implicit-def: $sgpr28
                                        ; implicit-def: $vgpr20
	s_cbranch_execz .LBB37_10
.LBB37_79:
	v_cmp_gt_i32_e64 s[0:1], s46, v0
	s_and_saveexec_b64 s[4:5], s[0:1]
	s_cbranch_execz .LBB37_92
; %bb.80:
	s_mul_i32 s26, s33, s46
	v_add_u32_e32 v2, s26, v1
	v_mul_lo_u32 v5, v2, s46
	s_cmp_lg_u32 s47, 0
	v_mul_u32_u24_e32 v2, 0x108, v1
	s_movk_i32 s16, 0x2100
	s_cselect_b64 s[8:9], -1, 0
	v_cmp_gt_i32_e64 s[2:3], s46, v1
	v_add3_u32 v6, v2, v13, s16
	s_mov_b64 s[16:17], 0
	v_mov_b32_e32 v7, v0
	s_branch .LBB37_82
.LBB37_81:                              ;   in Loop: Header=BB37_82 Depth=1
	s_or_b64 exec, exec, s[22:23]
	v_add_u32_e32 v7, 2, v7
	v_cmp_le_i32_e32 vcc, s46, v7
	s_waitcnt vmcnt(0)
	ds_write_b64 v6, v[3:4]
	s_or_b64 s[16:17], vcc, s[16:17]
	v_add_u32_e32 v6, 16, v6
	s_andn2_b64 exec, exec, s[16:17]
	s_cbranch_execz .LBB37_92
.LBB37_82:                              ; =>This Inner Loop Header: Depth=1
	s_and_b64 vcc, exec, s[8:9]
	s_cbranch_vccz .LBB37_89
; %bb.83:                               ;   in Loop: Header=BB37_82 Depth=1
	s_mov_b64 s[22:23], 0
	s_mov_b64 s[18:19], 0
                                        ; implicit-def: $vgpr2
	s_and_saveexec_b64 s[24:25], s[2:3]
	s_xor_b64 s[24:25], exec, s[24:25]
; %bb.84:                               ;   in Loop: Header=BB37_82 Depth=1
	v_add_u32_e32 v2, s26, v7
	s_mov_b64 s[18:19], exec
	v_mad_u64_u32 v[2:3], s[28:29], v2, s46, v[1:2]
; %bb.85:                               ;   in Loop: Header=BB37_82 Depth=1
	s_or_b64 exec, exec, s[24:25]
	s_and_b64 vcc, exec, s[22:23]
	s_cbranch_vccz .LBB37_90
.LBB37_86:                              ;   in Loop: Header=BB37_82 Depth=1
                                        ; implicit-def: $vgpr2
	s_and_saveexec_b64 s[22:23], s[2:3]
; %bb.87:                               ;   in Loop: Header=BB37_82 Depth=1
	v_add_u32_e32 v2, v5, v7
	s_or_b64 s[18:19], s[18:19], exec
; %bb.88:                               ;   in Loop: Header=BB37_82 Depth=1
	s_or_b64 exec, exec, s[22:23]
	v_mov_b32_e32 v3, 0
	v_mov_b32_e32 v4, 0
	s_and_saveexec_b64 s[22:23], s[18:19]
	s_cbranch_execz .LBB37_81
	s_branch .LBB37_91
.LBB37_89:                              ;   in Loop: Header=BB37_82 Depth=1
	s_mov_b64 s[18:19], 0
                                        ; implicit-def: $vgpr2
	s_cbranch_execnz .LBB37_86
.LBB37_90:                              ;   in Loop: Header=BB37_82 Depth=1
	v_mov_b32_e32 v3, 0
	v_mov_b32_e32 v4, 0
	s_and_saveexec_b64 s[22:23], s[18:19]
	s_cbranch_execz .LBB37_81
.LBB37_91:                              ;   in Loop: Header=BB37_82 Depth=1
	v_ashrrev_i32_e32 v3, 31, v2
	v_lshlrev_b64 v[2:3], 3, v[2:3]
	v_mov_b32_e32 v4, s21
	v_add_co_u32_e32 v2, vcc, s20, v2
	v_addc_co_u32_e32 v3, vcc, v4, v3, vcc
	global_load_dwordx2 v[3:4], v[2:3], off
	s_branch .LBB37_81
.LBB37_92:
	s_or_b64 exec, exec, s[4:5]
	s_cmp_lt_i32 s46, 1
	s_waitcnt lgkmcnt(0)
	s_cbranch_scc1 .LBB37_105
; %bb.93:
	v_or_b32_e32 v4, v0, v1
	s_movk_i32 s4, 0x108
	v_mov_b32_e32 v2, 0x2100
	v_mul_u32_u24_e32 v3, 0x108, v1
	v_cmp_ne_u32_e64 s[2:3], 0, v4
	s_movk_i32 s5, 0x4200
	v_mov_b32_e32 v4, 0x4200
	v_mad_u32_u24 v6, v1, s4, v2
	v_mad_u32_u24 v7, v1, s4, v4
	v_add3_u32 v10, v3, v13, s5
	v_mad_u32_u24 v11, v0, s4, v2
	s_mov_b32 s4, 0
	s_mov_b32 s18, 0
	s_add_i32 s19, s12, s13
	v_add_u32_e32 v8, v6, v14
	v_add_u32_e32 v9, v7, v14
	s_brev_b32 s5, 8
	v_mov_b32_e32 v12, 0x260
	v_mov_b32_e32 v14, 0x3ff00000
	;; [unrolled: 1-line block ×5, first 2 shown]
	s_branch .LBB37_95
.LBB37_94:                              ;   in Loop: Header=BB37_95 Depth=1
	s_or_b64 exec, exec, s[8:9]
	s_add_i32 s18, s18, 1
	s_cmp_eq_u32 s18, s46
	v_add_u32_e32 v11, 8, v11
	s_waitcnt lgkmcnt(0)
	s_cbranch_scc1 .LBB37_105
.LBB37_95:                              ; =>This Loop Header: Depth=1
                                        ;     Child Loop BB37_104 Depth 2
	v_cmp_eq_u32_e32 vcc, s18, v1
	s_and_saveexec_b64 s[8:9], vcc
	s_cbranch_execz .LBB37_97
; %bb.96:                               ;   in Loop: Header=BB37_95 Depth=1
	ds_read_b64 v[2:3], v8
	ds_read_b64 v[4:5], v9
	s_waitcnt lgkmcnt(0)
	v_add_f64 v[2:3], v[2:3], -v[4:5]
	v_cmp_gt_f64_e32 vcc, 0, v[2:3]
	v_xor_b32_e32 v4, 0x80000000, v3
	v_cndmask_b32_e32 v3, v3, v4, vcc
	v_cmp_gt_f64_e32 vcc, s[4:5], v[2:3]
	v_cndmask_b32_e32 v4, 0, v16, vcc
	v_ldexp_f64 v[2:3], v[2:3], v4
	v_rsq_f64_e32 v[4:5], v[2:3]
	v_mul_f64 v[18:19], v[2:3], v[4:5]
	v_mul_f64 v[4:5], v[4:5], 0.5
	v_fma_f64 v[20:21], -v[4:5], v[18:19], 0.5
	v_fma_f64 v[18:19], v[18:19], v[20:21], v[18:19]
	v_fma_f64 v[4:5], v[4:5], v[20:21], v[4:5]
	v_fma_f64 v[20:21], -v[18:19], v[18:19], v[2:3]
	v_fma_f64 v[18:19], v[20:21], v[4:5], v[18:19]
	v_fma_f64 v[20:21], -v[18:19], v[18:19], v[2:3]
	v_fma_f64 v[4:5], v[20:21], v[4:5], v[18:19]
	v_cndmask_b32_e32 v18, 0, v17, vcc
	v_cmp_class_f64_e32 vcc, v[2:3], v12
	v_ldexp_f64 v[4:5], v[4:5], v18
	v_cndmask_b32_e32 v3, v5, v3, vcc
	v_cndmask_b32_e32 v2, v4, v2, vcc
	ds_write_b64 v8, v[2:3]
.LBB37_97:                              ;   in Loop: Header=BB37_95 Depth=1
	s_or_b64 exec, exec, s[8:9]
	s_lshl_b32 s8, s18, 3
	s_mul_i32 s9, s18, 0x108
	s_add_i32 s9, s9, s8
	v_mov_b32_e32 v2, s9
	s_waitcnt lgkmcnt(0)
	ds_read_b64 v[4:5], v2 offset:8448
	v_add_u32_e32 v18, s8, v6
	ds_read_b64 v[2:3], v18
	s_waitcnt lgkmcnt(1)
	v_cmp_neq_f64_e32 vcc, 0, v[4:5]
	v_cndmask_b32_e32 v5, v14, v5, vcc
	s_nor_b64 s[16:17], vcc, s[2:3]
	v_cndmask_b32_e32 v4, 0, v4, vcc
	s_and_saveexec_b64 s[8:9], s[16:17]
	s_cbranch_execz .LBB37_101
; %bb.98:                               ;   in Loop: Header=BB37_95 Depth=1
	v_mbcnt_lo_u32_b32 v4, exec_lo, 0
	v_mbcnt_hi_u32_b32 v4, exec_hi, v4
	v_cmp_eq_u32_e32 vcc, 0, v4
	s_and_saveexec_b64 s[16:17], vcc
	s_cbranch_execz .LBB37_100
; %bb.99:                               ;   in Loop: Header=BB37_95 Depth=1
	v_mov_b32_e32 v4, s19
	global_atomic_smin v15, v4, s[14:15]
.LBB37_100:                             ;   in Loop: Header=BB37_95 Depth=1
	s_or_b64 exec, exec, s[16:17]
	v_mov_b32_e32 v4, 0
	v_mov_b32_e32 v5, 0x3ff00000
.LBB37_101:                             ;   in Loop: Header=BB37_95 Depth=1
	s_or_b64 exec, exec, s[8:9]
	v_cmp_lt_u32_e32 vcc, s18, v1
	s_and_saveexec_b64 s[8:9], vcc
	s_cbranch_execz .LBB37_94
; %bb.102:                              ;   in Loop: Header=BB37_95 Depth=1
	v_lshl_add_u32 v19, s18, 3, v7
	ds_read_b64 v[19:20], v19
	s_waitcnt lgkmcnt(0)
	v_add_f64 v[2:3], v[2:3], -v[19:20]
	v_div_scale_f64 v[19:20], s[16:17], v[4:5], v[4:5], v[2:3]
	v_rcp_f64_e32 v[21:22], v[19:20]
	v_fma_f64 v[23:24], -v[19:20], v[21:22], 1.0
	v_fma_f64 v[21:22], v[21:22], v[23:24], v[21:22]
	v_div_scale_f64 v[23:24], vcc, v[2:3], v[4:5], v[2:3]
	v_fma_f64 v[25:26], -v[19:20], v[21:22], 1.0
	v_fma_f64 v[21:22], v[21:22], v[25:26], v[21:22]
	v_mul_f64 v[25:26], v[23:24], v[21:22]
	v_fma_f64 v[19:20], -v[19:20], v[25:26], v[23:24]
	v_div_fmas_f64 v[19:20], v[19:20], v[21:22], v[25:26]
	v_div_fixup_f64 v[2:3], v[19:20], v[4:5], v[2:3]
	ds_write_b64 v18, v[2:3]
	s_waitcnt lgkmcnt(0)
	s_and_b64 exec, exec, s[0:1]
	s_cbranch_execz .LBB37_94
; %bb.103:                              ;   in Loop: Header=BB37_95 Depth=1
	s_mov_b64 s[16:17], 0
	v_mov_b32_e32 v4, v11
	v_mov_b32_e32 v5, v10
	;; [unrolled: 1-line block ×3, first 2 shown]
.LBB37_104:                             ;   Parent Loop BB37_95 Depth=1
                                        ; =>  This Inner Loop Header: Depth=2
	ds_read_b64 v[19:20], v4
	ds_read_b64 v[21:22], v5
	v_add_u32_e32 v18, 2, v18
	v_cmp_le_i32_e32 vcc, s46, v18
	s_or_b64 s[16:17], vcc, s[16:17]
	v_add_u32_e32 v4, 0x210, v4
	s_waitcnt lgkmcnt(0)
	v_fma_f64 v[19:20], v[2:3], v[19:20], v[21:22]
	ds_write_b64 v5, v[19:20]
	v_add_u32_e32 v5, 16, v5
	s_andn2_b64 exec, exec, s[16:17]
	s_cbranch_execnz .LBB37_104
	s_branch .LBB37_94
.LBB37_105:
	s_and_saveexec_b64 s[2:3], s[0:1]
	s_cbranch_execz .LBB37_114
; %bb.106:
	s_mul_i32 s33, s33, s46
	v_add_u32_e32 v2, s33, v1
	v_mul_lo_u32 v6, v2, s46
	s_cmp_lg_u32 s47, 0
	v_mul_u32_u24_e32 v2, 0x108, v1
	s_movk_i32 s8, 0x2100
	v_cmp_gt_i32_e64 s[0:1], s46, v1
	s_cselect_b64 s[4:5], -1, 0
	v_add3_u32 v7, v2, v13, s8
	s_mov_b64 s[8:9], 0
	v_mov_b32_e32 v8, v0
	s_branch .LBB37_110
.LBB37_107:                             ;   in Loop: Header=BB37_110 Depth=1
	v_add_u32_e32 v4, v6, v8
.LBB37_108:                             ;   in Loop: Header=BB37_110 Depth=1
	v_ashrrev_i32_e32 v5, 31, v4
	v_lshlrev_b64 v[4:5], 3, v[4:5]
	v_mov_b32_e32 v9, s21
	v_add_co_u32_e32 v4, vcc, s20, v4
	v_addc_co_u32_e32 v5, vcc, v9, v5, vcc
	s_waitcnt lgkmcnt(0)
	global_store_dwordx2 v[4:5], v[2:3], off
.LBB37_109:                             ;   in Loop: Header=BB37_110 Depth=1
	s_or_b64 exec, exec, s[16:17]
	v_add_u32_e32 v8, 2, v8
	v_cmp_le_i32_e32 vcc, s46, v8
	s_or_b64 s[8:9], vcc, s[8:9]
	v_add_u32_e32 v7, 16, v7
	s_andn2_b64 exec, exec, s[8:9]
	s_cbranch_execz .LBB37_114
.LBB37_110:                             ; =>This Inner Loop Header: Depth=1
	s_and_saveexec_b64 s[16:17], s[0:1]
	s_cbranch_execz .LBB37_109
; %bb.111:                              ;   in Loop: Header=BB37_110 Depth=1
	ds_read_b64 v[2:3], v7
	s_and_b64 vcc, exec, s[4:5]
	s_cbranch_vccz .LBB37_113
; %bb.112:                              ;   in Loop: Header=BB37_110 Depth=1
	v_add_u32_e32 v4, s33, v8
	s_waitcnt lgkmcnt(0)
	v_mad_u64_u32 v[4:5], s[18:19], v4, s46, v[1:2]
	s_cbranch_execnz .LBB37_108
	s_branch .LBB37_107
.LBB37_113:                             ;   in Loop: Header=BB37_110 Depth=1
                                        ; implicit-def: $vgpr4
	s_branch .LBB37_107
.LBB37_114:
	s_or_b64 exec, exec, s[2:3]
	v_or_b32_e32 v2, v0, v1
	v_cmp_eq_u32_e32 vcc, 0, v2
	s_and_saveexec_b64 s[0:1], vcc
	s_cbranch_execz .LBB37_116
; %bb.115:
	s_add_u32 s2, s10, s6
	s_addc_u32 s3, s11, s7
	v_mov_b32_e32 v2, 0
	v_mov_b32_e32 v3, 1
	s_waitcnt vmcnt(0)
	global_store_dword v2, v3, s[2:3]
.LBB37_116:
	s_or_b64 exec, exec, s[0:1]
.LBB37_117:
	s_endpgm
.LBB37_118:
	s_cbranch_execz .LBB37_117
; %bb.119:
	v_or_b32_e32 v0, v0, v1
	v_cmp_eq_u32_e32 vcc, 0, v0
	s_and_saveexec_b64 s[0:1], vcc
	s_cbranch_execz .LBB37_117
; %bb.120:
	v_mbcnt_lo_u32_b32 v0, exec_lo, 0
	v_mbcnt_hi_u32_b32 v0, exec_hi, v0
	v_cmp_eq_u32_e32 vcc, 0, v0
	s_and_saveexec_b64 s[0:1], vcc
	s_cbranch_execz .LBB37_122
; %bb.121:
	s_add_i32 s2, s12, s13
	v_mov_b32_e32 v0, 0
	v_mov_b32_e32 v1, s2
	global_atomic_smin v0, v1, s[14:15]
.LBB37_122:
	s_or_b64 exec, exec, s[0:1]
	s_add_u32 s0, s10, s6
	s_addc_u32 s1, s11, s7
	v_mov_b32_e32 v0, 0
	v_mov_b32_e32 v1, 1
	s_waitcnt vmcnt(0)
	global_store_dword v0, v1, s[0:1]
	s_endpgm
	.section	.rodata,"a",@progbits
	.p2align	6, 0x0
	.amdhsa_kernel _ZN9rocsparseL19bsric0_17_32_kernelILi64ELi128ELi32EdEEv20rocsparse_direction_iiPKiS3_PT2_S3_PiS3_S6_21rocsparse_index_base_
		.amdhsa_group_segment_fixed_size 26880
		.amdhsa_private_segment_fixed_size 0
		.amdhsa_kernarg_size 76
		.amdhsa_user_sgpr_count 6
		.amdhsa_user_sgpr_private_segment_buffer 1
		.amdhsa_user_sgpr_dispatch_ptr 0
		.amdhsa_user_sgpr_queue_ptr 0
		.amdhsa_user_sgpr_kernarg_segment_ptr 1
		.amdhsa_user_sgpr_dispatch_id 0
		.amdhsa_user_sgpr_flat_scratch_init 0
		.amdhsa_user_sgpr_private_segment_size 0
		.amdhsa_uses_dynamic_stack 0
		.amdhsa_system_sgpr_private_segment_wavefront_offset 0
		.amdhsa_system_sgpr_workgroup_id_x 1
		.amdhsa_system_sgpr_workgroup_id_y 0
		.amdhsa_system_sgpr_workgroup_id_z 0
		.amdhsa_system_sgpr_workgroup_info 0
		.amdhsa_system_vgpr_workitem_id 1
		.amdhsa_next_free_vgpr 129
		.amdhsa_next_free_sgpr 98
		.amdhsa_reserve_vcc 1
		.amdhsa_reserve_flat_scratch 0
		.amdhsa_float_round_mode_32 0
		.amdhsa_float_round_mode_16_64 0
		.amdhsa_float_denorm_mode_32 3
		.amdhsa_float_denorm_mode_16_64 3
		.amdhsa_dx10_clamp 1
		.amdhsa_ieee_mode 1
		.amdhsa_fp16_overflow 0
		.amdhsa_exception_fp_ieee_invalid_op 0
		.amdhsa_exception_fp_denorm_src 0
		.amdhsa_exception_fp_ieee_div_zero 0
		.amdhsa_exception_fp_ieee_overflow 0
		.amdhsa_exception_fp_ieee_underflow 0
		.amdhsa_exception_fp_ieee_inexact 0
		.amdhsa_exception_int_div_zero 0
	.end_amdhsa_kernel
	.section	.text._ZN9rocsparseL19bsric0_17_32_kernelILi64ELi128ELi32EdEEv20rocsparse_direction_iiPKiS3_PT2_S3_PiS3_S6_21rocsparse_index_base_,"axG",@progbits,_ZN9rocsparseL19bsric0_17_32_kernelILi64ELi128ELi32EdEEv20rocsparse_direction_iiPKiS3_PT2_S3_PiS3_S6_21rocsparse_index_base_,comdat
.Lfunc_end37:
	.size	_ZN9rocsparseL19bsric0_17_32_kernelILi64ELi128ELi32EdEEv20rocsparse_direction_iiPKiS3_PT2_S3_PiS3_S6_21rocsparse_index_base_, .Lfunc_end37-_ZN9rocsparseL19bsric0_17_32_kernelILi64ELi128ELi32EdEEv20rocsparse_direction_iiPKiS3_PT2_S3_PiS3_S6_21rocsparse_index_base_
                                        ; -- End function
	.set _ZN9rocsparseL19bsric0_17_32_kernelILi64ELi128ELi32EdEEv20rocsparse_direction_iiPKiS3_PT2_S3_PiS3_S6_21rocsparse_index_base_.num_vgpr, 30
	.set _ZN9rocsparseL19bsric0_17_32_kernelILi64ELi128ELi32EdEEv20rocsparse_direction_iiPKiS3_PT2_S3_PiS3_S6_21rocsparse_index_base_.num_agpr, 0
	.set _ZN9rocsparseL19bsric0_17_32_kernelILi64ELi128ELi32EdEEv20rocsparse_direction_iiPKiS3_PT2_S3_PiS3_S6_21rocsparse_index_base_.numbered_sgpr, 56
	.set _ZN9rocsparseL19bsric0_17_32_kernelILi64ELi128ELi32EdEEv20rocsparse_direction_iiPKiS3_PT2_S3_PiS3_S6_21rocsparse_index_base_.num_named_barrier, 0
	.set _ZN9rocsparseL19bsric0_17_32_kernelILi64ELi128ELi32EdEEv20rocsparse_direction_iiPKiS3_PT2_S3_PiS3_S6_21rocsparse_index_base_.private_seg_size, 0
	.set _ZN9rocsparseL19bsric0_17_32_kernelILi64ELi128ELi32EdEEv20rocsparse_direction_iiPKiS3_PT2_S3_PiS3_S6_21rocsparse_index_base_.uses_vcc, 1
	.set _ZN9rocsparseL19bsric0_17_32_kernelILi64ELi128ELi32EdEEv20rocsparse_direction_iiPKiS3_PT2_S3_PiS3_S6_21rocsparse_index_base_.uses_flat_scratch, 0
	.set _ZN9rocsparseL19bsric0_17_32_kernelILi64ELi128ELi32EdEEv20rocsparse_direction_iiPKiS3_PT2_S3_PiS3_S6_21rocsparse_index_base_.has_dyn_sized_stack, 0
	.set _ZN9rocsparseL19bsric0_17_32_kernelILi64ELi128ELi32EdEEv20rocsparse_direction_iiPKiS3_PT2_S3_PiS3_S6_21rocsparse_index_base_.has_recursion, 0
	.set _ZN9rocsparseL19bsric0_17_32_kernelILi64ELi128ELi32EdEEv20rocsparse_direction_iiPKiS3_PT2_S3_PiS3_S6_21rocsparse_index_base_.has_indirect_call, 0
	.section	.AMDGPU.csdata,"",@progbits
; Kernel info:
; codeLenInByte = 3692
; TotalNumSgprs: 60
; NumVgprs: 30
; ScratchSize: 0
; MemoryBound: 0
; FloatMode: 240
; IeeeMode: 1
; LDSByteSize: 26880 bytes/workgroup (compile time only)
; SGPRBlocks: 12
; VGPRBlocks: 32
; NumSGPRsForWavesPerEU: 102
; NumVGPRsForWavesPerEU: 129
; Occupancy: 1
; WaveLimiterHint : 1
; COMPUTE_PGM_RSRC2:SCRATCH_EN: 0
; COMPUTE_PGM_RSRC2:USER_SGPR: 6
; COMPUTE_PGM_RSRC2:TRAP_HANDLER: 0
; COMPUTE_PGM_RSRC2:TGID_X_EN: 1
; COMPUTE_PGM_RSRC2:TGID_Y_EN: 0
; COMPUTE_PGM_RSRC2:TGID_Z_EN: 0
; COMPUTE_PGM_RSRC2:TIDIG_COMP_CNT: 1
	.section	.text._ZN9rocsparseL23bsric0_binsearch_kernelILj32ELj32ELb0E21rocsparse_complex_numIfEEEv20rocsparse_direction_iiPKiS5_PT2_S5_PiS5_S8_21rocsparse_index_base_,"axG",@progbits,_ZN9rocsparseL23bsric0_binsearch_kernelILj32ELj32ELb0E21rocsparse_complex_numIfEEEv20rocsparse_direction_iiPKiS5_PT2_S5_PiS5_S8_21rocsparse_index_base_,comdat
	.globl	_ZN9rocsparseL23bsric0_binsearch_kernelILj32ELj32ELb0E21rocsparse_complex_numIfEEEv20rocsparse_direction_iiPKiS5_PT2_S5_PiS5_S8_21rocsparse_index_base_ ; -- Begin function _ZN9rocsparseL23bsric0_binsearch_kernelILj32ELj32ELb0E21rocsparse_complex_numIfEEEv20rocsparse_direction_iiPKiS5_PT2_S5_PiS5_S8_21rocsparse_index_base_
	.p2align	8
	.type	_ZN9rocsparseL23bsric0_binsearch_kernelILj32ELj32ELb0E21rocsparse_complex_numIfEEEv20rocsparse_direction_iiPKiS5_PT2_S5_PiS5_S8_21rocsparse_index_base_,@function
_ZN9rocsparseL23bsric0_binsearch_kernelILj32ELj32ELb0E21rocsparse_complex_numIfEEEv20rocsparse_direction_iiPKiS5_PT2_S5_PiS5_S8_21rocsparse_index_base_: ; @_ZN9rocsparseL23bsric0_binsearch_kernelILj32ELj32ELb0E21rocsparse_complex_numIfEEEv20rocsparse_direction_iiPKiS5_PT2_S5_PiS5_S8_21rocsparse_index_base_
; %bb.0:
	s_load_dwordx8 s[16:23], s[4:5], 0x28
	s_ashr_i32 s7, s6, 31
	s_lshl_b64 s[0:1], s[6:7], 2
	v_mov_b32_e32 v1, 0
	s_load_dword s33, s[4:5], 0x48
	s_waitcnt lgkmcnt(0)
	s_add_u32 s0, s20, s0
	s_addc_u32 s1, s21, s1
	global_load_dword v3, v1, s[0:1]
	v_mov_b32_e32 v5, s17
	s_waitcnt vmcnt(0)
	v_ashrrev_i32_e32 v4, 31, v3
	v_lshlrev_b64 v[1:2], 2, v[3:4]
	v_add_co_u32_e32 v4, vcc, s16, v1
	v_addc_co_u32_e32 v5, vcc, v5, v2, vcc
	global_load_dword v17, v[4:5], off
	s_waitcnt vmcnt(0)
	v_readfirstlane_b32 s0, v17
	s_cmp_lg_u32 s0, -1
	s_cselect_b64 s[0:1], -1, 0
	s_and_saveexec_b64 s[2:3], s[0:1]
	s_xor_b64 s[14:15], exec, s[2:3]
	s_cbranch_execz .LBB38_76
; %bb.1:
	s_load_dword s50, s[4:5], 0x8
	s_waitcnt lgkmcnt(0)
	v_cmp_gt_i32_e32 vcc, s50, v0
	s_and_saveexec_b64 s[20:21], vcc
	s_cbranch_execz .LBB38_73
; %bb.2:
	s_load_dwordx4 s[24:27], s[4:5], 0x10
	s_load_dword s6, s[4:5], 0x0
	s_mul_i32 s51, s50, s50
	s_load_dwordx2 s[28:29], s[4:5], 0x20
	v_mul_lo_u32 v20, v17, s51
	s_waitcnt lgkmcnt(0)
	v_mov_b32_e32 v5, s25
	v_add_co_u32_e32 v4, vcc, s24, v1
	v_addc_co_u32_e32 v5, vcc, v5, v2, vcc
	global_load_dwordx2 v[5:6], v[4:5], off
	s_cmp_eq_u32 s6, 0
	v_add_u32_e32 v18, s33, v3
	v_mov_b32_e32 v3, s27
	s_cselect_b64 s[2:3], -1, 0
	s_cmp_lg_u32 s6, 0
	v_cmp_ne_u32_e64 s[0:1], 0, v0
	s_mov_b64 s[30:31], 0
	v_mov_b32_e32 v4, 0
	s_mov_b32 s52, 0xf800000
	v_mov_b32_e32 v19, 0x260
	s_cselect_b64 s[34:35], -1, 0
	v_mov_b32_e32 v25, v0
	s_waitcnt vmcnt(0)
	v_subrev_u32_e32 v21, s33, v5
	v_xad_u32 v22, s33, -1, v6
	v_add_u32_e32 v5, v22, v21
	v_ashrrev_i32_e32 v5, 1, v5
	v_mul_lo_u32 v23, s51, v21
	v_ashrrev_i32_e32 v6, 31, v5
	v_lshlrev_b64 v[6:7], 2, v[5:6]
	v_cmp_lt_i32_e64 s[4:5], v21, v17
	v_add_co_u32_e32 v6, vcc, s26, v6
	v_cmp_ge_i32_e64 s[6:7], v21, v17
	v_cmp_lt_i32_e64 s[8:9], v21, v22
	v_add_u32_e32 v24, v23, v0
	v_addc_co_u32_e32 v7, vcc, v3, v7, vcc
	s_branch .LBB38_4
.LBB38_3:                               ;   in Loop: Header=BB38_4 Depth=1
	v_add_u32_e32 v25, 32, v25
	v_cmp_le_i32_e32 vcc, s50, v25
	s_or_b64 s[30:31], vcc, s[30:31]
	v_add_u32_e32 v24, 32, v24
	s_andn2_b64 exec, exec, s[30:31]
	s_cbranch_execz .LBB38_73
.LBB38_4:                               ; =>This Loop Header: Depth=1
                                        ;     Child Loop BB38_10 Depth 2
                                        ;       Child Loop BB38_13 Depth 3
                                        ;       Child Loop BB38_17 Depth 3
                                        ;         Child Loop BB38_19 Depth 4
                                        ;         Child Loop BB38_26 Depth 4
                                        ;           Child Loop BB38_28 Depth 5
                                        ;           Child Loop BB38_34 Depth 5
                                        ;     Child Loop BB38_41 Depth 2
                                        ;       Child Loop BB38_51 Depth 3
                                        ;       Child Loop BB38_59 Depth 3
                                        ;         Child Loop BB38_61 Depth 4
                                        ;       Child Loop BB38_69 Depth 3
	v_mul_lo_u32 v26, v25, s50
	s_and_saveexec_b64 s[10:11], s[6:7]
	s_xor_b64 s[10:11], exec, s[10:11]
; %bb.5:                                ;   in Loop: Header=BB38_4 Depth=1
	v_mul_lo_u32 v26, v25, s50
; %bb.6:                                ;   in Loop: Header=BB38_4 Depth=1
	s_or_saveexec_b64 s[36:37], s[10:11]
	v_mov_b32_e32 v27, 0
	v_mov_b32_e32 v28, 0
	s_xor_b64 exec, exec, s[36:37]
	s_cbranch_execz .LBB38_38
; %bb.7:                                ;   in Loop: Header=BB38_4 Depth=1
	v_mov_b32_e32 v27, 0
	s_mov_b64 s[38:39], 0
	v_mov_b32_e32 v8, v21
	v_mov_b32_e32 v28, 0
                                        ; implicit-def: $sgpr40_sgpr41
	s_branch .LBB38_10
.LBB38_8:                               ;   in Loop: Header=BB38_10 Depth=2
	v_add_u32_e32 v8, 1, v8
	v_cmp_ge_i32_e32 vcc, v8, v17
	s_andn2_b64 s[10:11], s[40:41], exec
	s_and_b64 s[12:13], vcc, exec
	s_or_b64 s[40:41], s[10:11], s[12:13]
.LBB38_9:                               ;   in Loop: Header=BB38_10 Depth=2
	s_or_b64 exec, exec, s[42:43]
	s_and_b64 s[10:11], exec, s[40:41]
	s_or_b64 s[38:39], s[10:11], s[38:39]
	s_andn2_b64 exec, exec, s[38:39]
	s_cbranch_execz .LBB38_37
.LBB38_10:                              ;   Parent Loop BB38_4 Depth=1
                                        ; =>  This Loop Header: Depth=2
                                        ;       Child Loop BB38_13 Depth 3
                                        ;       Child Loop BB38_17 Depth 3
                                        ;         Child Loop BB38_19 Depth 4
                                        ;         Child Loop BB38_26 Depth 4
                                        ;           Child Loop BB38_28 Depth 5
                                        ;           Child Loop BB38_34 Depth 5
	v_ashrrev_i32_e32 v9, 31, v8
	v_lshlrev_b64 v[9:10], 2, v[8:9]
	v_mov_b32_e32 v3, s27
	v_add_co_u32_e32 v9, vcc, s26, v9
	v_addc_co_u32_e32 v10, vcc, v3, v10, vcc
	global_load_dword v3, v[9:10], off
	v_mov_b32_e32 v13, s17
	s_or_b64 s[40:41], s[40:41], exec
	s_waitcnt vmcnt(0)
	v_subrev_u32_e32 v9, s33, v3
	v_ashrrev_i32_e32 v10, 31, v9
	v_lshlrev_b64 v[10:11], 2, v[9:10]
	v_add_co_u32_e32 v12, vcc, s16, v10
	v_addc_co_u32_e32 v13, vcc, v13, v11, vcc
	global_load_dword v29, v[12:13], off
	s_waitcnt vmcnt(0)
	v_cmp_ne_u32_e32 vcc, -1, v29
	s_and_saveexec_b64 s[42:43], vcc
	s_cbranch_execz .LBB38_9
; %bb.11:                               ;   in Loop: Header=BB38_10 Depth=2
	v_mov_b32_e32 v13, s25
	v_add_co_u32_e32 v12, vcc, s24, v10
	v_addc_co_u32_e32 v13, vcc, v13, v11, vcc
	global_load_dword v12, v[12:13], off
	v_mov_b32_e32 v13, s19
	v_add_co_u32_e32 v10, vcc, s18, v10
	v_addc_co_u32_e32 v11, vcc, v13, v11, vcc
	global_load_dword v13, v[10:11], off glc
	s_waitcnt vmcnt(0)
	v_cmp_eq_u32_e32 vcc, 0, v13
	s_and_saveexec_b64 s[10:11], vcc
	s_cbranch_execz .LBB38_14
; %bb.12:                               ;   in Loop: Header=BB38_10 Depth=2
	s_mov_b64 s[12:13], 0
.LBB38_13:                              ;   Parent Loop BB38_4 Depth=1
                                        ;     Parent Loop BB38_10 Depth=2
                                        ; =>    This Inner Loop Header: Depth=3
	global_load_dword v13, v[10:11], off glc
	s_waitcnt vmcnt(0)
	v_cmp_ne_u32_e32 vcc, 0, v13
	s_or_b64 s[12:13], vcc, s[12:13]
	s_andn2_b64 exec, exec, s[12:13]
	s_cbranch_execnz .LBB38_13
.LBB38_14:                              ;   in Loop: Header=BB38_10 Depth=2
	s_or_b64 exec, exec, s[10:11]
	v_subrev_u32_e32 v30, s33, v12
	v_mul_lo_u32 v10, v8, s51
	v_mul_lo_u32 v31, v9, s50
	;; [unrolled: 1-line block ×4, first 2 shown]
	v_add_u32_e32 v33, v10, v25
	v_add_u32_e32 v35, v10, v26
	v_cmp_le_i32_e64 s[10:11], v30, v29
	s_mov_b32 s53, 0
	buffer_wbinvl1_vol
	s_branch .LBB38_17
.LBB38_15:                              ;   in Loop: Header=BB38_17 Depth=3
	s_or_b64 exec, exec, s[44:45]
.LBB38_16:                              ;   in Loop: Header=BB38_17 Depth=3
	s_or_b64 exec, exec, s[12:13]
	v_mul_f32_e32 v13, v37, v37
	v_fmac_f32_e32 v13, v36, v36
	v_div_scale_f32 v14, s[12:13], v13, v13, 1.0
	v_div_scale_f32 v15, vcc, 1.0, v13, 1.0
	s_waitcnt vmcnt(0)
	v_sub_f32_e32 v11, v11, v39
	v_sub_f32_e32 v12, v12, v38
	s_add_i32 s53, s53, 1
	s_cmp_eq_u32 s53, s50
	v_add_u32_e32 v34, 1, v34
	v_rcp_f32_e32 v16, v14
	v_fma_f32 v40, -v14, v16, 1.0
	v_fmac_f32_e32 v16, v40, v16
	v_mul_f32_e32 v40, v15, v16
	v_fma_f32 v41, -v14, v40, v15
	v_fmac_f32_e32 v40, v41, v16
	v_fma_f32 v14, -v14, v40, v15
	v_div_fmas_f32 v14, v14, v16, v40
	v_mul_f32_e32 v15, v37, v12
	v_mul_f32_e64 v16, v37, -v11
	v_fmac_f32_e32 v15, v11, v36
	v_fmac_f32_e32 v16, v12, v36
	v_div_fixup_f32 v12, v14, v13, 1.0
	v_mul_f32_e32 v11, v12, v15
	v_mul_f32_e32 v12, v12, v16
	v_fmac_f32_e32 v28, v11, v11
	v_fmac_f32_e32 v27, v12, v11
	;; [unrolled: 1-line block ×3, first 2 shown]
	v_fma_f32 v27, v11, -v12, v27
	global_store_dwordx2 v[9:10], v[11:12], off
	s_cbranch_scc1 .LBB38_8
.LBB38_17:                              ;   Parent Loop BB38_4 Depth=1
                                        ;     Parent Loop BB38_10 Depth=2
                                        ; =>    This Loop Header: Depth=3
                                        ;         Child Loop BB38_19 Depth 4
                                        ;         Child Loop BB38_26 Depth 4
                                        ;           Child Loop BB38_28 Depth 5
                                        ;           Child Loop BB38_34 Depth 5
	s_mul_i32 s54, s53, s50
	s_add_i32 s12, s54, s53
	v_add_u32_e32 v9, s12, v32
	v_ashrrev_i32_e32 v10, 31, v9
	v_lshlrev_b64 v[9:10], 3, v[9:10]
	v_mov_b32_e32 v11, s29
	v_add_co_u32_e32 v9, vcc, s28, v9
	v_addc_co_u32_e32 v10, vcc, v11, v10, vcc
	global_load_dwordx2 v[9:10], v[9:10], off
	s_waitcnt vmcnt(0)
	v_cmp_neq_f32_e32 vcc, 0, v9
	v_cmp_neq_f32_e64 s[12:13], 0, v10
	s_or_b64 vcc, vcc, s[12:13]
	v_cndmask_b32_e32 v36, 1.0, v9, vcc
	s_nor_b64 s[44:45], vcc, s[0:1]
	v_cndmask_b32_e32 v37, 0, v10, vcc
	s_and_saveexec_b64 s[12:13], s[44:45]
	s_cbranch_execz .LBB38_23
; %bb.18:                               ;   in Loop: Header=BB38_17 Depth=3
	s_mov_b64 s[44:45], exec
	s_brev_b32 s46, -2
.LBB38_19:                              ;   Parent Loop BB38_4 Depth=1
                                        ;     Parent Loop BB38_10 Depth=2
                                        ;       Parent Loop BB38_17 Depth=3
                                        ; =>      This Inner Loop Header: Depth=4
	s_ff1_i32_b64 s47, s[44:45]
	v_readlane_b32 s55, v3, s47
	s_lshl_b64 s[48:49], 1, s47
	s_min_i32 s46, s46, s55
	s_andn2_b64 s[44:45], s[44:45], s[48:49]
	s_cmp_lg_u64 s[44:45], 0
	s_cbranch_scc1 .LBB38_19
; %bb.20:                               ;   in Loop: Header=BB38_17 Depth=3
	v_mbcnt_lo_u32_b32 v9, exec_lo, 0
	v_mbcnt_hi_u32_b32 v9, exec_hi, v9
	v_cmp_eq_u32_e32 vcc, 0, v9
	s_and_saveexec_b64 s[44:45], vcc
	s_xor_b64 s[44:45], exec, s[44:45]
	s_cbranch_execz .LBB38_22
; %bb.21:                               ;   in Loop: Header=BB38_17 Depth=3
	v_mov_b32_e32 v9, s46
	global_atomic_smin v4, v9, s[22:23]
.LBB38_22:                              ;   in Loop: Header=BB38_17 Depth=3
	s_or_b64 exec, exec, s[44:45]
	v_mov_b32_e32 v36, 1.0
	v_mov_b32_e32 v37, 0
.LBB38_23:                              ;   in Loop: Header=BB38_17 Depth=3
	s_or_b64 exec, exec, s[12:13]
	v_add_u32_e32 v9, s53, v35
	v_add_u32_e32 v10, s54, v33
	v_cndmask_b32_e64 v9, v10, v9, s[2:3]
	v_ashrrev_i32_e32 v10, 31, v9
	v_lshlrev_b64 v[9:10], 3, v[9:10]
	v_mov_b32_e32 v11, s29
	v_add_co_u32_e32 v9, vcc, s28, v9
	v_addc_co_u32_e32 v10, vcc, v11, v10, vcc
	global_load_dwordx2 v[11:12], v[9:10], off
	v_mov_b32_e32 v38, 0
	v_mov_b32_e32 v39, 0
	s_and_saveexec_b64 s[12:13], s[10:11]
	s_cbranch_execz .LBB38_16
; %bb.24:                               ;   in Loop: Header=BB38_17 Depth=3
	global_load_dword v40, v[6:7], off
	v_add_u32_e32 v41, s53, v31
	v_mov_b32_e32 v38, 0
	s_mov_b64 s[44:45], 0
	v_mov_b32_e32 v42, v34
	v_mov_b32_e32 v13, v30
	;; [unrolled: 1-line block ×3, first 2 shown]
	s_branch .LBB38_26
.LBB38_25:                              ;   in Loop: Header=BB38_26 Depth=4
	s_or_b64 exec, exec, s[46:47]
	v_add_u32_e32 v14, 1, v13
	v_cmp_ge_i32_e32 vcc, v13, v29
	v_add_u32_e32 v42, s51, v42
	s_or_b64 s[44:45], vcc, s[44:45]
	v_mov_b32_e32 v13, v14
	s_andn2_b64 exec, exec, s[44:45]
	s_cbranch_execz .LBB38_15
.LBB38_26:                              ;   Parent Loop BB38_4 Depth=1
                                        ;     Parent Loop BB38_10 Depth=2
                                        ;       Parent Loop BB38_17 Depth=3
                                        ; =>      This Loop Header: Depth=4
                                        ;           Child Loop BB38_28 Depth 5
                                        ;           Child Loop BB38_34 Depth 5
	v_ashrrev_i32_e32 v14, 31, v13
	v_lshlrev_b64 v[14:15], 2, v[13:14]
	v_mov_b32_e32 v16, s27
	v_add_co_u32_e32 v14, vcc, s26, v14
	v_addc_co_u32_e32 v15, vcc, v16, v15, vcc
	global_load_dword v16, v[14:15], off
	s_waitcnt vmcnt(1)
	v_mov_b32_e32 v15, v40
	v_mov_b32_e32 v14, v5
	s_and_saveexec_b64 s[46:47], s[8:9]
	s_cbranch_execz .LBB38_30
; %bb.27:                               ;   in Loop: Header=BB38_26 Depth=4
	s_mov_b64 s[48:49], 0
	v_mov_b32_e32 v15, v40
	v_mov_b32_e32 v14, v5
	v_mov_b32_e32 v43, v21
	v_mov_b32_e32 v44, v22
.LBB38_28:                              ;   Parent Loop BB38_4 Depth=1
                                        ;     Parent Loop BB38_10 Depth=2
                                        ;       Parent Loop BB38_17 Depth=3
                                        ;         Parent Loop BB38_26 Depth=4
                                        ; =>        This Inner Loop Header: Depth=5
	v_add_u32_e32 v45, 1, v14
	s_waitcnt vmcnt(0)
	v_cmp_lt_i32_e32 vcc, v15, v16
	v_cndmask_b32_e32 v44, v14, v44, vcc
	v_cndmask_b32_e32 v43, v43, v45, vcc
	v_add_u32_e32 v14, v44, v43
	v_ashrrev_i32_e32 v14, 1, v14
	v_ashrrev_i32_e32 v15, 31, v14
	v_lshlrev_b64 v[45:46], 2, v[14:15]
	v_mov_b32_e32 v15, s27
	v_add_co_u32_e32 v45, vcc, s26, v45
	v_addc_co_u32_e32 v46, vcc, v15, v46, vcc
	global_load_dword v15, v[45:46], off
	v_cmp_ge_i32_e32 vcc, v43, v44
	s_or_b64 s[48:49], vcc, s[48:49]
	s_andn2_b64 exec, exec, s[48:49]
	s_cbranch_execnz .LBB38_28
; %bb.29:                               ;   in Loop: Header=BB38_26 Depth=4
	s_or_b64 exec, exec, s[48:49]
.LBB38_30:                              ;   in Loop: Header=BB38_26 Depth=4
	s_or_b64 exec, exec, s[46:47]
	s_waitcnt vmcnt(0)
	v_cmp_eq_u32_e32 vcc, v15, v16
	s_and_saveexec_b64 s[46:47], vcc
	s_cbranch_execz .LBB38_25
; %bb.31:                               ;   in Loop: Header=BB38_26 Depth=4
	v_mul_lo_u32 v15, v13, s51
	v_mul_lo_u32 v14, v14, s51
	v_subrev_u32_e32 v16, s33, v16
	v_mul_lo_u32 v43, v16, s50
	v_add_u32_e32 v44, s54, v15
	v_add_u32_e32 v45, v14, v26
	;; [unrolled: 1-line block ×3, first 2 shown]
	s_mov_b32 s55, 0
	v_mov_b32_e32 v47, v42
	s_branch .LBB38_34
.LBB38_32:                              ;   in Loop: Header=BB38_34 Depth=5
	v_ashrrev_i32_e32 v16, 31, v15
	v_lshlrev_b64 v[15:16], 3, v[15:16]
	v_mov_b32_e32 v49, s29
	v_add_co_u32_e32 v48, vcc, s28, v15
	v_ashrrev_i32_e32 v15, 31, v14
	v_lshlrev_b64 v[14:15], 3, v[14:15]
	v_addc_co_u32_e32 v49, vcc, v49, v16, vcc
	v_mov_b32_e32 v16, s29
	v_add_co_u32_e32 v14, vcc, s28, v14
	v_addc_co_u32_e32 v15, vcc, v16, v15, vcc
	global_load_dwordx2 v[48:49], v[48:49], off
	s_nop 0
	global_load_dwordx2 v[14:15], v[14:15], off
	s_waitcnt vmcnt(0)
	v_fmac_f32_e32 v39, v48, v14
	v_fmac_f32_e32 v38, v49, v14
	;; [unrolled: 1-line block ×3, first 2 shown]
	v_fma_f32 v38, v48, -v15, v38
.LBB38_33:                              ;   in Loop: Header=BB38_34 Depth=5
	s_or_b64 exec, exec, s[48:49]
	s_add_i32 s55, s55, 1
	v_add_u32_e32 v46, s50, v46
	s_cmp_lg_u32 s50, s55
	v_add_u32_e32 v47, s50, v47
	s_cbranch_scc0 .LBB38_25
.LBB38_34:                              ;   Parent Loop BB38_4 Depth=1
                                        ;     Parent Loop BB38_10 Depth=2
                                        ;       Parent Loop BB38_17 Depth=3
                                        ;         Parent Loop BB38_26 Depth=4
                                        ; =>        This Inner Loop Header: Depth=5
	v_add_u32_e32 v14, s55, v43
	v_cmp_lt_i32_e32 vcc, v14, v41
	s_and_saveexec_b64 s[48:49], vcc
	s_cbranch_execz .LBB38_33
; %bb.35:                               ;   in Loop: Header=BB38_34 Depth=5
	s_andn2_b64 vcc, exec, s[2:3]
	v_mov_b32_e32 v15, v47
	v_mov_b32_e32 v14, v46
	s_cbranch_vccnz .LBB38_32
; %bb.36:                               ;   in Loop: Header=BB38_34 Depth=5
	v_add_u32_e32 v15, s55, v44
	v_add_u32_e32 v14, s55, v45
	s_branch .LBB38_32
.LBB38_37:                              ;   in Loop: Header=BB38_4 Depth=1
	s_or_b64 exec, exec, s[38:39]
.LBB38_38:                              ;   in Loop: Header=BB38_4 Depth=1
	s_or_b64 exec, exec, s[36:37]
	v_add_u32_e32 v15, v26, v20
	s_mov_b32 s40, 0
	v_mov_b32_e32 v16, v23
	s_branch .LBB38_41
.LBB38_39:                              ;   in Loop: Header=BB38_41 Depth=2
	v_mul_f32_e32 v12, v30, v30
	v_fmac_f32_e32 v12, v3, v3
	v_div_scale_f32 v13, s[12:13], v12, v12, 1.0
	v_div_scale_f32 v14, vcc, 1.0, v12, 1.0
	s_waitcnt vmcnt(0)
	v_sub_f32_e32 v10, v10, v31
	v_sub_f32_e32 v11, v11, v32
	v_rcp_f32_e32 v29, v13
	v_fma_f32 v33, -v13, v29, 1.0
	v_fmac_f32_e32 v29, v33, v29
	v_mul_f32_e32 v33, v14, v29
	v_fma_f32 v34, -v13, v33, v14
	v_fmac_f32_e32 v33, v34, v29
	v_fma_f32 v13, -v13, v33, v14
	v_div_fmas_f32 v13, v13, v29, v33
	v_mul_f32_e32 v14, v30, v11
	v_mul_f32_e64 v29, v30, -v10
	v_fmac_f32_e32 v14, v10, v3
	v_fmac_f32_e32 v29, v11, v3
	v_div_fixup_f32 v3, v13, v12, 1.0
	v_mul_f32_e32 v10, v3, v14
	v_mul_f32_e32 v11, v3, v29
	v_fmac_f32_e32 v28, v10, v10
	v_fmac_f32_e32 v27, v11, v10
	;; [unrolled: 1-line block ×3, first 2 shown]
	v_fma_f32 v27, v10, -v11, v27
	global_store_dwordx2 v[8:9], v[10:11], off
.LBB38_40:                              ;   in Loop: Header=BB38_41 Depth=2
	s_or_b64 exec, exec, s[10:11]
	s_add_i32 s40, s40, 1
	s_cmp_eq_u32 s40, s50
	v_add_u32_e32 v16, 1, v16
	s_waitcnt vmcnt(0)
	buffer_wbinvl1_vol
	s_cbranch_scc1 .LBB38_3
.LBB38_41:                              ;   Parent Loop BB38_4 Depth=1
                                        ; =>  This Loop Header: Depth=2
                                        ;       Child Loop BB38_51 Depth 3
                                        ;       Child Loop BB38_59 Depth 3
                                        ;         Child Loop BB38_61 Depth 4
                                        ;       Child Loop BB38_69 Depth 3
	s_mul_i32 s41, s40, s50
	v_add_u32_e32 v29, s41, v20
	v_add_u32_e32 v8, s40, v29
	v_ashrrev_i32_e32 v9, 31, v8
	v_lshlrev_b64 v[8:9], 3, v[8:9]
	v_cmp_eq_u32_e32 vcc, s40, v25
	s_and_saveexec_b64 s[12:13], vcc
	s_cbranch_execz .LBB38_49
; %bb.42:                               ;   in Loop: Header=BB38_41 Depth=2
	v_mov_b32_e32 v3, s29
	v_add_co_u32_e32 v10, vcc, s28, v8
	v_addc_co_u32_e32 v11, vcc, v3, v9, vcc
	global_load_dwordx2 v[12:13], v[10:11], off
	s_waitcnt vmcnt(0)
	v_sub_f32_e32 v3, v12, v28
	v_sub_f32_e32 v14, v13, v27
	v_cmp_gt_f32_e32 vcc, 0, v3
	v_cndmask_b32_e64 v3, v3, -v3, vcc
	v_cmp_gt_f32_e32 vcc, 0, v14
	v_cndmask_b32_e64 v12, v14, -v14, vcc
	v_cmp_ngt_f32_e32 vcc, v3, v12
                                        ; implicit-def: $vgpr13
	s_and_saveexec_b64 s[10:11], vcc
	s_xor_b64 s[36:37], exec, s[10:11]
	s_cbranch_execz .LBB38_46
; %bb.43:                               ;   in Loop: Header=BB38_41 Depth=2
	v_mov_b32_e32 v13, 0
	v_cmp_neq_f32_e32 vcc, 0, v14
	s_and_saveexec_b64 s[38:39], vcc
	s_cbranch_execz .LBB38_45
; %bb.44:                               ;   in Loop: Header=BB38_41 Depth=2
	v_div_scale_f32 v13, s[10:11], v12, v12, v3
	v_div_scale_f32 v14, vcc, v3, v12, v3
	v_rcp_f32_e32 v30, v13
	v_fma_f32 v31, -v13, v30, 1.0
	v_fmac_f32_e32 v30, v31, v30
	v_mul_f32_e32 v31, v14, v30
	v_fma_f32 v32, -v13, v31, v14
	v_fmac_f32_e32 v31, v32, v30
	v_fma_f32 v13, -v13, v31, v14
	v_div_fmas_f32 v13, v13, v30, v31
	v_div_fixup_f32 v3, v13, v12, v3
	v_fma_f32 v3, v3, v3, 1.0
	v_mul_f32_e32 v13, 0x4f800000, v3
	v_cmp_gt_f32_e32 vcc, s52, v3
	v_cndmask_b32_e32 v3, v3, v13, vcc
	v_sqrt_f32_e32 v13, v3
	v_add_u32_e32 v14, -1, v13
	v_add_u32_e32 v30, 1, v13
	v_fma_f32 v31, -v14, v13, v3
	v_fma_f32 v32, -v30, v13, v3
	v_cmp_ge_f32_e64 s[10:11], 0, v31
	v_cndmask_b32_e64 v13, v13, v14, s[10:11]
	v_cmp_lt_f32_e64 s[10:11], 0, v32
	v_cndmask_b32_e64 v13, v13, v30, s[10:11]
	v_mul_f32_e32 v14, 0x37800000, v13
	v_cndmask_b32_e32 v13, v13, v14, vcc
	v_cmp_class_f32_e32 vcc, v3, v19
	v_cndmask_b32_e32 v3, v13, v3, vcc
	v_mul_f32_e32 v13, v12, v3
.LBB38_45:                              ;   in Loop: Header=BB38_41 Depth=2
	s_or_b64 exec, exec, s[38:39]
                                        ; implicit-def: $vgpr3
                                        ; implicit-def: $vgpr12
.LBB38_46:                              ;   in Loop: Header=BB38_41 Depth=2
	s_andn2_saveexec_b64 s[36:37], s[36:37]
	s_cbranch_execz .LBB38_48
; %bb.47:                               ;   in Loop: Header=BB38_41 Depth=2
	v_div_scale_f32 v13, s[10:11], v3, v3, v12
	v_div_scale_f32 v14, vcc, v12, v3, v12
	v_rcp_f32_e32 v30, v13
	v_fma_f32 v31, -v13, v30, 1.0
	v_fmac_f32_e32 v30, v31, v30
	v_mul_f32_e32 v31, v14, v30
	v_fma_f32 v32, -v13, v31, v14
	v_fmac_f32_e32 v31, v32, v30
	v_fma_f32 v13, -v13, v31, v14
	v_div_fmas_f32 v13, v13, v30, v31
	v_div_fixup_f32 v12, v13, v3, v12
	v_fma_f32 v12, v12, v12, 1.0
	v_mul_f32_e32 v13, 0x4f800000, v12
	v_cmp_gt_f32_e32 vcc, s52, v12
	v_cndmask_b32_e32 v12, v12, v13, vcc
	v_sqrt_f32_e32 v13, v12
	v_add_u32_e32 v14, -1, v13
	v_add_u32_e32 v30, 1, v13
	v_fma_f32 v31, -v14, v13, v12
	v_fma_f32 v32, -v30, v13, v12
	v_cmp_ge_f32_e64 s[10:11], 0, v31
	v_cndmask_b32_e64 v13, v13, v14, s[10:11]
	v_cmp_lt_f32_e64 s[10:11], 0, v32
	v_cndmask_b32_e64 v13, v13, v30, s[10:11]
	v_mul_f32_e32 v14, 0x37800000, v13
	v_cndmask_b32_e32 v13, v13, v14, vcc
	v_cmp_class_f32_e32 vcc, v12, v19
	v_cndmask_b32_e32 v12, v13, v12, vcc
	v_mul_f32_e32 v13, v3, v12
.LBB38_48:                              ;   in Loop: Header=BB38_41 Depth=2
	s_or_b64 exec, exec, s[36:37]
	v_mul_f32_e32 v3, 0x4f800000, v13
	v_cmp_gt_f32_e32 vcc, s52, v13
	v_cndmask_b32_e32 v3, v13, v3, vcc
	v_sqrt_f32_e32 v12, v3
	v_add_u32_e32 v13, -1, v12
	v_fma_f32 v30, -v13, v12, v3
	v_add_u32_e32 v14, 1, v12
	v_cmp_ge_f32_e64 s[10:11], 0, v30
	v_cndmask_b32_e64 v13, v12, v13, s[10:11]
	v_fma_f32 v12, -v14, v12, v3
	v_cmp_lt_f32_e64 s[10:11], 0, v12
	v_cndmask_b32_e64 v12, v13, v14, s[10:11]
	v_mul_f32_e32 v13, 0x37800000, v12
	v_cndmask_b32_e32 v12, v12, v13, vcc
	v_cmp_class_f32_e32 vcc, v3, v19
	v_cndmask_b32_e32 v3, v12, v3, vcc
	global_store_dwordx2 v[10:11], v[3:4], off
.LBB38_49:                              ;   in Loop: Header=BB38_41 Depth=2
	s_or_b64 exec, exec, s[12:13]
	v_mov_b32_e32 v3, s29
	v_add_co_u32_e32 v8, vcc, s28, v8
	v_addc_co_u32_e32 v9, vcc, v3, v9, vcc
	s_waitcnt vmcnt(0)
	buffer_wbinvl1_vol
	global_load_dwordx2 v[8:9], v[8:9], off
	s_waitcnt vmcnt(0)
	v_cmp_neq_f32_e32 vcc, 0, v8
	v_cmp_neq_f32_e64 s[10:11], 0, v9
	s_or_b64 vcc, vcc, s[10:11]
	v_cndmask_b32_e32 v30, 0, v9, vcc
	s_nor_b64 s[12:13], vcc, s[0:1]
	v_cndmask_b32_e32 v3, 1.0, v8, vcc
	s_and_saveexec_b64 s[10:11], s[12:13]
	s_cbranch_execz .LBB38_55
; %bb.50:                               ;   in Loop: Header=BB38_41 Depth=2
	s_mov_b64 s[12:13], exec
	s_brev_b32 s36, -2
.LBB38_51:                              ;   Parent Loop BB38_4 Depth=1
                                        ;     Parent Loop BB38_41 Depth=2
                                        ; =>    This Inner Loop Header: Depth=3
	s_ff1_i32_b64 s37, s[12:13]
	v_readlane_b32 s42, v18, s37
	s_lshl_b64 s[38:39], 1, s37
	s_min_i32 s36, s36, s42
	s_andn2_b64 s[12:13], s[12:13], s[38:39]
	s_cmp_lg_u64 s[12:13], 0
	s_cbranch_scc1 .LBB38_51
; %bb.52:                               ;   in Loop: Header=BB38_41 Depth=2
	v_mbcnt_lo_u32_b32 v3, exec_lo, 0
	v_mbcnt_hi_u32_b32 v3, exec_hi, v3
	v_cmp_eq_u32_e32 vcc, 0, v3
	s_and_saveexec_b64 s[12:13], vcc
	s_xor_b64 s[12:13], exec, s[12:13]
	s_cbranch_execz .LBB38_54
; %bb.53:                               ;   in Loop: Header=BB38_41 Depth=2
	v_mov_b32_e32 v3, s36
	global_atomic_smin v4, v3, s[22:23]
.LBB38_54:                              ;   in Loop: Header=BB38_41 Depth=2
	s_or_b64 exec, exec, s[12:13]
	v_mov_b32_e32 v30, 0
	v_mov_b32_e32 v3, 1.0
.LBB38_55:                              ;   in Loop: Header=BB38_41 Depth=2
	s_or_b64 exec, exec, s[10:11]
	v_cmp_lt_i32_e32 vcc, s40, v25
	s_and_saveexec_b64 s[10:11], vcc
	s_cbranch_execz .LBB38_40
; %bb.56:                               ;   in Loop: Header=BB38_41 Depth=2
	v_add_u32_e32 v8, s40, v15
	v_add_u32_e32 v9, v29, v25
	v_cndmask_b32_e64 v8, v9, v8, s[2:3]
	v_ashrrev_i32_e32 v9, 31, v8
	v_lshlrev_b64 v[8:9], 3, v[8:9]
	v_mov_b32_e32 v10, s29
	v_add_co_u32_e32 v8, vcc, s28, v8
	v_addc_co_u32_e32 v9, vcc, v10, v9, vcc
	global_load_dwordx2 v[10:11], v[8:9], off
	v_mov_b32_e32 v31, 0
	v_mov_b32_e32 v32, 0
	s_and_saveexec_b64 s[12:13], s[4:5]
	s_cbranch_execz .LBB38_66
; %bb.57:                               ;   in Loop: Header=BB38_41 Depth=2
	v_mov_b32_e32 v31, 0
	s_mov_b64 s[36:37], 0
	v_mov_b32_e32 v33, v16
	v_mov_b32_e32 v34, v24
	;; [unrolled: 1-line block ×4, first 2 shown]
	s_branch .LBB38_59
.LBB38_58:                              ;   in Loop: Header=BB38_59 Depth=3
	v_add_u32_e32 v35, 1, v35
	v_cmp_ge_i32_e32 vcc, v35, v17
	v_add_u32_e32 v34, s51, v34
	s_or_b64 s[36:37], vcc, s[36:37]
	v_add_u32_e32 v33, s51, v33
	s_andn2_b64 exec, exec, s[36:37]
	s_cbranch_execz .LBB38_65
.LBB38_59:                              ;   Parent Loop BB38_4 Depth=1
                                        ;     Parent Loop BB38_41 Depth=2
                                        ; =>    This Loop Header: Depth=3
                                        ;         Child Loop BB38_61 Depth 4
	v_mul_lo_u32 v12, v35, s51
	s_mov_b32 s42, 0
	s_mov_b32 s43, s50
	;; [unrolled: 1-line block ×3, first 2 shown]
	v_add_u32_e32 v36, s41, v12
	v_add_u32_e32 v37, v12, v26
	s_branch .LBB38_61
.LBB38_60:                              ;   in Loop: Header=BB38_61 Depth=4
	v_ashrrev_i32_e32 v14, 31, v13
	v_lshlrev_b64 v[13:14], 3, v[13:14]
	v_mov_b32_e32 v40, s29
	v_add_co_u32_e32 v38, vcc, s28, v13
	v_ashrrev_i32_e32 v13, 31, v12
	v_lshlrev_b64 v[12:13], 3, v[12:13]
	v_addc_co_u32_e32 v39, vcc, v40, v14, vcc
	v_add_co_u32_e32 v12, vcc, s28, v12
	v_addc_co_u32_e32 v13, vcc, v40, v13, vcc
	global_load_dwordx2 v[40:41], v[38:39], off
	global_load_dwordx2 v[42:43], v[12:13], off
	s_add_i32 s44, s44, 1
	s_add_i32 s42, s42, s50
	s_add_i32 s43, s43, -1
	s_cmp_eq_u32 s43, 0
	s_waitcnt vmcnt(0)
	v_fmac_f32_e32 v31, v40, v42
	v_fmac_f32_e32 v32, v41, v42
	;; [unrolled: 1-line block ×3, first 2 shown]
	v_fma_f32 v32, v40, -v43, v32
	s_cbranch_scc1 .LBB38_58
.LBB38_61:                              ;   Parent Loop BB38_4 Depth=1
                                        ;     Parent Loop BB38_41 Depth=2
                                        ;       Parent Loop BB38_59 Depth=3
                                        ; =>      This Inner Loop Header: Depth=4
	s_mov_b64 s[38:39], -1
	s_and_b64 vcc, exec, s[34:35]
                                        ; implicit-def: $vgpr12
                                        ; implicit-def: $vgpr13
	s_cbranch_vccz .LBB38_63
; %bb.62:                               ;   in Loop: Header=BB38_61 Depth=4
	v_add_u32_e32 v13, s42, v33
	v_add_u32_e32 v12, s42, v34
	s_mov_b64 s[38:39], 0
.LBB38_63:                              ;   in Loop: Header=BB38_61 Depth=4
	s_andn2_b64 vcc, exec, s[38:39]
	s_cbranch_vccnz .LBB38_60
; %bb.64:                               ;   in Loop: Header=BB38_61 Depth=4
	v_add_u32_e32 v13, s44, v36
	v_add_u32_e32 v12, s44, v37
	s_branch .LBB38_60
.LBB38_65:                              ;   in Loop: Header=BB38_41 Depth=2
	s_or_b64 exec, exec, s[36:37]
.LBB38_66:                              ;   in Loop: Header=BB38_41 Depth=2
	s_or_b64 exec, exec, s[12:13]
	s_cmp_eq_u32 s40, 0
	s_cbranch_scc1 .LBB38_39
; %bb.67:                               ;   in Loop: Header=BB38_41 Depth=2
	s_mov_b32 s36, 0
	v_mov_b32_e32 v33, v20
	s_branch .LBB38_69
.LBB38_68:                              ;   in Loop: Header=BB38_69 Depth=3
	v_ashrrev_i32_e32 v14, 31, v13
	v_lshlrev_b64 v[13:14], 3, v[13:14]
	v_mov_b32_e32 v36, s29
	v_add_co_u32_e32 v34, vcc, s28, v13
	v_ashrrev_i32_e32 v13, 31, v12
	v_lshlrev_b64 v[12:13], 3, v[12:13]
	v_addc_co_u32_e32 v35, vcc, v36, v14, vcc
	v_add_co_u32_e32 v12, vcc, s28, v12
	v_addc_co_u32_e32 v13, vcc, v36, v13, vcc
	global_load_dwordx2 v[36:37], v[34:35], off
	global_load_dwordx2 v[38:39], v[12:13], off
	s_add_i32 s36, s36, 1
	s_cmp_eq_u32 s40, s36
	v_add_u32_e32 v33, s50, v33
	s_waitcnt vmcnt(0)
	v_fmac_f32_e32 v31, v36, v38
	v_fmac_f32_e32 v32, v37, v38
	;; [unrolled: 1-line block ×3, first 2 shown]
	v_fma_f32 v32, v36, -v39, v32
	s_cbranch_scc1 .LBB38_39
.LBB38_69:                              ;   Parent Loop BB38_4 Depth=1
                                        ;     Parent Loop BB38_41 Depth=2
                                        ; =>    This Inner Loop Header: Depth=3
	s_mov_b64 s[12:13], -1
	s_and_b64 vcc, exec, s[34:35]
                                        ; implicit-def: $vgpr12
                                        ; implicit-def: $vgpr13
	s_cbranch_vccz .LBB38_71
; %bb.70:                               ;   in Loop: Header=BB38_69 Depth=3
	v_add_u32_e32 v13, s40, v33
	v_add_u32_e32 v12, v25, v33
	s_mov_b64 s[12:13], 0
.LBB38_71:                              ;   in Loop: Header=BB38_69 Depth=3
	s_andn2_b64 vcc, exec, s[12:13]
	s_cbranch_vccnz .LBB38_68
; %bb.72:                               ;   in Loop: Header=BB38_69 Depth=3
	v_add_u32_e32 v13, s36, v29
	v_add_u32_e32 v12, s36, v15
	s_branch .LBB38_68
.LBB38_73:
	s_or_b64 exec, exec, s[20:21]
	v_cmp_eq_u32_e32 vcc, 31, v0
	s_and_saveexec_b64 s[0:1], vcc
	s_cbranch_execz .LBB38_75
; %bb.74:
	v_mov_b32_e32 v3, s19
	v_add_co_u32_e32 v0, vcc, s18, v1
	v_addc_co_u32_e32 v1, vcc, v3, v2, vcc
	v_mov_b32_e32 v2, 1
	global_store_dword v[0:1], v2, off
.LBB38_75:
	s_or_b64 exec, exec, s[0:1]
                                        ; implicit-def: $vgpr0
                                        ; implicit-def: $vgpr1_vgpr2
                                        ; implicit-def: $vgpr3_vgpr4
.LBB38_76:
	s_andn2_saveexec_b64 s[0:1], s[14:15]
	s_cbranch_execz .LBB38_83
; %bb.77:
	v_cmp_eq_u32_e32 vcc, 31, v0
	s_and_saveexec_b64 s[0:1], vcc
	s_cbranch_execz .LBB38_83
; %bb.78:
	s_mov_b64 s[0:1], exec
	v_add_u32_e32 v0, s33, v3
	s_brev_b32 s2, -2
.LBB38_79:                              ; =>This Inner Loop Header: Depth=1
	s_ff1_i32_b64 s3, s[0:1]
	v_readlane_b32 s6, v0, s3
	s_lshl_b64 s[4:5], 1, s3
	s_min_i32 s2, s2, s6
	s_andn2_b64 s[0:1], s[0:1], s[4:5]
	s_cmp_lg_u64 s[0:1], 0
	s_cbranch_scc1 .LBB38_79
; %bb.80:
	v_mbcnt_lo_u32_b32 v0, exec_lo, 0
	v_mbcnt_hi_u32_b32 v0, exec_hi, v0
	v_cmp_eq_u32_e32 vcc, 0, v0
	s_and_saveexec_b64 s[0:1], vcc
	s_xor_b64 s[0:1], exec, s[0:1]
	s_cbranch_execz .LBB38_82
; %bb.81:
	v_mov_b32_e32 v0, 0
	v_mov_b32_e32 v3, s2
	global_atomic_smin v0, v3, s[22:23]
.LBB38_82:
	s_or_b64 exec, exec, s[0:1]
	v_mov_b32_e32 v3, s19
	v_add_co_u32_e32 v0, vcc, s18, v1
	v_addc_co_u32_e32 v1, vcc, v3, v2, vcc
	v_mov_b32_e32 v2, 1
	s_waitcnt vmcnt(0)
	global_store_dword v[0:1], v2, off
.LBB38_83:
	s_endpgm
	.section	.rodata,"a",@progbits
	.p2align	6, 0x0
	.amdhsa_kernel _ZN9rocsparseL23bsric0_binsearch_kernelILj32ELj32ELb0E21rocsparse_complex_numIfEEEv20rocsparse_direction_iiPKiS5_PT2_S5_PiS5_S8_21rocsparse_index_base_
		.amdhsa_group_segment_fixed_size 0
		.amdhsa_private_segment_fixed_size 0
		.amdhsa_kernarg_size 76
		.amdhsa_user_sgpr_count 6
		.amdhsa_user_sgpr_private_segment_buffer 1
		.amdhsa_user_sgpr_dispatch_ptr 0
		.amdhsa_user_sgpr_queue_ptr 0
		.amdhsa_user_sgpr_kernarg_segment_ptr 1
		.amdhsa_user_sgpr_dispatch_id 0
		.amdhsa_user_sgpr_flat_scratch_init 0
		.amdhsa_user_sgpr_private_segment_size 0
		.amdhsa_uses_dynamic_stack 0
		.amdhsa_system_sgpr_private_segment_wavefront_offset 0
		.amdhsa_system_sgpr_workgroup_id_x 1
		.amdhsa_system_sgpr_workgroup_id_y 0
		.amdhsa_system_sgpr_workgroup_id_z 0
		.amdhsa_system_sgpr_workgroup_info 0
		.amdhsa_system_vgpr_workitem_id 0
		.amdhsa_next_free_vgpr 50
		.amdhsa_next_free_sgpr 56
		.amdhsa_reserve_vcc 1
		.amdhsa_reserve_flat_scratch 0
		.amdhsa_float_round_mode_32 0
		.amdhsa_float_round_mode_16_64 0
		.amdhsa_float_denorm_mode_32 3
		.amdhsa_float_denorm_mode_16_64 3
		.amdhsa_dx10_clamp 1
		.amdhsa_ieee_mode 1
		.amdhsa_fp16_overflow 0
		.amdhsa_exception_fp_ieee_invalid_op 0
		.amdhsa_exception_fp_denorm_src 0
		.amdhsa_exception_fp_ieee_div_zero 0
		.amdhsa_exception_fp_ieee_overflow 0
		.amdhsa_exception_fp_ieee_underflow 0
		.amdhsa_exception_fp_ieee_inexact 0
		.amdhsa_exception_int_div_zero 0
	.end_amdhsa_kernel
	.section	.text._ZN9rocsparseL23bsric0_binsearch_kernelILj32ELj32ELb0E21rocsparse_complex_numIfEEEv20rocsparse_direction_iiPKiS5_PT2_S5_PiS5_S8_21rocsparse_index_base_,"axG",@progbits,_ZN9rocsparseL23bsric0_binsearch_kernelILj32ELj32ELb0E21rocsparse_complex_numIfEEEv20rocsparse_direction_iiPKiS5_PT2_S5_PiS5_S8_21rocsparse_index_base_,comdat
.Lfunc_end38:
	.size	_ZN9rocsparseL23bsric0_binsearch_kernelILj32ELj32ELb0E21rocsparse_complex_numIfEEEv20rocsparse_direction_iiPKiS5_PT2_S5_PiS5_S8_21rocsparse_index_base_, .Lfunc_end38-_ZN9rocsparseL23bsric0_binsearch_kernelILj32ELj32ELb0E21rocsparse_complex_numIfEEEv20rocsparse_direction_iiPKiS5_PT2_S5_PiS5_S8_21rocsparse_index_base_
                                        ; -- End function
	.set _ZN9rocsparseL23bsric0_binsearch_kernelILj32ELj32ELb0E21rocsparse_complex_numIfEEEv20rocsparse_direction_iiPKiS5_PT2_S5_PiS5_S8_21rocsparse_index_base_.num_vgpr, 50
	.set _ZN9rocsparseL23bsric0_binsearch_kernelILj32ELj32ELb0E21rocsparse_complex_numIfEEEv20rocsparse_direction_iiPKiS5_PT2_S5_PiS5_S8_21rocsparse_index_base_.num_agpr, 0
	.set _ZN9rocsparseL23bsric0_binsearch_kernelILj32ELj32ELb0E21rocsparse_complex_numIfEEEv20rocsparse_direction_iiPKiS5_PT2_S5_PiS5_S8_21rocsparse_index_base_.numbered_sgpr, 56
	.set _ZN9rocsparseL23bsric0_binsearch_kernelILj32ELj32ELb0E21rocsparse_complex_numIfEEEv20rocsparse_direction_iiPKiS5_PT2_S5_PiS5_S8_21rocsparse_index_base_.num_named_barrier, 0
	.set _ZN9rocsparseL23bsric0_binsearch_kernelILj32ELj32ELb0E21rocsparse_complex_numIfEEEv20rocsparse_direction_iiPKiS5_PT2_S5_PiS5_S8_21rocsparse_index_base_.private_seg_size, 0
	.set _ZN9rocsparseL23bsric0_binsearch_kernelILj32ELj32ELb0E21rocsparse_complex_numIfEEEv20rocsparse_direction_iiPKiS5_PT2_S5_PiS5_S8_21rocsparse_index_base_.uses_vcc, 1
	.set _ZN9rocsparseL23bsric0_binsearch_kernelILj32ELj32ELb0E21rocsparse_complex_numIfEEEv20rocsparse_direction_iiPKiS5_PT2_S5_PiS5_S8_21rocsparse_index_base_.uses_flat_scratch, 0
	.set _ZN9rocsparseL23bsric0_binsearch_kernelILj32ELj32ELb0E21rocsparse_complex_numIfEEEv20rocsparse_direction_iiPKiS5_PT2_S5_PiS5_S8_21rocsparse_index_base_.has_dyn_sized_stack, 0
	.set _ZN9rocsparseL23bsric0_binsearch_kernelILj32ELj32ELb0E21rocsparse_complex_numIfEEEv20rocsparse_direction_iiPKiS5_PT2_S5_PiS5_S8_21rocsparse_index_base_.has_recursion, 0
	.set _ZN9rocsparseL23bsric0_binsearch_kernelILj32ELj32ELb0E21rocsparse_complex_numIfEEEv20rocsparse_direction_iiPKiS5_PT2_S5_PiS5_S8_21rocsparse_index_base_.has_indirect_call, 0
	.section	.AMDGPU.csdata,"",@progbits
; Kernel info:
; codeLenInByte = 3252
; TotalNumSgprs: 60
; NumVgprs: 50
; ScratchSize: 0
; MemoryBound: 0
; FloatMode: 240
; IeeeMode: 1
; LDSByteSize: 0 bytes/workgroup (compile time only)
; SGPRBlocks: 7
; VGPRBlocks: 12
; NumSGPRsForWavesPerEU: 60
; NumVGPRsForWavesPerEU: 50
; Occupancy: 4
; WaveLimiterHint : 1
; COMPUTE_PGM_RSRC2:SCRATCH_EN: 0
; COMPUTE_PGM_RSRC2:USER_SGPR: 6
; COMPUTE_PGM_RSRC2:TRAP_HANDLER: 0
; COMPUTE_PGM_RSRC2:TGID_X_EN: 1
; COMPUTE_PGM_RSRC2:TGID_Y_EN: 0
; COMPUTE_PGM_RSRC2:TGID_Z_EN: 0
; COMPUTE_PGM_RSRC2:TIDIG_COMP_CNT: 0
	.section	.text._ZN9rocsparseL23bsric0_binsearch_kernelILj64ELj64ELb1E21rocsparse_complex_numIfEEEv20rocsparse_direction_iiPKiS5_PT2_S5_PiS5_S8_21rocsparse_index_base_,"axG",@progbits,_ZN9rocsparseL23bsric0_binsearch_kernelILj64ELj64ELb1E21rocsparse_complex_numIfEEEv20rocsparse_direction_iiPKiS5_PT2_S5_PiS5_S8_21rocsparse_index_base_,comdat
	.globl	_ZN9rocsparseL23bsric0_binsearch_kernelILj64ELj64ELb1E21rocsparse_complex_numIfEEEv20rocsparse_direction_iiPKiS5_PT2_S5_PiS5_S8_21rocsparse_index_base_ ; -- Begin function _ZN9rocsparseL23bsric0_binsearch_kernelILj64ELj64ELb1E21rocsparse_complex_numIfEEEv20rocsparse_direction_iiPKiS5_PT2_S5_PiS5_S8_21rocsparse_index_base_
	.p2align	8
	.type	_ZN9rocsparseL23bsric0_binsearch_kernelILj64ELj64ELb1E21rocsparse_complex_numIfEEEv20rocsparse_direction_iiPKiS5_PT2_S5_PiS5_S8_21rocsparse_index_base_,@function
_ZN9rocsparseL23bsric0_binsearch_kernelILj64ELj64ELb1E21rocsparse_complex_numIfEEEv20rocsparse_direction_iiPKiS5_PT2_S5_PiS5_S8_21rocsparse_index_base_: ; @_ZN9rocsparseL23bsric0_binsearch_kernelILj64ELj64ELb1E21rocsparse_complex_numIfEEEv20rocsparse_direction_iiPKiS5_PT2_S5_PiS5_S8_21rocsparse_index_base_
; %bb.0:
	s_load_dwordx8 s[16:23], s[4:5], 0x28
	s_ashr_i32 s7, s6, 31
	s_lshl_b64 s[0:1], s[6:7], 2
	v_mov_b32_e32 v1, 0
	s_load_dword s33, s[4:5], 0x48
	s_waitcnt lgkmcnt(0)
	s_add_u32 s0, s20, s0
	s_addc_u32 s1, s21, s1
	global_load_dword v3, v1, s[0:1]
	v_mov_b32_e32 v5, s17
	s_waitcnt vmcnt(0)
	v_ashrrev_i32_e32 v4, 31, v3
	v_lshlrev_b64 v[1:2], 2, v[3:4]
	v_add_co_u32_e32 v4, vcc, s16, v1
	v_addc_co_u32_e32 v5, vcc, v5, v2, vcc
	global_load_dword v17, v[4:5], off
	s_waitcnt vmcnt(0)
	v_readfirstlane_b32 s0, v17
	s_cmp_lg_u32 s0, -1
	s_cselect_b64 s[0:1], -1, 0
	s_and_saveexec_b64 s[2:3], s[0:1]
	s_xor_b64 s[14:15], exec, s[2:3]
	s_cbranch_execz .LBB39_78
; %bb.1:
	s_load_dword s50, s[4:5], 0x8
	s_waitcnt lgkmcnt(0)
	v_cmp_gt_i32_e32 vcc, s50, v0
	s_and_saveexec_b64 s[20:21], vcc
	s_cbranch_execz .LBB39_75
; %bb.2:
	s_load_dwordx4 s[24:27], s[4:5], 0x10
	s_load_dword s6, s[4:5], 0x0
	s_mul_i32 s51, s50, s50
	s_load_dwordx2 s[28:29], s[4:5], 0x20
	v_mul_lo_u32 v20, v17, s51
	s_waitcnt lgkmcnt(0)
	v_mov_b32_e32 v5, s25
	v_add_co_u32_e32 v4, vcc, s24, v1
	v_addc_co_u32_e32 v5, vcc, v5, v2, vcc
	global_load_dwordx2 v[5:6], v[4:5], off
	s_cmp_eq_u32 s6, 0
	v_add_u32_e32 v18, s33, v3
	v_mov_b32_e32 v3, s27
	s_cselect_b64 s[2:3], -1, 0
	s_cmp_lg_u32 s6, 0
	v_cmp_ne_u32_e64 s[0:1], 0, v0
	s_mov_b64 s[30:31], 0
	v_mov_b32_e32 v4, 0
	s_mov_b32 s52, 0xf800000
	v_mov_b32_e32 v19, 0x260
	s_cselect_b64 s[34:35], -1, 0
	v_mov_b32_e32 v25, v0
	s_waitcnt vmcnt(0)
	v_subrev_u32_e32 v21, s33, v5
	v_xad_u32 v22, s33, -1, v6
	v_add_u32_e32 v5, v22, v21
	v_ashrrev_i32_e32 v5, 1, v5
	v_mul_lo_u32 v23, s51, v21
	v_ashrrev_i32_e32 v6, 31, v5
	v_lshlrev_b64 v[6:7], 2, v[5:6]
	v_cmp_lt_i32_e64 s[4:5], v21, v17
	v_add_co_u32_e32 v6, vcc, s26, v6
	v_cmp_ge_i32_e64 s[6:7], v21, v17
	v_cmp_lt_i32_e64 s[8:9], v21, v22
	v_add_u32_e32 v24, v23, v0
	v_addc_co_u32_e32 v7, vcc, v3, v7, vcc
	s_branch .LBB39_4
.LBB39_3:                               ;   in Loop: Header=BB39_4 Depth=1
	v_add_u32_e32 v25, 64, v25
	v_cmp_le_i32_e32 vcc, s50, v25
	s_or_b64 s[30:31], vcc, s[30:31]
	v_add_u32_e32 v24, 64, v24
	s_andn2_b64 exec, exec, s[30:31]
	s_cbranch_execz .LBB39_75
.LBB39_4:                               ; =>This Loop Header: Depth=1
                                        ;     Child Loop BB39_10 Depth 2
                                        ;       Child Loop BB39_14 Depth 3
                                        ;         Child Loop BB39_15 Depth 4
                                        ;       Child Loop BB39_19 Depth 3
                                        ;         Child Loop BB39_21 Depth 4
                                        ;         Child Loop BB39_28 Depth 4
                                        ;           Child Loop BB39_30 Depth 5
                                        ;           Child Loop BB39_36 Depth 5
                                        ;     Child Loop BB39_43 Depth 2
                                        ;       Child Loop BB39_53 Depth 3
                                        ;       Child Loop BB39_61 Depth 3
                                        ;         Child Loop BB39_63 Depth 4
                                        ;       Child Loop BB39_71 Depth 3
	v_mul_lo_u32 v26, v25, s50
	s_and_saveexec_b64 s[10:11], s[6:7]
	s_xor_b64 s[10:11], exec, s[10:11]
; %bb.5:                                ;   in Loop: Header=BB39_4 Depth=1
	v_mul_lo_u32 v26, v25, s50
; %bb.6:                                ;   in Loop: Header=BB39_4 Depth=1
	s_or_saveexec_b64 s[36:37], s[10:11]
	v_mov_b32_e32 v27, 0
	v_mov_b32_e32 v28, 0
	s_xor_b64 exec, exec, s[36:37]
	s_cbranch_execz .LBB39_40
; %bb.7:                                ;   in Loop: Header=BB39_4 Depth=1
	v_mov_b32_e32 v27, 0
	s_mov_b64 s[38:39], 0
	v_mov_b32_e32 v8, v21
	v_mov_b32_e32 v28, 0
                                        ; implicit-def: $sgpr40_sgpr41
	s_branch .LBB39_10
.LBB39_8:                               ;   in Loop: Header=BB39_10 Depth=2
	v_add_u32_e32 v8, 1, v8
	v_cmp_ge_i32_e32 vcc, v8, v17
	s_andn2_b64 s[10:11], s[40:41], exec
	s_and_b64 s[12:13], vcc, exec
	s_or_b64 s[40:41], s[10:11], s[12:13]
.LBB39_9:                               ;   in Loop: Header=BB39_10 Depth=2
	s_or_b64 exec, exec, s[42:43]
	s_and_b64 s[10:11], exec, s[40:41]
	s_or_b64 s[38:39], s[10:11], s[38:39]
	s_andn2_b64 exec, exec, s[38:39]
	s_cbranch_execz .LBB39_39
.LBB39_10:                              ;   Parent Loop BB39_4 Depth=1
                                        ; =>  This Loop Header: Depth=2
                                        ;       Child Loop BB39_14 Depth 3
                                        ;         Child Loop BB39_15 Depth 4
                                        ;       Child Loop BB39_19 Depth 3
                                        ;         Child Loop BB39_21 Depth 4
                                        ;         Child Loop BB39_28 Depth 4
                                        ;           Child Loop BB39_30 Depth 5
                                        ;           Child Loop BB39_36 Depth 5
	v_ashrrev_i32_e32 v9, 31, v8
	v_lshlrev_b64 v[9:10], 2, v[8:9]
	v_mov_b32_e32 v3, s27
	v_add_co_u32_e32 v9, vcc, s26, v9
	v_addc_co_u32_e32 v10, vcc, v3, v10, vcc
	global_load_dword v3, v[9:10], off
	v_mov_b32_e32 v13, s17
	s_or_b64 s[40:41], s[40:41], exec
	s_waitcnt vmcnt(0)
	v_subrev_u32_e32 v9, s33, v3
	v_ashrrev_i32_e32 v10, 31, v9
	v_lshlrev_b64 v[10:11], 2, v[9:10]
	v_add_co_u32_e32 v12, vcc, s16, v10
	v_addc_co_u32_e32 v13, vcc, v13, v11, vcc
	global_load_dword v29, v[12:13], off
	s_waitcnt vmcnt(0)
	v_cmp_ne_u32_e32 vcc, -1, v29
	s_and_saveexec_b64 s[42:43], vcc
	s_cbranch_execz .LBB39_9
; %bb.11:                               ;   in Loop: Header=BB39_10 Depth=2
	v_mov_b32_e32 v13, s25
	v_add_co_u32_e32 v12, vcc, s24, v10
	v_addc_co_u32_e32 v13, vcc, v13, v11, vcc
	global_load_dword v12, v[12:13], off
	v_mov_b32_e32 v13, s19
	v_add_co_u32_e32 v10, vcc, s18, v10
	v_addc_co_u32_e32 v11, vcc, v13, v11, vcc
	global_load_dword v13, v[10:11], off glc
	s_waitcnt vmcnt(0)
	v_cmp_eq_u32_e32 vcc, 0, v13
	s_and_saveexec_b64 s[10:11], vcc
	s_cbranch_execz .LBB39_16
; %bb.12:                               ;   in Loop: Header=BB39_10 Depth=2
	s_mov_b32 s44, 0
	s_mov_b64 s[12:13], 0
	s_branch .LBB39_14
.LBB39_13:                              ;   in Loop: Header=BB39_14 Depth=3
	global_load_dword v13, v[10:11], off glc
	s_cmpk_lt_u32 s44, 0xf43
	s_cselect_b64 s[46:47], -1, 0
	s_cmp_lg_u64 s[46:47], 0
	s_addc_u32 s44, s44, 0
	s_waitcnt vmcnt(0)
	v_cmp_ne_u32_e32 vcc, 0, v13
	s_or_b64 s[12:13], vcc, s[12:13]
	s_andn2_b64 exec, exec, s[12:13]
	s_cbranch_execz .LBB39_16
.LBB39_14:                              ;   Parent Loop BB39_4 Depth=1
                                        ;     Parent Loop BB39_10 Depth=2
                                        ; =>    This Loop Header: Depth=3
                                        ;         Child Loop BB39_15 Depth 4
	s_cmp_eq_u32 s44, 0
	s_mov_b32 s45, s44
	s_cbranch_scc1 .LBB39_13
.LBB39_15:                              ;   Parent Loop BB39_4 Depth=1
                                        ;     Parent Loop BB39_10 Depth=2
                                        ;       Parent Loop BB39_14 Depth=3
                                        ; =>      This Inner Loop Header: Depth=4
	s_add_i32 s45, s45, -1
	s_cmp_eq_u32 s45, 0
	s_sleep 1
	s_cbranch_scc0 .LBB39_15
	s_branch .LBB39_13
.LBB39_16:                              ;   in Loop: Header=BB39_10 Depth=2
	s_or_b64 exec, exec, s[10:11]
	v_subrev_u32_e32 v30, s33, v12
	v_mul_lo_u32 v10, v8, s51
	v_mul_lo_u32 v31, v9, s50
	;; [unrolled: 1-line block ×4, first 2 shown]
	v_add_u32_e32 v33, v10, v25
	v_add_u32_e32 v35, v10, v26
	v_cmp_le_i32_e64 s[10:11], v30, v29
	s_mov_b32 s53, 0
	buffer_wbinvl1_vol
	s_branch .LBB39_19
.LBB39_17:                              ;   in Loop: Header=BB39_19 Depth=3
	s_or_b64 exec, exec, s[44:45]
.LBB39_18:                              ;   in Loop: Header=BB39_19 Depth=3
	s_or_b64 exec, exec, s[12:13]
	v_mul_f32_e32 v13, v37, v37
	v_fmac_f32_e32 v13, v36, v36
	v_div_scale_f32 v14, s[12:13], v13, v13, 1.0
	v_div_scale_f32 v15, vcc, 1.0, v13, 1.0
	s_waitcnt vmcnt(0)
	v_sub_f32_e32 v11, v11, v39
	v_sub_f32_e32 v12, v12, v38
	s_add_i32 s53, s53, 1
	s_cmp_eq_u32 s53, s50
	v_add_u32_e32 v34, 1, v34
	v_rcp_f32_e32 v16, v14
	v_fma_f32 v40, -v14, v16, 1.0
	v_fmac_f32_e32 v16, v40, v16
	v_mul_f32_e32 v40, v15, v16
	v_fma_f32 v41, -v14, v40, v15
	v_fmac_f32_e32 v40, v41, v16
	v_fma_f32 v14, -v14, v40, v15
	v_div_fmas_f32 v14, v14, v16, v40
	v_mul_f32_e32 v15, v37, v12
	v_mul_f32_e64 v16, v37, -v11
	v_fmac_f32_e32 v15, v11, v36
	v_fmac_f32_e32 v16, v12, v36
	v_div_fixup_f32 v12, v14, v13, 1.0
	v_mul_f32_e32 v11, v12, v15
	v_mul_f32_e32 v12, v12, v16
	v_fmac_f32_e32 v28, v11, v11
	v_fmac_f32_e32 v27, v12, v11
	;; [unrolled: 1-line block ×3, first 2 shown]
	v_fma_f32 v27, v11, -v12, v27
	global_store_dwordx2 v[9:10], v[11:12], off
	s_cbranch_scc1 .LBB39_8
.LBB39_19:                              ;   Parent Loop BB39_4 Depth=1
                                        ;     Parent Loop BB39_10 Depth=2
                                        ; =>    This Loop Header: Depth=3
                                        ;         Child Loop BB39_21 Depth 4
                                        ;         Child Loop BB39_28 Depth 4
                                        ;           Child Loop BB39_30 Depth 5
                                        ;           Child Loop BB39_36 Depth 5
	s_mul_i32 s54, s53, s50
	s_add_i32 s12, s54, s53
	v_add_u32_e32 v9, s12, v32
	v_ashrrev_i32_e32 v10, 31, v9
	v_lshlrev_b64 v[9:10], 3, v[9:10]
	v_mov_b32_e32 v11, s29
	v_add_co_u32_e32 v9, vcc, s28, v9
	v_addc_co_u32_e32 v10, vcc, v11, v10, vcc
	global_load_dwordx2 v[9:10], v[9:10], off
	s_waitcnt vmcnt(0)
	v_cmp_neq_f32_e32 vcc, 0, v9
	v_cmp_neq_f32_e64 s[12:13], 0, v10
	s_or_b64 vcc, vcc, s[12:13]
	v_cndmask_b32_e32 v36, 1.0, v9, vcc
	s_nor_b64 s[44:45], vcc, s[0:1]
	v_cndmask_b32_e32 v37, 0, v10, vcc
	s_and_saveexec_b64 s[12:13], s[44:45]
	s_cbranch_execz .LBB39_25
; %bb.20:                               ;   in Loop: Header=BB39_19 Depth=3
	s_mov_b64 s[44:45], exec
	s_brev_b32 s46, -2
.LBB39_21:                              ;   Parent Loop BB39_4 Depth=1
                                        ;     Parent Loop BB39_10 Depth=2
                                        ;       Parent Loop BB39_19 Depth=3
                                        ; =>      This Inner Loop Header: Depth=4
	s_ff1_i32_b64 s47, s[44:45]
	v_readlane_b32 s55, v3, s47
	s_lshl_b64 s[48:49], 1, s47
	s_min_i32 s46, s46, s55
	s_andn2_b64 s[44:45], s[44:45], s[48:49]
	s_cmp_lg_u64 s[44:45], 0
	s_cbranch_scc1 .LBB39_21
; %bb.22:                               ;   in Loop: Header=BB39_19 Depth=3
	v_mbcnt_lo_u32_b32 v9, exec_lo, 0
	v_mbcnt_hi_u32_b32 v9, exec_hi, v9
	v_cmp_eq_u32_e32 vcc, 0, v9
	s_and_saveexec_b64 s[44:45], vcc
	s_xor_b64 s[44:45], exec, s[44:45]
	s_cbranch_execz .LBB39_24
; %bb.23:                               ;   in Loop: Header=BB39_19 Depth=3
	v_mov_b32_e32 v9, s46
	global_atomic_smin v4, v9, s[22:23]
.LBB39_24:                              ;   in Loop: Header=BB39_19 Depth=3
	s_or_b64 exec, exec, s[44:45]
	v_mov_b32_e32 v36, 1.0
	v_mov_b32_e32 v37, 0
.LBB39_25:                              ;   in Loop: Header=BB39_19 Depth=3
	s_or_b64 exec, exec, s[12:13]
	v_add_u32_e32 v9, s53, v35
	v_add_u32_e32 v10, s54, v33
	v_cndmask_b32_e64 v9, v10, v9, s[2:3]
	v_ashrrev_i32_e32 v10, 31, v9
	v_lshlrev_b64 v[9:10], 3, v[9:10]
	v_mov_b32_e32 v11, s29
	v_add_co_u32_e32 v9, vcc, s28, v9
	v_addc_co_u32_e32 v10, vcc, v11, v10, vcc
	global_load_dwordx2 v[11:12], v[9:10], off
	v_mov_b32_e32 v38, 0
	v_mov_b32_e32 v39, 0
	s_and_saveexec_b64 s[12:13], s[10:11]
	s_cbranch_execz .LBB39_18
; %bb.26:                               ;   in Loop: Header=BB39_19 Depth=3
	global_load_dword v40, v[6:7], off
	v_add_u32_e32 v41, s53, v31
	v_mov_b32_e32 v38, 0
	s_mov_b64 s[44:45], 0
	v_mov_b32_e32 v42, v34
	v_mov_b32_e32 v13, v30
	;; [unrolled: 1-line block ×3, first 2 shown]
	s_branch .LBB39_28
.LBB39_27:                              ;   in Loop: Header=BB39_28 Depth=4
	s_or_b64 exec, exec, s[46:47]
	v_add_u32_e32 v14, 1, v13
	v_cmp_ge_i32_e32 vcc, v13, v29
	v_add_u32_e32 v42, s51, v42
	s_or_b64 s[44:45], vcc, s[44:45]
	v_mov_b32_e32 v13, v14
	s_andn2_b64 exec, exec, s[44:45]
	s_cbranch_execz .LBB39_17
.LBB39_28:                              ;   Parent Loop BB39_4 Depth=1
                                        ;     Parent Loop BB39_10 Depth=2
                                        ;       Parent Loop BB39_19 Depth=3
                                        ; =>      This Loop Header: Depth=4
                                        ;           Child Loop BB39_30 Depth 5
                                        ;           Child Loop BB39_36 Depth 5
	v_ashrrev_i32_e32 v14, 31, v13
	v_lshlrev_b64 v[14:15], 2, v[13:14]
	v_mov_b32_e32 v16, s27
	v_add_co_u32_e32 v14, vcc, s26, v14
	v_addc_co_u32_e32 v15, vcc, v16, v15, vcc
	global_load_dword v16, v[14:15], off
	s_waitcnt vmcnt(1)
	v_mov_b32_e32 v15, v40
	v_mov_b32_e32 v14, v5
	s_and_saveexec_b64 s[46:47], s[8:9]
	s_cbranch_execz .LBB39_32
; %bb.29:                               ;   in Loop: Header=BB39_28 Depth=4
	s_mov_b64 s[48:49], 0
	v_mov_b32_e32 v15, v40
	v_mov_b32_e32 v14, v5
	;; [unrolled: 1-line block ×4, first 2 shown]
.LBB39_30:                              ;   Parent Loop BB39_4 Depth=1
                                        ;     Parent Loop BB39_10 Depth=2
                                        ;       Parent Loop BB39_19 Depth=3
                                        ;         Parent Loop BB39_28 Depth=4
                                        ; =>        This Inner Loop Header: Depth=5
	v_add_u32_e32 v45, 1, v14
	s_waitcnt vmcnt(0)
	v_cmp_lt_i32_e32 vcc, v15, v16
	v_cndmask_b32_e32 v44, v14, v44, vcc
	v_cndmask_b32_e32 v43, v43, v45, vcc
	v_add_u32_e32 v14, v44, v43
	v_ashrrev_i32_e32 v14, 1, v14
	v_ashrrev_i32_e32 v15, 31, v14
	v_lshlrev_b64 v[45:46], 2, v[14:15]
	v_mov_b32_e32 v15, s27
	v_add_co_u32_e32 v45, vcc, s26, v45
	v_addc_co_u32_e32 v46, vcc, v15, v46, vcc
	global_load_dword v15, v[45:46], off
	v_cmp_ge_i32_e32 vcc, v43, v44
	s_or_b64 s[48:49], vcc, s[48:49]
	s_andn2_b64 exec, exec, s[48:49]
	s_cbranch_execnz .LBB39_30
; %bb.31:                               ;   in Loop: Header=BB39_28 Depth=4
	s_or_b64 exec, exec, s[48:49]
.LBB39_32:                              ;   in Loop: Header=BB39_28 Depth=4
	s_or_b64 exec, exec, s[46:47]
	s_waitcnt vmcnt(0)
	v_cmp_eq_u32_e32 vcc, v15, v16
	s_and_saveexec_b64 s[46:47], vcc
	s_cbranch_execz .LBB39_27
; %bb.33:                               ;   in Loop: Header=BB39_28 Depth=4
	v_mul_lo_u32 v15, v13, s51
	v_mul_lo_u32 v14, v14, s51
	v_subrev_u32_e32 v16, s33, v16
	v_mul_lo_u32 v43, v16, s50
	v_add_u32_e32 v44, s54, v15
	v_add_u32_e32 v45, v14, v26
	;; [unrolled: 1-line block ×3, first 2 shown]
	s_mov_b32 s55, 0
	v_mov_b32_e32 v47, v42
	s_branch .LBB39_36
.LBB39_34:                              ;   in Loop: Header=BB39_36 Depth=5
	v_ashrrev_i32_e32 v16, 31, v15
	v_lshlrev_b64 v[15:16], 3, v[15:16]
	v_mov_b32_e32 v49, s29
	v_add_co_u32_e32 v48, vcc, s28, v15
	v_ashrrev_i32_e32 v15, 31, v14
	v_lshlrev_b64 v[14:15], 3, v[14:15]
	v_addc_co_u32_e32 v49, vcc, v49, v16, vcc
	v_mov_b32_e32 v16, s29
	v_add_co_u32_e32 v14, vcc, s28, v14
	v_addc_co_u32_e32 v15, vcc, v16, v15, vcc
	global_load_dwordx2 v[48:49], v[48:49], off
	s_nop 0
	global_load_dwordx2 v[14:15], v[14:15], off
	s_waitcnt vmcnt(0)
	v_fmac_f32_e32 v39, v48, v14
	v_fmac_f32_e32 v38, v49, v14
	;; [unrolled: 1-line block ×3, first 2 shown]
	v_fma_f32 v38, v48, -v15, v38
.LBB39_35:                              ;   in Loop: Header=BB39_36 Depth=5
	s_or_b64 exec, exec, s[48:49]
	s_add_i32 s55, s55, 1
	v_add_u32_e32 v46, s50, v46
	s_cmp_lg_u32 s50, s55
	v_add_u32_e32 v47, s50, v47
	s_cbranch_scc0 .LBB39_27
.LBB39_36:                              ;   Parent Loop BB39_4 Depth=1
                                        ;     Parent Loop BB39_10 Depth=2
                                        ;       Parent Loop BB39_19 Depth=3
                                        ;         Parent Loop BB39_28 Depth=4
                                        ; =>        This Inner Loop Header: Depth=5
	v_add_u32_e32 v14, s55, v43
	v_cmp_lt_i32_e32 vcc, v14, v41
	s_and_saveexec_b64 s[48:49], vcc
	s_cbranch_execz .LBB39_35
; %bb.37:                               ;   in Loop: Header=BB39_36 Depth=5
	s_andn2_b64 vcc, exec, s[2:3]
	v_mov_b32_e32 v15, v47
	v_mov_b32_e32 v14, v46
	s_cbranch_vccnz .LBB39_34
; %bb.38:                               ;   in Loop: Header=BB39_36 Depth=5
	v_add_u32_e32 v15, s55, v44
	v_add_u32_e32 v14, s55, v45
	s_branch .LBB39_34
.LBB39_39:                              ;   in Loop: Header=BB39_4 Depth=1
	s_or_b64 exec, exec, s[38:39]
.LBB39_40:                              ;   in Loop: Header=BB39_4 Depth=1
	s_or_b64 exec, exec, s[36:37]
	v_add_u32_e32 v15, v26, v20
	s_mov_b32 s40, 0
	v_mov_b32_e32 v16, v23
	s_branch .LBB39_43
.LBB39_41:                              ;   in Loop: Header=BB39_43 Depth=2
	v_mul_f32_e32 v12, v30, v30
	v_fmac_f32_e32 v12, v3, v3
	v_div_scale_f32 v13, s[12:13], v12, v12, 1.0
	v_div_scale_f32 v14, vcc, 1.0, v12, 1.0
	s_waitcnt vmcnt(0)
	v_sub_f32_e32 v10, v10, v31
	v_sub_f32_e32 v11, v11, v32
	v_rcp_f32_e32 v29, v13
	v_fma_f32 v33, -v13, v29, 1.0
	v_fmac_f32_e32 v29, v33, v29
	v_mul_f32_e32 v33, v14, v29
	v_fma_f32 v34, -v13, v33, v14
	v_fmac_f32_e32 v33, v34, v29
	v_fma_f32 v13, -v13, v33, v14
	v_div_fmas_f32 v13, v13, v29, v33
	v_mul_f32_e32 v14, v30, v11
	v_mul_f32_e64 v29, v30, -v10
	v_fmac_f32_e32 v14, v10, v3
	v_fmac_f32_e32 v29, v11, v3
	v_div_fixup_f32 v3, v13, v12, 1.0
	v_mul_f32_e32 v10, v3, v14
	v_mul_f32_e32 v11, v3, v29
	v_fmac_f32_e32 v28, v10, v10
	v_fmac_f32_e32 v27, v11, v10
	;; [unrolled: 1-line block ×3, first 2 shown]
	v_fma_f32 v27, v10, -v11, v27
	global_store_dwordx2 v[8:9], v[10:11], off
.LBB39_42:                              ;   in Loop: Header=BB39_43 Depth=2
	s_or_b64 exec, exec, s[10:11]
	s_add_i32 s40, s40, 1
	s_cmp_eq_u32 s40, s50
	v_add_u32_e32 v16, 1, v16
	s_waitcnt vmcnt(0)
	buffer_wbinvl1_vol
	s_cbranch_scc1 .LBB39_3
.LBB39_43:                              ;   Parent Loop BB39_4 Depth=1
                                        ; =>  This Loop Header: Depth=2
                                        ;       Child Loop BB39_53 Depth 3
                                        ;       Child Loop BB39_61 Depth 3
                                        ;         Child Loop BB39_63 Depth 4
                                        ;       Child Loop BB39_71 Depth 3
	s_mul_i32 s41, s40, s50
	v_add_u32_e32 v29, s41, v20
	v_add_u32_e32 v8, s40, v29
	v_ashrrev_i32_e32 v9, 31, v8
	v_lshlrev_b64 v[8:9], 3, v[8:9]
	v_cmp_eq_u32_e32 vcc, s40, v25
	s_and_saveexec_b64 s[12:13], vcc
	s_cbranch_execz .LBB39_51
; %bb.44:                               ;   in Loop: Header=BB39_43 Depth=2
	v_mov_b32_e32 v3, s29
	v_add_co_u32_e32 v10, vcc, s28, v8
	v_addc_co_u32_e32 v11, vcc, v3, v9, vcc
	global_load_dwordx2 v[12:13], v[10:11], off
	s_waitcnt vmcnt(0)
	v_sub_f32_e32 v3, v12, v28
	v_sub_f32_e32 v14, v13, v27
	v_cmp_gt_f32_e32 vcc, 0, v3
	v_cndmask_b32_e64 v3, v3, -v3, vcc
	v_cmp_gt_f32_e32 vcc, 0, v14
	v_cndmask_b32_e64 v12, v14, -v14, vcc
	v_cmp_ngt_f32_e32 vcc, v3, v12
                                        ; implicit-def: $vgpr13
	s_and_saveexec_b64 s[10:11], vcc
	s_xor_b64 s[36:37], exec, s[10:11]
	s_cbranch_execz .LBB39_48
; %bb.45:                               ;   in Loop: Header=BB39_43 Depth=2
	v_mov_b32_e32 v13, 0
	v_cmp_neq_f32_e32 vcc, 0, v14
	s_and_saveexec_b64 s[38:39], vcc
	s_cbranch_execz .LBB39_47
; %bb.46:                               ;   in Loop: Header=BB39_43 Depth=2
	v_div_scale_f32 v13, s[10:11], v12, v12, v3
	v_div_scale_f32 v14, vcc, v3, v12, v3
	v_rcp_f32_e32 v30, v13
	v_fma_f32 v31, -v13, v30, 1.0
	v_fmac_f32_e32 v30, v31, v30
	v_mul_f32_e32 v31, v14, v30
	v_fma_f32 v32, -v13, v31, v14
	v_fmac_f32_e32 v31, v32, v30
	v_fma_f32 v13, -v13, v31, v14
	v_div_fmas_f32 v13, v13, v30, v31
	v_div_fixup_f32 v3, v13, v12, v3
	v_fma_f32 v3, v3, v3, 1.0
	v_mul_f32_e32 v13, 0x4f800000, v3
	v_cmp_gt_f32_e32 vcc, s52, v3
	v_cndmask_b32_e32 v3, v3, v13, vcc
	v_sqrt_f32_e32 v13, v3
	v_add_u32_e32 v14, -1, v13
	v_add_u32_e32 v30, 1, v13
	v_fma_f32 v31, -v14, v13, v3
	v_fma_f32 v32, -v30, v13, v3
	v_cmp_ge_f32_e64 s[10:11], 0, v31
	v_cndmask_b32_e64 v13, v13, v14, s[10:11]
	v_cmp_lt_f32_e64 s[10:11], 0, v32
	v_cndmask_b32_e64 v13, v13, v30, s[10:11]
	v_mul_f32_e32 v14, 0x37800000, v13
	v_cndmask_b32_e32 v13, v13, v14, vcc
	v_cmp_class_f32_e32 vcc, v3, v19
	v_cndmask_b32_e32 v3, v13, v3, vcc
	v_mul_f32_e32 v13, v12, v3
.LBB39_47:                              ;   in Loop: Header=BB39_43 Depth=2
	s_or_b64 exec, exec, s[38:39]
                                        ; implicit-def: $vgpr3
                                        ; implicit-def: $vgpr12
.LBB39_48:                              ;   in Loop: Header=BB39_43 Depth=2
	s_andn2_saveexec_b64 s[36:37], s[36:37]
	s_cbranch_execz .LBB39_50
; %bb.49:                               ;   in Loop: Header=BB39_43 Depth=2
	v_div_scale_f32 v13, s[10:11], v3, v3, v12
	v_div_scale_f32 v14, vcc, v12, v3, v12
	v_rcp_f32_e32 v30, v13
	v_fma_f32 v31, -v13, v30, 1.0
	v_fmac_f32_e32 v30, v31, v30
	v_mul_f32_e32 v31, v14, v30
	v_fma_f32 v32, -v13, v31, v14
	v_fmac_f32_e32 v31, v32, v30
	v_fma_f32 v13, -v13, v31, v14
	v_div_fmas_f32 v13, v13, v30, v31
	v_div_fixup_f32 v12, v13, v3, v12
	v_fma_f32 v12, v12, v12, 1.0
	v_mul_f32_e32 v13, 0x4f800000, v12
	v_cmp_gt_f32_e32 vcc, s52, v12
	v_cndmask_b32_e32 v12, v12, v13, vcc
	v_sqrt_f32_e32 v13, v12
	v_add_u32_e32 v14, -1, v13
	v_add_u32_e32 v30, 1, v13
	v_fma_f32 v31, -v14, v13, v12
	v_fma_f32 v32, -v30, v13, v12
	v_cmp_ge_f32_e64 s[10:11], 0, v31
	v_cndmask_b32_e64 v13, v13, v14, s[10:11]
	v_cmp_lt_f32_e64 s[10:11], 0, v32
	v_cndmask_b32_e64 v13, v13, v30, s[10:11]
	v_mul_f32_e32 v14, 0x37800000, v13
	v_cndmask_b32_e32 v13, v13, v14, vcc
	v_cmp_class_f32_e32 vcc, v12, v19
	v_cndmask_b32_e32 v12, v13, v12, vcc
	v_mul_f32_e32 v13, v3, v12
.LBB39_50:                              ;   in Loop: Header=BB39_43 Depth=2
	s_or_b64 exec, exec, s[36:37]
	v_mul_f32_e32 v3, 0x4f800000, v13
	v_cmp_gt_f32_e32 vcc, s52, v13
	v_cndmask_b32_e32 v3, v13, v3, vcc
	v_sqrt_f32_e32 v12, v3
	v_add_u32_e32 v13, -1, v12
	v_fma_f32 v30, -v13, v12, v3
	v_add_u32_e32 v14, 1, v12
	v_cmp_ge_f32_e64 s[10:11], 0, v30
	v_cndmask_b32_e64 v13, v12, v13, s[10:11]
	v_fma_f32 v12, -v14, v12, v3
	v_cmp_lt_f32_e64 s[10:11], 0, v12
	v_cndmask_b32_e64 v12, v13, v14, s[10:11]
	v_mul_f32_e32 v13, 0x37800000, v12
	v_cndmask_b32_e32 v12, v12, v13, vcc
	v_cmp_class_f32_e32 vcc, v3, v19
	v_cndmask_b32_e32 v3, v12, v3, vcc
	global_store_dwordx2 v[10:11], v[3:4], off
.LBB39_51:                              ;   in Loop: Header=BB39_43 Depth=2
	s_or_b64 exec, exec, s[12:13]
	v_mov_b32_e32 v3, s29
	v_add_co_u32_e32 v8, vcc, s28, v8
	v_addc_co_u32_e32 v9, vcc, v3, v9, vcc
	s_waitcnt vmcnt(0)
	buffer_wbinvl1_vol
	global_load_dwordx2 v[8:9], v[8:9], off
	s_waitcnt vmcnt(0)
	v_cmp_neq_f32_e32 vcc, 0, v8
	v_cmp_neq_f32_e64 s[10:11], 0, v9
	s_or_b64 vcc, vcc, s[10:11]
	v_cndmask_b32_e32 v30, 0, v9, vcc
	s_nor_b64 s[12:13], vcc, s[0:1]
	v_cndmask_b32_e32 v3, 1.0, v8, vcc
	s_and_saveexec_b64 s[10:11], s[12:13]
	s_cbranch_execz .LBB39_57
; %bb.52:                               ;   in Loop: Header=BB39_43 Depth=2
	s_mov_b64 s[12:13], exec
	s_brev_b32 s36, -2
.LBB39_53:                              ;   Parent Loop BB39_4 Depth=1
                                        ;     Parent Loop BB39_43 Depth=2
                                        ; =>    This Inner Loop Header: Depth=3
	s_ff1_i32_b64 s37, s[12:13]
	v_readlane_b32 s42, v18, s37
	s_lshl_b64 s[38:39], 1, s37
	s_min_i32 s36, s36, s42
	s_andn2_b64 s[12:13], s[12:13], s[38:39]
	s_cmp_lg_u64 s[12:13], 0
	s_cbranch_scc1 .LBB39_53
; %bb.54:                               ;   in Loop: Header=BB39_43 Depth=2
	v_mbcnt_lo_u32_b32 v3, exec_lo, 0
	v_mbcnt_hi_u32_b32 v3, exec_hi, v3
	v_cmp_eq_u32_e32 vcc, 0, v3
	s_and_saveexec_b64 s[12:13], vcc
	s_xor_b64 s[12:13], exec, s[12:13]
	s_cbranch_execz .LBB39_56
; %bb.55:                               ;   in Loop: Header=BB39_43 Depth=2
	v_mov_b32_e32 v3, s36
	global_atomic_smin v4, v3, s[22:23]
.LBB39_56:                              ;   in Loop: Header=BB39_43 Depth=2
	s_or_b64 exec, exec, s[12:13]
	v_mov_b32_e32 v30, 0
	v_mov_b32_e32 v3, 1.0
.LBB39_57:                              ;   in Loop: Header=BB39_43 Depth=2
	s_or_b64 exec, exec, s[10:11]
	v_cmp_lt_i32_e32 vcc, s40, v25
	s_and_saveexec_b64 s[10:11], vcc
	s_cbranch_execz .LBB39_42
; %bb.58:                               ;   in Loop: Header=BB39_43 Depth=2
	v_add_u32_e32 v8, s40, v15
	v_add_u32_e32 v9, v29, v25
	v_cndmask_b32_e64 v8, v9, v8, s[2:3]
	v_ashrrev_i32_e32 v9, 31, v8
	v_lshlrev_b64 v[8:9], 3, v[8:9]
	v_mov_b32_e32 v10, s29
	v_add_co_u32_e32 v8, vcc, s28, v8
	v_addc_co_u32_e32 v9, vcc, v10, v9, vcc
	global_load_dwordx2 v[10:11], v[8:9], off
	v_mov_b32_e32 v31, 0
	v_mov_b32_e32 v32, 0
	s_and_saveexec_b64 s[12:13], s[4:5]
	s_cbranch_execz .LBB39_68
; %bb.59:                               ;   in Loop: Header=BB39_43 Depth=2
	v_mov_b32_e32 v31, 0
	s_mov_b64 s[36:37], 0
	v_mov_b32_e32 v33, v16
	v_mov_b32_e32 v34, v24
	;; [unrolled: 1-line block ×4, first 2 shown]
	s_branch .LBB39_61
.LBB39_60:                              ;   in Loop: Header=BB39_61 Depth=3
	v_add_u32_e32 v35, 1, v35
	v_cmp_ge_i32_e32 vcc, v35, v17
	v_add_u32_e32 v34, s51, v34
	s_or_b64 s[36:37], vcc, s[36:37]
	v_add_u32_e32 v33, s51, v33
	s_andn2_b64 exec, exec, s[36:37]
	s_cbranch_execz .LBB39_67
.LBB39_61:                              ;   Parent Loop BB39_4 Depth=1
                                        ;     Parent Loop BB39_43 Depth=2
                                        ; =>    This Loop Header: Depth=3
                                        ;         Child Loop BB39_63 Depth 4
	v_mul_lo_u32 v12, v35, s51
	s_mov_b32 s42, 0
	s_mov_b32 s43, s50
	;; [unrolled: 1-line block ×3, first 2 shown]
	v_add_u32_e32 v36, s41, v12
	v_add_u32_e32 v37, v12, v26
	s_branch .LBB39_63
.LBB39_62:                              ;   in Loop: Header=BB39_63 Depth=4
	v_ashrrev_i32_e32 v14, 31, v13
	v_lshlrev_b64 v[13:14], 3, v[13:14]
	v_mov_b32_e32 v40, s29
	v_add_co_u32_e32 v38, vcc, s28, v13
	v_ashrrev_i32_e32 v13, 31, v12
	v_lshlrev_b64 v[12:13], 3, v[12:13]
	v_addc_co_u32_e32 v39, vcc, v40, v14, vcc
	v_add_co_u32_e32 v12, vcc, s28, v12
	v_addc_co_u32_e32 v13, vcc, v40, v13, vcc
	global_load_dwordx2 v[40:41], v[38:39], off
	global_load_dwordx2 v[42:43], v[12:13], off
	s_add_i32 s44, s44, 1
	s_add_i32 s42, s42, s50
	s_add_i32 s43, s43, -1
	s_cmp_eq_u32 s43, 0
	s_waitcnt vmcnt(0)
	v_fmac_f32_e32 v31, v40, v42
	v_fmac_f32_e32 v32, v41, v42
	;; [unrolled: 1-line block ×3, first 2 shown]
	v_fma_f32 v32, v40, -v43, v32
	s_cbranch_scc1 .LBB39_60
.LBB39_63:                              ;   Parent Loop BB39_4 Depth=1
                                        ;     Parent Loop BB39_43 Depth=2
                                        ;       Parent Loop BB39_61 Depth=3
                                        ; =>      This Inner Loop Header: Depth=4
	s_mov_b64 s[38:39], -1
	s_and_b64 vcc, exec, s[34:35]
                                        ; implicit-def: $vgpr12
                                        ; implicit-def: $vgpr13
	s_cbranch_vccz .LBB39_65
; %bb.64:                               ;   in Loop: Header=BB39_63 Depth=4
	v_add_u32_e32 v13, s42, v33
	v_add_u32_e32 v12, s42, v34
	s_mov_b64 s[38:39], 0
.LBB39_65:                              ;   in Loop: Header=BB39_63 Depth=4
	s_andn2_b64 vcc, exec, s[38:39]
	s_cbranch_vccnz .LBB39_62
; %bb.66:                               ;   in Loop: Header=BB39_63 Depth=4
	v_add_u32_e32 v13, s44, v36
	v_add_u32_e32 v12, s44, v37
	s_branch .LBB39_62
.LBB39_67:                              ;   in Loop: Header=BB39_43 Depth=2
	s_or_b64 exec, exec, s[36:37]
.LBB39_68:                              ;   in Loop: Header=BB39_43 Depth=2
	s_or_b64 exec, exec, s[12:13]
	s_cmp_eq_u32 s40, 0
	s_cbranch_scc1 .LBB39_41
; %bb.69:                               ;   in Loop: Header=BB39_43 Depth=2
	s_mov_b32 s36, 0
	v_mov_b32_e32 v33, v20
	s_branch .LBB39_71
.LBB39_70:                              ;   in Loop: Header=BB39_71 Depth=3
	v_ashrrev_i32_e32 v14, 31, v13
	v_lshlrev_b64 v[13:14], 3, v[13:14]
	v_mov_b32_e32 v36, s29
	v_add_co_u32_e32 v34, vcc, s28, v13
	v_ashrrev_i32_e32 v13, 31, v12
	v_lshlrev_b64 v[12:13], 3, v[12:13]
	v_addc_co_u32_e32 v35, vcc, v36, v14, vcc
	v_add_co_u32_e32 v12, vcc, s28, v12
	v_addc_co_u32_e32 v13, vcc, v36, v13, vcc
	global_load_dwordx2 v[36:37], v[34:35], off
	global_load_dwordx2 v[38:39], v[12:13], off
	s_add_i32 s36, s36, 1
	s_cmp_eq_u32 s40, s36
	v_add_u32_e32 v33, s50, v33
	s_waitcnt vmcnt(0)
	v_fmac_f32_e32 v31, v36, v38
	v_fmac_f32_e32 v32, v37, v38
	;; [unrolled: 1-line block ×3, first 2 shown]
	v_fma_f32 v32, v36, -v39, v32
	s_cbranch_scc1 .LBB39_41
.LBB39_71:                              ;   Parent Loop BB39_4 Depth=1
                                        ;     Parent Loop BB39_43 Depth=2
                                        ; =>    This Inner Loop Header: Depth=3
	s_mov_b64 s[12:13], -1
	s_and_b64 vcc, exec, s[34:35]
                                        ; implicit-def: $vgpr12
                                        ; implicit-def: $vgpr13
	s_cbranch_vccz .LBB39_73
; %bb.72:                               ;   in Loop: Header=BB39_71 Depth=3
	v_add_u32_e32 v13, s40, v33
	v_add_u32_e32 v12, v25, v33
	s_mov_b64 s[12:13], 0
.LBB39_73:                              ;   in Loop: Header=BB39_71 Depth=3
	s_andn2_b64 vcc, exec, s[12:13]
	s_cbranch_vccnz .LBB39_70
; %bb.74:                               ;   in Loop: Header=BB39_71 Depth=3
	v_add_u32_e32 v13, s36, v29
	v_add_u32_e32 v12, s36, v15
	s_branch .LBB39_70
.LBB39_75:
	s_or_b64 exec, exec, s[20:21]
	v_cmp_eq_u32_e32 vcc, 63, v0
	s_and_saveexec_b64 s[0:1], vcc
	s_cbranch_execz .LBB39_77
; %bb.76:
	v_mov_b32_e32 v3, s19
	v_add_co_u32_e32 v0, vcc, s18, v1
	v_addc_co_u32_e32 v1, vcc, v3, v2, vcc
	v_mov_b32_e32 v2, 1
	global_store_dword v[0:1], v2, off
.LBB39_77:
	s_or_b64 exec, exec, s[0:1]
                                        ; implicit-def: $vgpr0
                                        ; implicit-def: $vgpr1_vgpr2
                                        ; implicit-def: $vgpr3_vgpr4
.LBB39_78:
	s_andn2_saveexec_b64 s[0:1], s[14:15]
	s_cbranch_execz .LBB39_85
; %bb.79:
	v_cmp_eq_u32_e32 vcc, 63, v0
	s_and_saveexec_b64 s[0:1], vcc
	s_cbranch_execz .LBB39_85
; %bb.80:
	s_mov_b64 s[0:1], exec
	v_add_u32_e32 v0, s33, v3
	s_brev_b32 s2, -2
.LBB39_81:                              ; =>This Inner Loop Header: Depth=1
	s_ff1_i32_b64 s3, s[0:1]
	v_readlane_b32 s6, v0, s3
	s_lshl_b64 s[4:5], 1, s3
	s_min_i32 s2, s2, s6
	s_andn2_b64 s[0:1], s[0:1], s[4:5]
	s_cmp_lg_u64 s[0:1], 0
	s_cbranch_scc1 .LBB39_81
; %bb.82:
	v_mbcnt_lo_u32_b32 v0, exec_lo, 0
	v_mbcnt_hi_u32_b32 v0, exec_hi, v0
	v_cmp_eq_u32_e32 vcc, 0, v0
	s_and_saveexec_b64 s[0:1], vcc
	s_xor_b64 s[0:1], exec, s[0:1]
	s_cbranch_execz .LBB39_84
; %bb.83:
	v_mov_b32_e32 v0, 0
	v_mov_b32_e32 v3, s2
	global_atomic_smin v0, v3, s[22:23]
.LBB39_84:
	s_or_b64 exec, exec, s[0:1]
	v_mov_b32_e32 v3, s19
	v_add_co_u32_e32 v0, vcc, s18, v1
	v_addc_co_u32_e32 v1, vcc, v3, v2, vcc
	v_mov_b32_e32 v2, 1
	s_waitcnt vmcnt(0)
	global_store_dword v[0:1], v2, off
.LBB39_85:
	s_endpgm
	.section	.rodata,"a",@progbits
	.p2align	6, 0x0
	.amdhsa_kernel _ZN9rocsparseL23bsric0_binsearch_kernelILj64ELj64ELb1E21rocsparse_complex_numIfEEEv20rocsparse_direction_iiPKiS5_PT2_S5_PiS5_S8_21rocsparse_index_base_
		.amdhsa_group_segment_fixed_size 0
		.amdhsa_private_segment_fixed_size 0
		.amdhsa_kernarg_size 76
		.amdhsa_user_sgpr_count 6
		.amdhsa_user_sgpr_private_segment_buffer 1
		.amdhsa_user_sgpr_dispatch_ptr 0
		.amdhsa_user_sgpr_queue_ptr 0
		.amdhsa_user_sgpr_kernarg_segment_ptr 1
		.amdhsa_user_sgpr_dispatch_id 0
		.amdhsa_user_sgpr_flat_scratch_init 0
		.amdhsa_user_sgpr_private_segment_size 0
		.amdhsa_uses_dynamic_stack 0
		.amdhsa_system_sgpr_private_segment_wavefront_offset 0
		.amdhsa_system_sgpr_workgroup_id_x 1
		.amdhsa_system_sgpr_workgroup_id_y 0
		.amdhsa_system_sgpr_workgroup_id_z 0
		.amdhsa_system_sgpr_workgroup_info 0
		.amdhsa_system_vgpr_workitem_id 0
		.amdhsa_next_free_vgpr 50
		.amdhsa_next_free_sgpr 56
		.amdhsa_reserve_vcc 1
		.amdhsa_reserve_flat_scratch 0
		.amdhsa_float_round_mode_32 0
		.amdhsa_float_round_mode_16_64 0
		.amdhsa_float_denorm_mode_32 3
		.amdhsa_float_denorm_mode_16_64 3
		.amdhsa_dx10_clamp 1
		.amdhsa_ieee_mode 1
		.amdhsa_fp16_overflow 0
		.amdhsa_exception_fp_ieee_invalid_op 0
		.amdhsa_exception_fp_denorm_src 0
		.amdhsa_exception_fp_ieee_div_zero 0
		.amdhsa_exception_fp_ieee_overflow 0
		.amdhsa_exception_fp_ieee_underflow 0
		.amdhsa_exception_fp_ieee_inexact 0
		.amdhsa_exception_int_div_zero 0
	.end_amdhsa_kernel
	.section	.text._ZN9rocsparseL23bsric0_binsearch_kernelILj64ELj64ELb1E21rocsparse_complex_numIfEEEv20rocsparse_direction_iiPKiS5_PT2_S5_PiS5_S8_21rocsparse_index_base_,"axG",@progbits,_ZN9rocsparseL23bsric0_binsearch_kernelILj64ELj64ELb1E21rocsparse_complex_numIfEEEv20rocsparse_direction_iiPKiS5_PT2_S5_PiS5_S8_21rocsparse_index_base_,comdat
.Lfunc_end39:
	.size	_ZN9rocsparseL23bsric0_binsearch_kernelILj64ELj64ELb1E21rocsparse_complex_numIfEEEv20rocsparse_direction_iiPKiS5_PT2_S5_PiS5_S8_21rocsparse_index_base_, .Lfunc_end39-_ZN9rocsparseL23bsric0_binsearch_kernelILj64ELj64ELb1E21rocsparse_complex_numIfEEEv20rocsparse_direction_iiPKiS5_PT2_S5_PiS5_S8_21rocsparse_index_base_
                                        ; -- End function
	.set _ZN9rocsparseL23bsric0_binsearch_kernelILj64ELj64ELb1E21rocsparse_complex_numIfEEEv20rocsparse_direction_iiPKiS5_PT2_S5_PiS5_S8_21rocsparse_index_base_.num_vgpr, 50
	.set _ZN9rocsparseL23bsric0_binsearch_kernelILj64ELj64ELb1E21rocsparse_complex_numIfEEEv20rocsparse_direction_iiPKiS5_PT2_S5_PiS5_S8_21rocsparse_index_base_.num_agpr, 0
	.set _ZN9rocsparseL23bsric0_binsearch_kernelILj64ELj64ELb1E21rocsparse_complex_numIfEEEv20rocsparse_direction_iiPKiS5_PT2_S5_PiS5_S8_21rocsparse_index_base_.numbered_sgpr, 56
	.set _ZN9rocsparseL23bsric0_binsearch_kernelILj64ELj64ELb1E21rocsparse_complex_numIfEEEv20rocsparse_direction_iiPKiS5_PT2_S5_PiS5_S8_21rocsparse_index_base_.num_named_barrier, 0
	.set _ZN9rocsparseL23bsric0_binsearch_kernelILj64ELj64ELb1E21rocsparse_complex_numIfEEEv20rocsparse_direction_iiPKiS5_PT2_S5_PiS5_S8_21rocsparse_index_base_.private_seg_size, 0
	.set _ZN9rocsparseL23bsric0_binsearch_kernelILj64ELj64ELb1E21rocsparse_complex_numIfEEEv20rocsparse_direction_iiPKiS5_PT2_S5_PiS5_S8_21rocsparse_index_base_.uses_vcc, 1
	.set _ZN9rocsparseL23bsric0_binsearch_kernelILj64ELj64ELb1E21rocsparse_complex_numIfEEEv20rocsparse_direction_iiPKiS5_PT2_S5_PiS5_S8_21rocsparse_index_base_.uses_flat_scratch, 0
	.set _ZN9rocsparseL23bsric0_binsearch_kernelILj64ELj64ELb1E21rocsparse_complex_numIfEEEv20rocsparse_direction_iiPKiS5_PT2_S5_PiS5_S8_21rocsparse_index_base_.has_dyn_sized_stack, 0
	.set _ZN9rocsparseL23bsric0_binsearch_kernelILj64ELj64ELb1E21rocsparse_complex_numIfEEEv20rocsparse_direction_iiPKiS5_PT2_S5_PiS5_S8_21rocsparse_index_base_.has_recursion, 0
	.set _ZN9rocsparseL23bsric0_binsearch_kernelILj64ELj64ELb1E21rocsparse_complex_numIfEEEv20rocsparse_direction_iiPKiS5_PT2_S5_PiS5_S8_21rocsparse_index_base_.has_indirect_call, 0
	.section	.AMDGPU.csdata,"",@progbits
; Kernel info:
; codeLenInByte = 3308
; TotalNumSgprs: 60
; NumVgprs: 50
; ScratchSize: 0
; MemoryBound: 0
; FloatMode: 240
; IeeeMode: 1
; LDSByteSize: 0 bytes/workgroup (compile time only)
; SGPRBlocks: 7
; VGPRBlocks: 12
; NumSGPRsForWavesPerEU: 60
; NumVGPRsForWavesPerEU: 50
; Occupancy: 4
; WaveLimiterHint : 1
; COMPUTE_PGM_RSRC2:SCRATCH_EN: 0
; COMPUTE_PGM_RSRC2:USER_SGPR: 6
; COMPUTE_PGM_RSRC2:TRAP_HANDLER: 0
; COMPUTE_PGM_RSRC2:TGID_X_EN: 1
; COMPUTE_PGM_RSRC2:TGID_Y_EN: 0
; COMPUTE_PGM_RSRC2:TGID_Z_EN: 0
; COMPUTE_PGM_RSRC2:TIDIG_COMP_CNT: 0
	.section	.text._ZN9rocsparseL26bsric0_2_8_unrolled_kernelILi1ELi32ELi1E21rocsparse_complex_numIfEEEv20rocsparse_direction_iiPKiS5_PT2_S5_PiS5_S8_21rocsparse_index_base_,"axG",@progbits,_ZN9rocsparseL26bsric0_2_8_unrolled_kernelILi1ELi32ELi1E21rocsparse_complex_numIfEEEv20rocsparse_direction_iiPKiS5_PT2_S5_PiS5_S8_21rocsparse_index_base_,comdat
	.globl	_ZN9rocsparseL26bsric0_2_8_unrolled_kernelILi1ELi32ELi1E21rocsparse_complex_numIfEEEv20rocsparse_direction_iiPKiS5_PT2_S5_PiS5_S8_21rocsparse_index_base_ ; -- Begin function _ZN9rocsparseL26bsric0_2_8_unrolled_kernelILi1ELi32ELi1E21rocsparse_complex_numIfEEEv20rocsparse_direction_iiPKiS5_PT2_S5_PiS5_S8_21rocsparse_index_base_
	.p2align	8
	.type	_ZN9rocsparseL26bsric0_2_8_unrolled_kernelILi1ELi32ELi1E21rocsparse_complex_numIfEEEv20rocsparse_direction_iiPKiS5_PT2_S5_PiS5_S8_21rocsparse_index_base_,@function
_ZN9rocsparseL26bsric0_2_8_unrolled_kernelILi1ELi32ELi1E21rocsparse_complex_numIfEEEv20rocsparse_direction_iiPKiS5_PT2_S5_PiS5_S8_21rocsparse_index_base_: ; @_ZN9rocsparseL26bsric0_2_8_unrolled_kernelILi1ELi32ELi1E21rocsparse_complex_numIfEEEv20rocsparse_direction_iiPKiS5_PT2_S5_PiS5_S8_21rocsparse_index_base_
; %bb.0:
	s_load_dwordx8 s[8:15], s[4:5], 0x28
	s_mov_b32 s7, 0
	s_lshl_b64 s[0:1], s[6:7], 2
	s_waitcnt lgkmcnt(0)
	s_add_u32 s0, s12, s0
	s_addc_u32 s1, s13, s1
	s_load_dword s6, s[0:1], 0x0
	s_waitcnt lgkmcnt(0)
	s_ashr_i32 s7, s6, 31
	s_lshl_b64 s[2:3], s[6:7], 2
	s_add_u32 s0, s8, s2
	s_addc_u32 s1, s9, s3
	s_load_dword s12, s[0:1], 0x0
	s_load_dword s7, s[4:5], 0x48
	s_waitcnt lgkmcnt(0)
	s_cmp_lg_u32 s12, -1
	s_cbranch_scc0 .LBB40_6
; %bb.1:
	s_load_dwordx4 s[16:19], s[4:5], 0x10
	s_waitcnt lgkmcnt(0)
	s_add_u32 s0, s16, s2
	s_addc_u32 s1, s17, s3
	s_load_dword s0, s[0:1], 0x0
	s_waitcnt lgkmcnt(0)
	s_sub_i32 s20, s0, s7
	s_cmp_gt_i32 s20, s12
	s_cbranch_scc1 .LBB40_4
; %bb.2:
	s_not_b32 s1, s7
	s_ashr_i32 s21, s20, 31
	s_add_i32 s13, s1, s0
	s_lshl_b64 s[0:1], s[20:21], 2
	s_add_u32 s0, s18, s0
	s_movk_i32 s22, 0x100
	s_addc_u32 s1, s19, s1
.LBB40_3:                               ; =>This Inner Loop Header: Depth=1
	s_load_dword s21, s[0:1], 0x0
	v_mov_b32_e32 v0, s22
	s_add_i32 s13, s13, 1
	s_add_i32 s22, s22, 4
	s_waitcnt lgkmcnt(0)
	s_sub_i32 s21, s21, s7
	s_add_u32 s0, s0, 4
	s_addc_u32 s1, s1, 0
	v_mov_b32_e32 v1, s21
	s_cmp_ge_i32 s13, s12
	ds_write_b32 v0, v1
	s_cbranch_scc0 .LBB40_3
.LBB40_4:
	s_load_dwordx2 s[4:5], s[4:5], 0x20
	v_mov_b32_e32 v0, 0
	s_mov_b32 s21, 0
	v_mov_b32_e32 v1, v0
	s_cmp_lt_i32 s20, s12
	ds_write_b64 v0, v[0:1] offset:432
	s_waitcnt lgkmcnt(0)
	s_cbranch_scc1 .LBB40_7
; %bb.5:
	s_cbranch_execz .LBB40_8
	s_branch .LBB40_40
.LBB40_6:
	s_mov_b64 s[0:1], 0
	s_cbranch_execnz .LBB40_54
	s_branch .LBB40_55
.LBB40_7:
                                        ; implicit-def: $sgpr21
.LBB40_8:
	s_mov_b32 s21, 0
	v_mov_b32_e32 v4, 0
	v_mov_b32_e32 v5, s5
	;; [unrolled: 1-line block ×6, first 2 shown]
	s_mov_b32 s22, s20
	s_branch .LBB40_10
.LBB40_9:                               ;   in Loop: Header=BB40_10 Depth=1
                                        ; implicit-def: $sgpr22
	s_cbranch_execnz .LBB40_40
.LBB40_10:                              ; =>This Loop Header: Depth=1
                                        ;     Child Loop BB40_13 Depth 2
                                        ;     Child Loop BB40_24 Depth 2
	;; [unrolled: 1-line block ×4, first 2 shown]
	s_ashr_i32 s23, s22, 31
	s_lshl_b64 s[0:1], s[22:23], 2
	s_add_u32 s0, s18, s0
	s_addc_u32 s1, s19, s1
	s_load_dword s13, s[0:1], 0x0
	s_waitcnt lgkmcnt(0)
	s_sub_i32 s28, s13, s7
	s_ashr_i32 s29, s28, 31
	s_lshl_b64 s[26:27], s[28:29], 2
	s_add_u32 s0, s8, s26
	s_addc_u32 s1, s9, s27
	s_load_dword s0, s[0:1], 0x0
	s_waitcnt lgkmcnt(0)
	s_cmp_eq_u32 s0, -1
	s_cbranch_scc1 .LBB40_9
; %bb.11:                               ;   in Loop: Header=BB40_10 Depth=1
	s_add_u32 s24, s16, s26
	s_addc_u32 s25, s17, s27
	s_load_dword s1, s[24:25], 0x0
	s_lshl_b64 s[24:25], s[22:23], 3
	s_mov_b32 s23, 0
	ds_read_b32 v2, v4 offset:256
	s_waitcnt lgkmcnt(0)
	s_sub_i32 s30, s1, s7
	s_add_u32 s24, s4, s24
	s_addc_u32 s25, s5, s25
	global_load_dwordx2 v[0:1], v4, s[24:25]
	s_cmp_le_i32 s30, s0
	s_cselect_b64 s[34:35], -1, 0
	v_cmp_ge_i32_e32 vcc, s28, v2
	s_and_b64 s[34:35], s[34:35], vcc
	s_andn2_b64 vcc, exec, s[34:35]
	s_waitcnt vmcnt(0)
	ds_write_b64 v6, v[0:1]
	s_cbranch_vccnz .LBB40_23
; %bb.12:                               ;   in Loop: Header=BB40_10 Depth=1
	s_mov_b32 s1, 0
	s_mov_b32 s29, 0
.LBB40_13:                              ;   Parent Loop BB40_10 Depth=1
                                        ; =>  This Inner Loop Header: Depth=2
	s_ashr_i32 s31, s30, 31
	s_lshl_b64 s[34:35], s[30:31], 2
	s_add_u32 s34, s18, s34
	s_addc_u32 s35, s19, s35
	s_lshl_b32 s31, s29, 2
	s_load_dword s23, s[34:35], 0x0
	v_mov_b32_e32 v0, s31
	ds_read_b32 v0, v0 offset:256
	s_mov_b64 s[34:35], -1
                                        ; implicit-def: $sgpr36
                                        ; implicit-def: $sgpr33
	s_waitcnt lgkmcnt(0)
	s_sub_i32 s37, s23, s7
                                        ; implicit-def: $sgpr23
	v_cmp_ge_i32_e32 vcc, s37, v0
	v_readfirstlane_b32 s31, v0
	s_cbranch_vccz .LBB40_19
; %bb.14:                               ;   in Loop: Header=BB40_13 Depth=2
	s_cmp_le_i32 s37, s31
                                        ; implicit-def: $sgpr23
                                        ; implicit-def: $sgpr36
                                        ; implicit-def: $sgpr33
	s_cbranch_scc0 .LBB40_16
; %bb.15:                               ;   in Loop: Header=BB40_13 Depth=2
	s_add_i32 s23, s29, s20
	s_lshl_b32 s33, s1, 2
	v_mov_b32_e32 v0, s33
	v_mov_b32_e32 v1, s23
	;; [unrolled: 1-line block ×3, first 2 shown]
	ds_write2_b32 v0, v2, v1 offset1:32
	s_add_i32 s33, s29, 1
	s_add_i32 s36, s30, 1
	;; [unrolled: 1-line block ×3, first 2 shown]
	s_mov_b64 s[34:35], 0
.LBB40_16:                              ;   in Loop: Header=BB40_13 Depth=2
	s_andn2_b64 vcc, exec, s[34:35]
	s_cbranch_vccnz .LBB40_18
; %bb.17:                               ;   in Loop: Header=BB40_13 Depth=2
	s_add_i32 s33, s29, 1
	s_mov_b32 s23, s1
	s_mov_b32 s36, s30
.LBB40_18:                              ;   in Loop: Header=BB40_13 Depth=2
	s_mov_b64 s[34:35], 0
.LBB40_19:                              ;   in Loop: Header=BB40_13 Depth=2
	s_andn2_b64 vcc, exec, s[34:35]
	s_cbranch_vccnz .LBB40_21
; %bb.20:                               ;   in Loop: Header=BB40_13 Depth=2
	s_add_i32 s36, s30, 1
	s_mov_b32 s33, s29
	s_mov_b32 s23, s1
.LBB40_21:                              ;   in Loop: Header=BB40_13 Depth=2
	s_cmp_le_i32 s36, s0
	s_cselect_b64 s[34:35], -1, 0
	s_cmp_le_i32 s31, s28
	s_cselect_b64 s[30:31], -1, 0
	s_and_b64 s[30:31], s[34:35], s[30:31]
	s_and_b64 vcc, exec, s[30:31]
	s_cbranch_vccz .LBB40_23
; %bb.22:                               ;   in Loop: Header=BB40_13 Depth=2
	s_mov_b32 s1, s23
	s_mov_b32 s30, s36
	;; [unrolled: 1-line block ×3, first 2 shown]
	s_branch .LBB40_13
.LBB40_23:                              ;   in Loop: Header=BB40_10 Depth=1
	s_add_u32 s26, s10, s26
	s_addc_u32 s27, s11, s27
	s_waitcnt lgkmcnt(0)
.LBB40_24:                              ;   Parent Loop BB40_10 Depth=1
                                        ; =>  This Inner Loop Header: Depth=2
	global_load_dword v0, v4, s[26:27] glc
	s_waitcnt vmcnt(0)
	v_cmp_eq_u32_e32 vcc, 0, v0
	s_cbranch_vccnz .LBB40_24
; %bb.25:                               ;   in Loop: Header=BB40_10 Depth=1
	s_ashr_i32 s1, s0, 31
	s_lshl_b64 s[0:1], s[0:1], 3
	s_add_u32 s0, s4, s0
	s_addc_u32 s1, s5, s1
	buffer_wbinvl1_vol
	global_load_dwordx2 v[0:1], v4, s[0:1]
	s_cmp_lt_i32 s23, 2
	s_waitcnt vmcnt(0)
	ds_write_b64 v8, v[0:1]
	s_waitcnt lgkmcnt(0)
	s_cbranch_scc1 .LBB40_30
; %bb.26:                               ;   in Loop: Header=BB40_10 Depth=1
	s_add_i32 s0, s23, -2
	s_add_i32 s1, s23, -1
	s_cmp_lt_u32 s0, 3
	s_cbranch_scc1 .LBB40_31
; %bb.27:                               ;   in Loop: Header=BB40_10 Depth=1
	s_and_b32 s0, s1, -4
	s_mov_b32 s23, 0
	v_mov_b32_e32 v1, 0
	v_mov_b32_e32 v0, 0
	s_mov_b32 s26, 0
.LBB40_28:                              ;   Parent Loop BB40_10 Depth=1
                                        ; =>  This Inner Loop Header: Depth=2
	v_mov_b32_e32 v2, s23
	ds_read_b128 v[10:13], v2
	ds_read_b128 v[14:17], v2 offset:128
	s_add_i32 s26, s26, 4
	s_add_i32 s23, s23, 16
	s_cmp_eq_u32 s0, s26
	s_waitcnt lgkmcnt(1)
	v_ashrrev_i32_e32 v3, 31, v10
	v_mov_b32_e32 v2, v10
	v_lshlrev_b64 v[2:3], 3, v[2:3]
	v_ashrrev_i32_e32 v19, 31, v11
	v_mov_b32_e32 v18, v11
	v_ashrrev_i32_e32 v11, 31, v12
	v_mov_b32_e32 v10, v12
	;; [unrolled: 2-line block ×3, first 2 shown]
	s_waitcnt lgkmcnt(0)
	v_ashrrev_i32_e32 v13, 31, v14
	v_mov_b32_e32 v12, v14
	v_lshlrev_b64 v[12:13], 3, v[12:13]
	v_add_co_u32_e32 v2, vcc, s4, v2
	v_addc_co_u32_e32 v3, vcc, v5, v3, vcc
	v_ashrrev_i32_e32 v23, 31, v15
	v_mov_b32_e32 v22, v15
	v_ashrrev_i32_e32 v15, 31, v16
	v_mov_b32_e32 v14, v16
	;; [unrolled: 2-line block ×3, first 2 shown]
	v_lshlrev_b64 v[16:17], 3, v[18:19]
	v_add_co_u32_e32 v12, vcc, s4, v12
	v_addc_co_u32_e32 v13, vcc, v5, v13, vcc
	v_lshlrev_b64 v[18:19], 3, v[22:23]
	v_add_co_u32_e32 v16, vcc, s4, v16
	v_addc_co_u32_e32 v17, vcc, v5, v17, vcc
	;; [unrolled: 3-line block ×6, first 2 shown]
	v_add_co_u32_e32 v22, vcc, s4, v22
	v_addc_co_u32_e32 v23, vcc, v5, v23, vcc
	global_load_dwordx2 v[24:25], v[12:13], off
	global_load_dwordx2 v[26:27], v[2:3], off
	;; [unrolled: 1-line block ×8, first 2 shown]
	s_waitcnt vmcnt(6)
	v_fmac_f32_e32 v0, v26, v24
	v_fmac_f32_e32 v1, v27, v24
	v_fmac_f32_e32 v0, v27, v25
	v_fma_f32 v1, v26, -v25, v1
	s_waitcnt vmcnt(4)
	v_fmac_f32_e32 v0, v28, v30
	v_fmac_f32_e32 v1, v29, v30
	v_fmac_f32_e32 v0, v29, v31
	v_fma_f32 v1, v28, -v31, v1
	;; [unrolled: 5-line block ×4, first 2 shown]
	s_cbranch_scc0 .LBB40_28
; %bb.29:                               ;   in Loop: Header=BB40_10 Depth=1
	s_and_b32 s1, s1, 3
	s_cmp_eq_u32 s1, 0
	s_cbranch_scc0 .LBB40_32
	s_branch .LBB40_34
.LBB40_30:                              ;   in Loop: Header=BB40_10 Depth=1
	v_mov_b32_e32 v1, 0
	v_mov_b32_e32 v0, 0
	s_branch .LBB40_34
.LBB40_31:                              ;   in Loop: Header=BB40_10 Depth=1
	s_mov_b32 s0, 0
	v_mov_b32_e32 v1, 0
	v_mov_b32_e32 v0, 0
	s_and_b32 s1, s1, 3
	s_cmp_eq_u32 s1, 0
	s_cbranch_scc1 .LBB40_34
.LBB40_32:                              ;   in Loop: Header=BB40_10 Depth=1
	s_lshl_b32 s0, s0, 2
.LBB40_33:                              ;   Parent Loop BB40_10 Depth=1
                                        ; =>  This Inner Loop Header: Depth=2
	v_mov_b32_e32 v2, s0
	ds_read2_b32 v[2:3], v2 offset1:32
	v_mov_b32_e32 v14, s5
	s_add_i32 s0, s0, 4
	s_add_i32 s1, s1, -1
	s_cmp_lg_u32 s1, 0
	s_waitcnt lgkmcnt(0)
	v_ashrrev_i32_e32 v11, 31, v2
	v_mov_b32_e32 v10, v2
	v_ashrrev_i32_e32 v13, 31, v3
	v_mov_b32_e32 v12, v3
	v_lshlrev_b64 v[2:3], 3, v[10:11]
	v_lshlrev_b64 v[10:11], 3, v[12:13]
	v_add_co_u32_e32 v2, vcc, s4, v2
	v_addc_co_u32_e32 v3, vcc, v14, v3, vcc
	v_add_co_u32_e32 v10, vcc, s4, v10
	v_addc_co_u32_e32 v11, vcc, v14, v11, vcc
	global_load_dwordx2 v[12:13], v[2:3], off
	global_load_dwordx2 v[14:15], v[10:11], off
	s_waitcnt vmcnt(0)
	v_fmac_f32_e32 v0, v12, v14
	v_fmac_f32_e32 v1, v13, v14
	;; [unrolled: 1-line block ×3, first 2 shown]
	v_fma_f32 v1, v12, -v15, v1
	s_cbranch_scc1 .LBB40_33
.LBB40_34:                              ;   in Loop: Header=BB40_10 Depth=1
	ds_write_b64 v7, v[0:1]
	s_waitcnt lgkmcnt(0)
	ds_read_b64 v[2:3], v4 offset:384
	ds_read_b64 v[0:1], v6
	s_waitcnt lgkmcnt(1)
	v_cmp_neq_f32_e32 vcc, 0, v2
	v_cmp_neq_f32_e64 s[0:1], 0, v3
	s_or_b64 s[0:1], vcc, s[0:1]
	s_andn2_b64 vcc, exec, s[0:1]
	s_cbranch_vccz .LBB40_38
; %bb.35:                               ;   in Loop: Header=BB40_10 Depth=1
	v_mbcnt_lo_u32_b32 v2, exec_lo, 0
	v_mbcnt_hi_u32_b32 v2, exec_hi, v2
	v_cmp_ne_u32_e32 vcc, 0, v2
	s_and_b64 s[0:1], vcc, exec
	s_cbranch_scc1 .LBB40_37
; %bb.36:                               ;   in Loop: Header=BB40_10 Depth=1
	v_mov_b32_e32 v2, s13
	global_atomic_smin v4, v2, s[14:15]
.LBB40_37:                              ;   in Loop: Header=BB40_10 Depth=1
	v_mov_b32_e32 v3, 0
	v_mov_b32_e32 v2, 1.0
	s_branch .LBB40_39
.LBB40_38:                              ;   in Loop: Header=BB40_10 Depth=1
	v_cndmask_b32_e64 v2, 1.0, v2, s[0:1]
	v_cndmask_b32_e64 v3, 0, v3, s[0:1]
.LBB40_39:                              ;   in Loop: Header=BB40_10 Depth=1
	v_mul_f32_e32 v12, v3, v3
	v_fmac_f32_e32 v12, v2, v2
	v_div_scale_f32 v10, s[0:1], v12, v12, 1.0
	v_div_scale_f32 v11, vcc, 1.0, v12, 1.0
	s_add_i32 s22, s22, 1
	s_cmp_ge_i32 s22, s12
	s_cselect_b64 s[0:1], -1, 0
	v_rcp_f32_e32 v13, v10
	v_fma_f32 v14, -v10, v13, 1.0
	v_fmac_f32_e32 v13, v14, v13
	v_mul_f32_e32 v14, v11, v13
	v_fma_f32 v15, -v10, v14, v11
	v_fmac_f32_e32 v14, v15, v13
	v_fma_f32 v10, -v10, v14, v11
	v_div_fmas_f32 v13, v10, v13, v14
	ds_read_b64 v[10:11], v7
	s_waitcnt lgkmcnt(0)
	v_sub_f32_e32 v0, v0, v10
	v_sub_f32_e32 v1, v1, v11
	v_mul_f32_e32 v10, v3, v1
	v_mul_f32_e64 v3, v3, -v0
	v_fmac_f32_e32 v10, v0, v2
	v_fmac_f32_e32 v3, v1, v2
	v_div_fixup_f32 v1, v13, v12, 1.0
	v_mul_f32_e32 v0, v1, v10
	v_mul_f32_e32 v1, v1, v3
	ds_write_b64 v6, v[0:1]
	s_waitcnt lgkmcnt(0)
	ds_read_b64 v[2:3], v6
	ds_read_b64 v[10:11], v9
	s_waitcnt lgkmcnt(0)
	v_fma_f32 v10, v0, v2, v10
	v_fmac_f32_e32 v11, v1, v2
	v_fmac_f32_e32 v10, v1, v3
	v_fma_f32 v11, v0, -v3, v11
	ds_write_b64 v9, v[10:11]
	s_waitcnt lgkmcnt(0)
	ds_read_b64 v[0:1], v6
	s_waitcnt lgkmcnt(0)
	global_store_dwordx2 v4, v[0:1], s[24:25]
	s_waitcnt vmcnt(0)
	buffer_wbinvl1_vol
	s_and_b64 vcc, exec, s[0:1]
	s_cbranch_vccz .LBB40_10
.LBB40_40:
	s_ashr_i32 s13, s12, 31
	s_lshl_b64 s[0:1], s[12:13], 3
	s_add_u32 s4, s4, s0
	s_addc_u32 s5, s5, s1
	v_mov_b32_e32 v0, 0
	global_load_dwordx2 v[1:2], v0, s[4:5]
	s_waitcnt vmcnt(0)
	ds_write_b64 v0, v[1:2] offset:416
	s_waitcnt lgkmcnt(0)
; %bb.41:
	ds_read2_b64 v[1:4], v0 offset0:52 offset1:54
	s_waitcnt lgkmcnt(0)
	v_sub_f32_e32 v1, v1, v3
	v_sub_f32_e32 v3, v2, v4
	v_cmp_gt_f32_e32 vcc, 0, v1
	v_cndmask_b32_e64 v1, v1, -v1, vcc
	v_cmp_gt_f32_e32 vcc, 0, v3
	v_cndmask_b32_e64 v2, v3, -v3, vcc
	v_cmp_ngt_f32_e32 vcc, v1, v2
	s_cbranch_vccz .LBB40_44
; %bb.42:
	v_cmp_eq_f32_e32 vcc, 0, v3
	s_cbranch_vccnz .LBB40_61
; %bb.43:
	v_div_scale_f32 v3, s[0:1], v2, v2, v1
	v_div_scale_f32 v4, vcc, v1, v2, v1
	s_mov_b32 s0, 0xf800000
	v_rcp_f32_e32 v5, v3
	v_fma_f32 v6, -v3, v5, 1.0
	v_fmac_f32_e32 v5, v6, v5
	v_mul_f32_e32 v6, v4, v5
	v_fma_f32 v7, -v3, v6, v4
	v_fmac_f32_e32 v6, v7, v5
	v_fma_f32 v3, -v3, v6, v4
	v_div_fmas_f32 v3, v3, v5, v6
	v_mov_b32_e32 v5, 0x260
	v_div_fixup_f32 v3, v3, v2, v1
	v_fma_f32 v3, v3, v3, 1.0
	v_mul_f32_e32 v4, 0x4f800000, v3
	v_cmp_gt_f32_e32 vcc, s0, v3
	v_cndmask_b32_e32 v3, v3, v4, vcc
	v_sqrt_f32_e32 v4, v3
	v_add_u32_e32 v6, -1, v4
	v_add_u32_e32 v7, 1, v4
	v_fma_f32 v8, -v6, v4, v3
	v_fma_f32 v9, -v7, v4, v3
	v_cmp_ge_f32_e64 s[0:1], 0, v8
	v_cndmask_b32_e64 v4, v4, v6, s[0:1]
	v_cmp_lt_f32_e64 s[0:1], 0, v9
	v_cndmask_b32_e64 v4, v4, v7, s[0:1]
	v_mul_f32_e32 v6, 0x37800000, v4
	v_cndmask_b32_e32 v4, v4, v6, vcc
	v_cmp_class_f32_e32 vcc, v3, v5
	v_cndmask_b32_e32 v3, v4, v3, vcc
	v_mul_f32_e32 v3, v2, v3
	s_cbranch_execz .LBB40_45
	s_branch .LBB40_46
.LBB40_44:
                                        ; implicit-def: $vgpr3
.LBB40_45:
	v_div_scale_f32 v3, s[0:1], v1, v1, v2
	v_div_scale_f32 v4, vcc, v2, v1, v2
	s_mov_b32 s0, 0xf800000
	v_rcp_f32_e32 v5, v3
	v_fma_f32 v6, -v3, v5, 1.0
	v_fmac_f32_e32 v5, v6, v5
	v_mul_f32_e32 v6, v4, v5
	v_fma_f32 v7, -v3, v6, v4
	v_fmac_f32_e32 v6, v7, v5
	v_fma_f32 v3, -v3, v6, v4
	v_div_fmas_f32 v3, v3, v5, v6
	v_mov_b32_e32 v4, 0x260
	v_div_fixup_f32 v2, v3, v1, v2
	v_fma_f32 v2, v2, v2, 1.0
	v_mul_f32_e32 v3, 0x4f800000, v2
	v_cmp_gt_f32_e32 vcc, s0, v2
	v_cndmask_b32_e32 v2, v2, v3, vcc
	v_sqrt_f32_e32 v3, v2
	v_add_u32_e32 v5, -1, v3
	v_add_u32_e32 v6, 1, v3
	v_fma_f32 v7, -v5, v3, v2
	v_fma_f32 v8, -v6, v3, v2
	v_cmp_ge_f32_e64 s[0:1], 0, v7
	v_cndmask_b32_e64 v3, v3, v5, s[0:1]
	v_cmp_lt_f32_e64 s[0:1], 0, v8
	v_cndmask_b32_e64 v3, v3, v6, s[0:1]
	v_mul_f32_e32 v5, 0x37800000, v3
	v_cndmask_b32_e32 v3, v3, v5, vcc
	v_cmp_class_f32_e32 vcc, v2, v4
	v_cndmask_b32_e32 v2, v3, v2, vcc
	v_mul_f32_e32 v3, v1, v2
.LBB40_46:
	s_mov_b32 s0, 0xf800000
	v_mul_f32_e32 v1, 0x4f800000, v3
	v_cmp_gt_f32_e32 vcc, s0, v3
	v_cndmask_b32_e32 v1, v3, v1, vcc
	v_sqrt_f32_e32 v2, v1
	v_add_u32_e32 v3, -1, v2
	v_fma_f32 v4, -v3, v2, v1
	v_cmp_ge_f32_e64 s[0:1], 0, v4
	v_add_u32_e32 v4, 1, v2
	v_cndmask_b32_e64 v3, v2, v3, s[0:1]
	v_fma_f32 v2, -v4, v2, v1
	v_cmp_lt_f32_e64 s[0:1], 0, v2
	v_cndmask_b32_e64 v2, v3, v4, s[0:1]
	v_mul_f32_e32 v3, 0x37800000, v2
	v_cndmask_b32_e32 v2, v2, v3, vcc
	v_mov_b32_e32 v3, 0x260
	v_cmp_class_f32_e32 vcc, v1, v3
	v_cndmask_b32_e32 v1, v2, v1, vcc
	v_mov_b32_e32 v2, 0
	ds_write_b64 v2, v[1:2] offset:416
; %bb.47:
	s_waitcnt lgkmcnt(0)
	ds_read_b64 v[0:1], v0 offset:416
	s_cmp_lg_u32 s21, 0
	s_cselect_b64 s[8:9], -1, 0
	s_waitcnt lgkmcnt(0)
	v_cmp_neq_f32_e32 vcc, 0, v0
	v_cmp_neq_f32_e64 s[0:1], 0, v1
	s_or_b64 s[0:1], vcc, s[0:1]
	s_or_b64 s[8:9], s[0:1], s[8:9]
	s_and_b64 vcc, exec, s[8:9]
	s_cbranch_vccnz .LBB40_51
; %bb.48:
	v_mbcnt_lo_u32_b32 v0, exec_lo, 0
	v_mbcnt_hi_u32_b32 v0, exec_hi, v0
	v_cmp_ne_u32_e32 vcc, 0, v0
	s_and_b64 s[0:1], vcc, exec
	s_cbranch_scc1 .LBB40_50
; %bb.49:
	s_add_i32 s0, s6, s7
	v_mov_b32_e32 v0, 0
	v_mov_b32_e32 v1, s0
	global_atomic_smin v0, v1, s[14:15]
.LBB40_50:
	v_mov_b32_e32 v1, 0
	v_mov_b32_e32 v0, 1.0
	s_cbranch_execz .LBB40_52
	s_branch .LBB40_53
.LBB40_51:
	v_cndmask_b32_e64 v0, 1.0, v0, s[0:1]
	v_cndmask_b32_e64 v1, 0, v1, s[0:1]
	s_cbranch_execnz .LBB40_53
.LBB40_52:
	v_mul_f32_e32 v6, v1, v1
	v_fmac_f32_e32 v6, v0, v0
	v_div_scale_f32 v2, s[0:1], v6, v6, 1.0
	v_div_scale_f32 v3, vcc, 1.0, v6, 1.0
	v_mov_b32_e32 v8, 0x1a0
	v_mov_b32_e32 v9, 0x1b0
	;; [unrolled: 1-line block ×3, first 2 shown]
	v_rcp_f32_e32 v4, v2
	v_fma_f32 v5, -v2, v4, 1.0
	v_fmac_f32_e32 v4, v5, v4
	v_mul_f32_e32 v5, v3, v4
	v_fma_f32 v7, -v2, v5, v3
	v_fmac_f32_e32 v5, v7, v4
	v_fma_f32 v2, -v2, v5, v3
	v_div_fmas_f32 v7, v2, v4, v5
	ds_read_b64 v[2:3], v8
	ds_read_b64 v[4:5], v9
	s_waitcnt lgkmcnt(0)
	v_sub_f32_e32 v2, v2, v4
	v_sub_f32_e32 v3, v3, v5
	v_mul_f32_e32 v4, v1, v3
	v_mul_f32_e64 v1, v1, -v2
	v_fmac_f32_e32 v4, v2, v0
	v_fmac_f32_e32 v1, v3, v0
	v_div_fixup_f32 v2, v7, v6, 1.0
	v_mul_f32_e32 v0, v2, v4
	v_mul_f32_e32 v1, v2, v1
	ds_write_b64 v8, v[0:1]
	s_waitcnt lgkmcnt(0)
	ds_read_b64 v[2:3], v10 offset:416
	ds_read_b64 v[4:5], v9
	s_waitcnt lgkmcnt(0)
	v_fma_f32 v4, v0, v2, v4
	v_fmac_f32_e32 v5, v1, v2
	v_fmac_f32_e32 v4, v1, v3
	v_fma_f32 v5, v0, -v3, v5
	ds_write_b64 v9, v[4:5]
.LBB40_53:
	v_mov_b32_e32 v0, 0x1a0
	s_waitcnt lgkmcnt(0)
	ds_read_b64 v[0:1], v0
	v_mov_b32_e32 v2, 0
	s_cmp_eq_u32 s21, 0
	s_cselect_b64 s[0:1], -1, 0
	s_waitcnt lgkmcnt(0)
	global_store_dwordx2 v2, v[0:1], s[4:5]
	s_branch .LBB40_55
.LBB40_54:
	s_cbranch_execnz .LBB40_58
.LBB40_55:
	s_and_b64 vcc, exec, s[0:1]
	s_cbranch_vccz .LBB40_57
.LBB40_56:
	s_add_u32 s0, s10, s2
	s_addc_u32 s1, s11, s3
	v_mov_b32_e32 v0, 0
	v_mov_b32_e32 v1, 1
	s_waitcnt vmcnt(0)
	global_store_dword v0, v1, s[0:1]
.LBB40_57:
	s_endpgm
.LBB40_58:
	v_mbcnt_lo_u32_b32 v0, exec_lo, 0
	v_mbcnt_hi_u32_b32 v0, exec_hi, v0
	v_cmp_ne_u32_e32 vcc, 0, v0
	s_and_b64 s[0:1], vcc, exec
	s_cbranch_scc0 .LBB40_60
; %bb.59:
	s_cbranch_execnz .LBB40_56
	s_branch .LBB40_57
.LBB40_60:
	s_add_i32 s0, s6, s7
	v_mov_b32_e32 v0, 0
	v_mov_b32_e32 v1, s0
	global_atomic_smin v0, v1, s[14:15]
	s_cbranch_execnz .LBB40_56
	s_branch .LBB40_57
.LBB40_61:
	v_mov_b32_e32 v3, 0
	s_cbranch_execz .LBB40_45
	s_branch .LBB40_46
	.section	.rodata,"a",@progbits
	.p2align	6, 0x0
	.amdhsa_kernel _ZN9rocsparseL26bsric0_2_8_unrolled_kernelILi1ELi32ELi1E21rocsparse_complex_numIfEEEv20rocsparse_direction_iiPKiS5_PT2_S5_PiS5_S8_21rocsparse_index_base_
		.amdhsa_group_segment_fixed_size 448
		.amdhsa_private_segment_fixed_size 0
		.amdhsa_kernarg_size 76
		.amdhsa_user_sgpr_count 6
		.amdhsa_user_sgpr_private_segment_buffer 1
		.amdhsa_user_sgpr_dispatch_ptr 0
		.amdhsa_user_sgpr_queue_ptr 0
		.amdhsa_user_sgpr_kernarg_segment_ptr 1
		.amdhsa_user_sgpr_dispatch_id 0
		.amdhsa_user_sgpr_flat_scratch_init 0
		.amdhsa_user_sgpr_private_segment_size 0
		.amdhsa_uses_dynamic_stack 0
		.amdhsa_system_sgpr_private_segment_wavefront_offset 0
		.amdhsa_system_sgpr_workgroup_id_x 1
		.amdhsa_system_sgpr_workgroup_id_y 0
		.amdhsa_system_sgpr_workgroup_id_z 0
		.amdhsa_system_sgpr_workgroup_info 0
		.amdhsa_system_vgpr_workitem_id 0
		.amdhsa_next_free_vgpr 40
		.amdhsa_next_free_sgpr 38
		.amdhsa_reserve_vcc 1
		.amdhsa_reserve_flat_scratch 0
		.amdhsa_float_round_mode_32 0
		.amdhsa_float_round_mode_16_64 0
		.amdhsa_float_denorm_mode_32 3
		.amdhsa_float_denorm_mode_16_64 3
		.amdhsa_dx10_clamp 1
		.amdhsa_ieee_mode 1
		.amdhsa_fp16_overflow 0
		.amdhsa_exception_fp_ieee_invalid_op 0
		.amdhsa_exception_fp_denorm_src 0
		.amdhsa_exception_fp_ieee_div_zero 0
		.amdhsa_exception_fp_ieee_overflow 0
		.amdhsa_exception_fp_ieee_underflow 0
		.amdhsa_exception_fp_ieee_inexact 0
		.amdhsa_exception_int_div_zero 0
	.end_amdhsa_kernel
	.section	.text._ZN9rocsparseL26bsric0_2_8_unrolled_kernelILi1ELi32ELi1E21rocsparse_complex_numIfEEEv20rocsparse_direction_iiPKiS5_PT2_S5_PiS5_S8_21rocsparse_index_base_,"axG",@progbits,_ZN9rocsparseL26bsric0_2_8_unrolled_kernelILi1ELi32ELi1E21rocsparse_complex_numIfEEEv20rocsparse_direction_iiPKiS5_PT2_S5_PiS5_S8_21rocsparse_index_base_,comdat
.Lfunc_end40:
	.size	_ZN9rocsparseL26bsric0_2_8_unrolled_kernelILi1ELi32ELi1E21rocsparse_complex_numIfEEEv20rocsparse_direction_iiPKiS5_PT2_S5_PiS5_S8_21rocsparse_index_base_, .Lfunc_end40-_ZN9rocsparseL26bsric0_2_8_unrolled_kernelILi1ELi32ELi1E21rocsparse_complex_numIfEEEv20rocsparse_direction_iiPKiS5_PT2_S5_PiS5_S8_21rocsparse_index_base_
                                        ; -- End function
	.set _ZN9rocsparseL26bsric0_2_8_unrolled_kernelILi1ELi32ELi1E21rocsparse_complex_numIfEEEv20rocsparse_direction_iiPKiS5_PT2_S5_PiS5_S8_21rocsparse_index_base_.num_vgpr, 40
	.set _ZN9rocsparseL26bsric0_2_8_unrolled_kernelILi1ELi32ELi1E21rocsparse_complex_numIfEEEv20rocsparse_direction_iiPKiS5_PT2_S5_PiS5_S8_21rocsparse_index_base_.num_agpr, 0
	.set _ZN9rocsparseL26bsric0_2_8_unrolled_kernelILi1ELi32ELi1E21rocsparse_complex_numIfEEEv20rocsparse_direction_iiPKiS5_PT2_S5_PiS5_S8_21rocsparse_index_base_.numbered_sgpr, 38
	.set _ZN9rocsparseL26bsric0_2_8_unrolled_kernelILi1ELi32ELi1E21rocsparse_complex_numIfEEEv20rocsparse_direction_iiPKiS5_PT2_S5_PiS5_S8_21rocsparse_index_base_.num_named_barrier, 0
	.set _ZN9rocsparseL26bsric0_2_8_unrolled_kernelILi1ELi32ELi1E21rocsparse_complex_numIfEEEv20rocsparse_direction_iiPKiS5_PT2_S5_PiS5_S8_21rocsparse_index_base_.private_seg_size, 0
	.set _ZN9rocsparseL26bsric0_2_8_unrolled_kernelILi1ELi32ELi1E21rocsparse_complex_numIfEEEv20rocsparse_direction_iiPKiS5_PT2_S5_PiS5_S8_21rocsparse_index_base_.uses_vcc, 1
	.set _ZN9rocsparseL26bsric0_2_8_unrolled_kernelILi1ELi32ELi1E21rocsparse_complex_numIfEEEv20rocsparse_direction_iiPKiS5_PT2_S5_PiS5_S8_21rocsparse_index_base_.uses_flat_scratch, 0
	.set _ZN9rocsparseL26bsric0_2_8_unrolled_kernelILi1ELi32ELi1E21rocsparse_complex_numIfEEEv20rocsparse_direction_iiPKiS5_PT2_S5_PiS5_S8_21rocsparse_index_base_.has_dyn_sized_stack, 0
	.set _ZN9rocsparseL26bsric0_2_8_unrolled_kernelILi1ELi32ELi1E21rocsparse_complex_numIfEEEv20rocsparse_direction_iiPKiS5_PT2_S5_PiS5_S8_21rocsparse_index_base_.has_recursion, 0
	.set _ZN9rocsparseL26bsric0_2_8_unrolled_kernelILi1ELi32ELi1E21rocsparse_complex_numIfEEEv20rocsparse_direction_iiPKiS5_PT2_S5_PiS5_S8_21rocsparse_index_base_.has_indirect_call, 0
	.section	.AMDGPU.csdata,"",@progbits
; Kernel info:
; codeLenInByte = 2924
; TotalNumSgprs: 42
; NumVgprs: 40
; ScratchSize: 0
; MemoryBound: 0
; FloatMode: 240
; IeeeMode: 1
; LDSByteSize: 448 bytes/workgroup (compile time only)
; SGPRBlocks: 5
; VGPRBlocks: 9
; NumSGPRsForWavesPerEU: 42
; NumVGPRsForWavesPerEU: 40
; Occupancy: 6
; WaveLimiterHint : 1
; COMPUTE_PGM_RSRC2:SCRATCH_EN: 0
; COMPUTE_PGM_RSRC2:USER_SGPR: 6
; COMPUTE_PGM_RSRC2:TRAP_HANDLER: 0
; COMPUTE_PGM_RSRC2:TGID_X_EN: 1
; COMPUTE_PGM_RSRC2:TGID_Y_EN: 0
; COMPUTE_PGM_RSRC2:TGID_Z_EN: 0
; COMPUTE_PGM_RSRC2:TIDIG_COMP_CNT: 0
	.section	.text._ZN9rocsparseL26bsric0_2_8_unrolled_kernelILi4ELi32ELi2E21rocsparse_complex_numIfEEEv20rocsparse_direction_iiPKiS5_PT2_S5_PiS5_S8_21rocsparse_index_base_,"axG",@progbits,_ZN9rocsparseL26bsric0_2_8_unrolled_kernelILi4ELi32ELi2E21rocsparse_complex_numIfEEEv20rocsparse_direction_iiPKiS5_PT2_S5_PiS5_S8_21rocsparse_index_base_,comdat
	.globl	_ZN9rocsparseL26bsric0_2_8_unrolled_kernelILi4ELi32ELi2E21rocsparse_complex_numIfEEEv20rocsparse_direction_iiPKiS5_PT2_S5_PiS5_S8_21rocsparse_index_base_ ; -- Begin function _ZN9rocsparseL26bsric0_2_8_unrolled_kernelILi4ELi32ELi2E21rocsparse_complex_numIfEEEv20rocsparse_direction_iiPKiS5_PT2_S5_PiS5_S8_21rocsparse_index_base_
	.p2align	8
	.type	_ZN9rocsparseL26bsric0_2_8_unrolled_kernelILi4ELi32ELi2E21rocsparse_complex_numIfEEEv20rocsparse_direction_iiPKiS5_PT2_S5_PiS5_S8_21rocsparse_index_base_,@function
_ZN9rocsparseL26bsric0_2_8_unrolled_kernelILi4ELi32ELi2E21rocsparse_complex_numIfEEEv20rocsparse_direction_iiPKiS5_PT2_S5_PiS5_S8_21rocsparse_index_base_: ; @_ZN9rocsparseL26bsric0_2_8_unrolled_kernelILi4ELi32ELi2E21rocsparse_complex_numIfEEEv20rocsparse_direction_iiPKiS5_PT2_S5_PiS5_S8_21rocsparse_index_base_
; %bb.0:
	s_load_dwordx8 s[8:15], s[4:5], 0x28
	s_mov_b32 s7, 0
	s_lshl_b64 s[0:1], s[6:7], 2
	s_waitcnt lgkmcnt(0)
	s_add_u32 s0, s12, s0
	s_addc_u32 s1, s13, s1
	s_load_dword s12, s[0:1], 0x0
	s_waitcnt lgkmcnt(0)
	s_ashr_i32 s13, s12, 31
	s_lshl_b64 s[6:7], s[12:13], 2
	s_add_u32 s0, s8, s6
	s_addc_u32 s1, s9, s7
	s_load_dword s30, s[0:1], 0x0
	s_load_dword s13, s[4:5], 0x48
	s_waitcnt lgkmcnt(0)
	s_cmp_lg_u32 s30, -1
	s_cbranch_scc0 .LBB41_6
; %bb.1:
	s_load_dwordx4 s[16:19], s[4:5], 0x10
	s_load_dwordx2 s[20:21], s[4:5], 0x20
	v_lshlrev_b32_e32 v12, 1, v1
	v_add_u32_e32 v11, v12, v0
	s_waitcnt lgkmcnt(0)
	s_add_u32 s0, s16, s6
	s_addc_u32 s1, s17, s7
	s_load_dword s0, s[0:1], 0x0
	s_waitcnt lgkmcnt(0)
	s_sub_i32 s31, s0, s13
	v_add_u32_e32 v2, s31, v11
	v_cmp_ge_i32_e32 vcc, s30, v2
	s_and_saveexec_b64 s[0:1], vcc
	s_cbranch_execz .LBB41_4
; %bb.2:
	v_lshlrev_b32_e32 v3, 2, v0
	v_lshl_add_u32 v3, v1, 3, v3
	v_or_b32_e32 v5, 0x100, v3
	v_ashrrev_i32_e32 v3, 31, v2
	v_lshlrev_b64 v[3:4], 2, v[2:3]
	v_mov_b32_e32 v6, s19
	v_add_co_u32_e32 v3, vcc, s18, v3
	v_addc_co_u32_e32 v4, vcc, v6, v4, vcc
	s_mov_b64 s[2:3], 0
.LBB41_3:                               ; =>This Inner Loop Header: Depth=1
	global_load_dword v6, v[3:4], off
	v_add_co_u32_e32 v3, vcc, 16, v3
	v_add_u32_e32 v2, 4, v2
	v_addc_co_u32_e32 v4, vcc, 0, v4, vcc
	v_cmp_lt_i32_e32 vcc, s30, v2
	s_or_b64 s[2:3], vcc, s[2:3]
	s_waitcnt vmcnt(0)
	v_subrev_u32_e32 v6, s13, v6
	ds_write_b32 v5, v6
	v_add_u32_e32 v5, 16, v5
	s_andn2_b64 exec, exec, s[2:3]
	s_cbranch_execnz .LBB41_3
.LBB41_4:
	s_or_b64 exec, exec, s[0:1]
	v_mov_b32_e32 v2, 0x210
	v_mad_u32_u24 v10, v1, 24, v2
	v_mov_b32_e32 v2, 0
	v_lshl_add_u32 v8, v0, 3, v10
	v_mov_b32_e32 v3, v2
	s_cmp_lt_i32 s31, s30
	ds_write_b64 v8, v[2:3]
	s_waitcnt lgkmcnt(0)
	s_cbranch_scc1 .LBB41_8
; %bb.5:
	v_lshl_add_u32 v13, v0, 1, v1
	v_or_b32_e32 v9, v0, v1
	s_load_dword s33, s[4:5], 0x0
	s_cbranch_execz .LBB41_9
	s_branch .LBB41_54
.LBB41_6:
	s_cbranch_execnz .LBB41_85
.LBB41_7:
	s_endpgm
.LBB41_8:
                                        ; implicit-def: $vgpr13
                                        ; implicit-def: $vgpr9
	s_load_dword s33, s[4:5], 0x0
.LBB41_9:
	s_waitcnt lgkmcnt(0)
	s_cmp_lg_u32 s33, 0
	v_mul_u32_u24_e32 v3, 24, v1
	v_lshlrev_b32_e32 v4, 3, v0
	s_movk_i32 s0, 0x180
	s_cselect_b64 s[4:5], -1, 0
	s_cmp_eq_u32 s33, 0
	v_lshlrev_b32_e32 v14, 1, v0
	v_mov_b32_e32 v2, 0x1e0
	v_add3_u32 v17, v4, v3, s0
	v_mov_b32_e32 v3, 0x1b0
	v_add_u32_e32 v13, v14, v1
	v_mad_u32_u24 v15, v1, 24, v2
	v_mad_u32_u24 v20, v1, 24, v3
	v_or_b32_e32 v9, v0, v1
	s_cselect_b64 vcc, -1, 0
	v_add_u32_e32 v16, v15, v4
	v_add_u32_e32 v18, 2, v0
	;; [unrolled: 1-line block ×4, first 2 shown]
	v_mad_u32_u24 v22, v0, 24, v2
	v_cmp_ne_u32_e64 s[0:1], 0, v9
	v_cndmask_b32_e32 v23, v13, v11, vcc
	v_mov_b32_e32 v24, 0
	s_mov_b32 s22, s31
	s_branch .LBB41_12
.LBB41_10:                              ;   in Loop: Header=BB41_12 Depth=1
	s_or_b64 exec, exec, s[24:25]
	v_mov_b32_e32 v7, 0
	v_mov_b32_e32 v6, 1.0
.LBB41_11:                              ;   in Loop: Header=BB41_12 Depth=1
	s_or_b64 exec, exec, s[2:3]
	v_mul_f32_e32 v31, v7, v7
	v_fmac_f32_e32 v31, v6, v6
	v_div_scale_f32 v25, s[2:3], v31, v31, 1.0
	v_div_scale_f32 v26, vcc, 1.0, v31, 1.0
	s_add_i32 s22, s22, 1
	s_cmp_ge_i32 s22, s30
	s_cselect_b64 s[2:3], -1, 0
	v_rcp_f32_e32 v27, v25
	v_fma_f32 v28, -v25, v27, 1.0
	v_fmac_f32_e32 v27, v28, v27
	v_mul_f32_e32 v28, v26, v27
	v_fma_f32 v29, -v25, v28, v26
	v_fmac_f32_e32 v28, v29, v27
	v_fma_f32 v25, -v25, v28, v26
	v_div_fmas_f32 v32, v25, v27, v28
	ds_read_b64 v[25:26], v24 offset:408
	ds_read_b64 v[27:28], v15
	ds_read_b64 v[29:30], v20 offset:8
	s_waitcnt lgkmcnt(0)
	v_fma_f32 v30, v26, v27, v30
	v_fmac_f32_e32 v29, v25, v27
	v_fma_f32 v25, v25, -v28, v30
	v_fmac_f32_e32 v29, v26, v28
	v_sub_f32_e32 v4, v4, v29
	v_sub_f32_e32 v5, v5, v25
	v_mul_f32_e32 v25, v7, v5
	v_mul_f32_e64 v7, v7, -v4
	v_fmac_f32_e32 v25, v4, v6
	v_fmac_f32_e32 v7, v5, v6
	v_div_fixup_f32 v5, v32, v31, 1.0
	v_mul_f32_e32 v4, v5, v25
	v_mul_f32_e32 v5, v5, v7
	ds_write_b64 v15, v[4:5] offset:8
	s_waitcnt lgkmcnt(0)
	ds_read_b64 v[6:7], v22 offset:8
	ds_read_b64 v[25:26], v8
	s_waitcnt lgkmcnt(0)
	v_fma_f32 v25, v4, v6, v25
	v_fmac_f32_e32 v26, v5, v6
	v_fmac_f32_e32 v25, v5, v7
	v_fma_f32 v26, v4, -v7, v26
	ds_write_b64 v8, v[25:26]
	s_waitcnt lgkmcnt(0)
	ds_read_b64 v[4:5], v16
	s_waitcnt lgkmcnt(0)
	global_store_dwordx2 v[2:3], v[4:5], off
	s_waitcnt vmcnt(0)
	buffer_wbinvl1_vol
	s_and_b64 vcc, exec, s[2:3]
	s_cbranch_vccnz .LBB41_54
.LBB41_12:                              ; =>This Loop Header: Depth=1
                                        ;     Child Loop BB41_15 Depth 2
                                        ;     Child Loop BB41_26 Depth 2
	;; [unrolled: 1-line block ×3, first 2 shown]
	s_ashr_i32 s23, s22, 31
	s_lshl_b64 s[2:3], s[22:23], 2
	s_add_u32 s2, s18, s2
	s_addc_u32 s3, s19, s3
	s_load_dword s23, s[2:3], 0x0
	s_waitcnt lgkmcnt(0)
	s_sub_i32 s24, s23, s13
	s_ashr_i32 s25, s24, 31
	s_lshl_b64 s[2:3], s[24:25], 2
	s_add_u32 s26, s8, s2
	s_addc_u32 s27, s9, s3
	s_load_dword s25, s[26:27], 0x0
	s_waitcnt lgkmcnt(0)
	s_cmp_eq_u32 s25, -1
	s_cbranch_scc1 .LBB41_39
; %bb.13:                               ;   in Loop: Header=BB41_12 Depth=1
	v_lshl_add_u32 v2, s22, 2, v23
	v_ashrrev_i32_e32 v3, 31, v2
	v_lshlrev_b64 v[2:3], 3, v[2:3]
	v_mov_b32_e32 v4, s21
	v_add_co_u32_e32 v2, vcc, s20, v2
	v_addc_co_u32_e32 v3, vcc, v4, v3, vcc
	global_load_dwordx2 v[4:5], v[2:3], off
	s_add_u32 s26, s16, s2
	s_addc_u32 s27, s17, s3
	s_load_dword s26, s[26:27], 0x0
	ds_read_b32 v6, v24 offset:256
	s_mov_b32 s27, 0
	s_waitcnt lgkmcnt(0)
	s_sub_i32 s26, s26, s13
	s_cmp_le_i32 s26, s25
	v_cmp_ge_i32_e32 vcc, s24, v6
	s_cselect_b64 s[28:29], -1, 0
	s_and_b64 s[28:29], s[28:29], vcc
	s_andn2_b64 vcc, exec, s[28:29]
	s_waitcnt vmcnt(0)
	ds_write_b64 v16, v[4:5]
	s_cbranch_vccnz .LBB41_25
; %bb.14:                               ;   in Loop: Header=BB41_12 Depth=1
	s_mov_b32 s34, 0
	s_mov_b32 s35, 0
.LBB41_15:                              ;   Parent Loop BB41_12 Depth=1
                                        ; =>  This Inner Loop Header: Depth=2
	s_ashr_i32 s27, s26, 31
	s_lshl_b64 s[28:29], s[26:27], 2
	s_add_u32 s28, s18, s28
	s_addc_u32 s29, s19, s29
	s_load_dword s27, s[28:29], 0x0
	s_lshl_b32 s28, s35, 2
	v_mov_b32_e32 v4, s28
	ds_read_b32 v4, v4 offset:256
	s_mov_b64 s[28:29], -1
	s_waitcnt lgkmcnt(0)
	s_sub_i32 s39, s27, s13
                                        ; implicit-def: $sgpr27
                                        ; implicit-def: $sgpr38
                                        ; implicit-def: $sgpr37
	v_cmp_ge_i32_e32 vcc, s39, v4
	v_readfirstlane_b32 s36, v4
	s_cbranch_vccz .LBB41_21
; %bb.16:                               ;   in Loop: Header=BB41_15 Depth=2
	s_cmp_le_i32 s39, s36
                                        ; implicit-def: $sgpr27
                                        ; implicit-def: $sgpr38
                                        ; implicit-def: $sgpr37
	s_cbranch_scc0 .LBB41_18
; %bb.17:                               ;   in Loop: Header=BB41_15 Depth=2
	s_add_i32 s27, s35, s31
	s_lshl_b32 s27, s27, 2
	s_lshl_b32 s28, s34, 2
	v_mov_b32_e32 v5, s27
	s_lshl_b32 s27, s26, 2
	v_mov_b32_e32 v4, s28
	v_mov_b32_e32 v6, s27
	ds_write2_b32 v4, v6, v5 offset1:32
	s_add_i32 s37, s35, 1
	s_add_i32 s38, s26, 1
	;; [unrolled: 1-line block ×3, first 2 shown]
	s_mov_b64 s[28:29], 0
.LBB41_18:                              ;   in Loop: Header=BB41_15 Depth=2
	s_andn2_b64 vcc, exec, s[28:29]
	s_cbranch_vccnz .LBB41_20
; %bb.19:                               ;   in Loop: Header=BB41_15 Depth=2
	s_add_i32 s37, s35, 1
	s_mov_b32 s27, s34
	s_mov_b32 s38, s26
.LBB41_20:                              ;   in Loop: Header=BB41_15 Depth=2
	s_mov_b64 s[28:29], 0
.LBB41_21:                              ;   in Loop: Header=BB41_15 Depth=2
	s_andn2_b64 vcc, exec, s[28:29]
	s_cbranch_vccnz .LBB41_23
; %bb.22:                               ;   in Loop: Header=BB41_15 Depth=2
	s_add_i32 s38, s26, 1
	s_mov_b32 s37, s35
	s_mov_b32 s27, s34
.LBB41_23:                              ;   in Loop: Header=BB41_15 Depth=2
	s_cmp_le_i32 s38, s25
	s_cselect_b64 s[28:29], -1, 0
	s_cmp_le_i32 s36, s24
	s_cselect_b64 s[34:35], -1, 0
	s_and_b64 s[28:29], s[28:29], s[34:35]
	s_and_b64 vcc, exec, s[28:29]
	s_cbranch_vccz .LBB41_25
; %bb.24:                               ;   in Loop: Header=BB41_15 Depth=2
	s_mov_b32 s34, s27
	s_mov_b32 s26, s38
	;; [unrolled: 1-line block ×3, first 2 shown]
	s_branch .LBB41_15
.LBB41_25:                              ;   in Loop: Header=BB41_12 Depth=1
	s_add_u32 s2, s10, s2
	s_addc_u32 s3, s11, s3
	s_waitcnt lgkmcnt(0)
.LBB41_26:                              ;   Parent Loop BB41_12 Depth=1
                                        ; =>  This Inner Loop Header: Depth=2
	global_load_dword v4, v24, s[2:3] glc
	s_waitcnt vmcnt(0)
	v_cmp_eq_u32_e32 vcc, 0, v4
	s_cbranch_vccnz .LBB41_26
; %bb.27:                               ;   in Loop: Header=BB41_12 Depth=1
	v_lshl_add_u32 v4, s25, 2, v23
	v_ashrrev_i32_e32 v5, 31, v4
	v_lshlrev_b64 v[4:5], 3, v[4:5]
	v_mov_b32_e32 v6, s21
	v_add_co_u32_e32 v4, vcc, s20, v4
	v_addc_co_u32_e32 v5, vcc, v6, v5, vcc
	buffer_wbinvl1_vol
	global_load_dwordx2 v[6:7], v[4:5], off
	v_mov_b32_e32 v5, 0
	s_cmp_lt_i32 s27, 2
	v_mov_b32_e32 v4, 0
	s_waitcnt vmcnt(0)
	ds_write_b64 v17, v[6:7]
	s_waitcnt lgkmcnt(0)
	s_cbranch_scc1 .LBB41_47
; %bb.28:                               ;   in Loop: Header=BB41_12 Depth=1
	s_add_i32 s25, s27, -1
	s_cmp_eq_u32 s27, 2
	s_cbranch_scc1 .LBB41_40
; %bb.29:                               ;   in Loop: Header=BB41_12 Depth=1
	v_mov_b32_e32 v5, 0
	s_and_b32 s24, s25, -2
	s_mov_b32 s26, 0
	s_mov_b32 s27, 0
	v_mov_b32_e32 v4, v5
	s_branch .LBB41_31
.LBB41_30:                              ;   in Loop: Header=BB41_31 Depth=2
	s_add_i32 s27, s27, 2
	s_add_i32 s26, s26, 8
	s_cmp_eq_u32 s24, s27
	s_cbranch_scc1 .LBB41_41
.LBB41_31:                              ;   Parent Loop BB41_12 Depth=1
                                        ; =>  This Inner Loop Header: Depth=2
	s_waitcnt lgkmcnt(0)
	v_mov_b32_e32 v6, s26
	ds_read2_b32 v[6:7], v6 offset1:32
	s_mov_b64 s[2:3], -1
	s_and_b64 vcc, exec, s[4:5]
                                        ; implicit-def: $vgpr26
                                        ; implicit-def: $vgpr25
	s_cbranch_vccz .LBB41_33
; %bb.32:                               ;   in Loop: Header=BB41_31 Depth=2
	s_waitcnt lgkmcnt(0)
	v_add_u32_e32 v25, v6, v0
	v_ashrrev_i32_e32 v26, 31, v25
	v_lshlrev_b64 v[25:26], 3, v[25:26]
	v_mov_b32_e32 v27, s21
	v_add_co_u32_e32 v25, vcc, s20, v25
	v_addc_co_u32_e32 v26, vcc, v27, v26, vcc
	v_add_u32_e32 v27, v7, v1
	v_ashrrev_i32_e32 v28, 31, v27
	v_lshlrev_b64 v[27:28], 3, v[27:28]
	v_mov_b32_e32 v29, s21
	v_add_co_u32_e32 v27, vcc, s20, v27
	v_addc_co_u32_e32 v28, vcc, v29, v28, vcc
	global_load_dwordx2 v[29:30], v[25:26], off
	global_load_dwordx2 v[31:32], v[27:28], off
	v_add_u32_e32 v25, v18, v6
	v_ashrrev_i32_e32 v26, 31, v25
	v_lshlrev_b64 v[25:26], 3, v[25:26]
	v_mov_b32_e32 v27, s21
	v_add_co_u32_e32 v25, vcc, s20, v25
	v_addc_co_u32_e32 v26, vcc, v27, v26, vcc
	v_add_u32_e32 v27, v19, v7
	v_ashrrev_i32_e32 v28, 31, v27
	v_lshlrev_b64 v[27:28], 3, v[27:28]
	v_mov_b32_e32 v33, s21
	v_add_co_u32_e32 v27, vcc, s20, v27
	v_addc_co_u32_e32 v28, vcc, v33, v28, vcc
	global_load_dwordx2 v[33:34], v[25:26], off
	global_load_dwordx2 v[35:36], v[27:28], off
	s_mov_b64 s[2:3], 0
	s_waitcnt vmcnt(2)
	v_fma_f32 v25, v29, v31, v4
	v_fma_f32 v26, v30, v31, v5
	v_fmac_f32_e32 v25, v30, v32
	v_fma_f32 v26, v29, -v32, v26
	s_waitcnt vmcnt(0)
	v_fmac_f32_e32 v25, v33, v35
	v_fmac_f32_e32 v26, v34, v35
	;; [unrolled: 1-line block ×3, first 2 shown]
	v_fma_f32 v26, v33, -v36, v26
.LBB41_33:                              ;   in Loop: Header=BB41_31 Depth=2
	s_andn2_b64 vcc, exec, s[2:3]
	s_cbranch_vccnz .LBB41_35
; %bb.34:                               ;   in Loop: Header=BB41_31 Depth=2
	s_waitcnt lgkmcnt(0)
	v_add_u32_e32 v25, v6, v14
	v_ashrrev_i32_e32 v26, 31, v25
	v_lshlrev_b64 v[25:26], 3, v[25:26]
	v_mov_b32_e32 v6, s21
	v_add_co_u32_e32 v33, vcc, s20, v25
	v_addc_co_u32_e32 v34, vcc, v6, v26, vcc
	v_add_u32_e32 v6, v7, v12
	v_ashrrev_i32_e32 v7, 31, v6
	v_lshlrev_b64 v[6:7], 3, v[6:7]
	v_mov_b32_e32 v25, s21
	v_add_co_u32_e32 v6, vcc, s20, v6
	v_addc_co_u32_e32 v7, vcc, v25, v7, vcc
	global_load_dwordx4 v[25:28], v[33:34], off
	global_load_dwordx4 v[29:32], v[6:7], off
	s_waitcnt vmcnt(0)
	v_fmac_f32_e32 v4, v25, v29
	v_fmac_f32_e32 v5, v26, v29
	;; [unrolled: 1-line block ×3, first 2 shown]
	v_fma_f32 v5, v25, -v30, v5
	v_fmac_f32_e32 v4, v27, v31
	v_fmac_f32_e32 v5, v28, v31
	;; [unrolled: 1-line block ×3, first 2 shown]
	v_fma_f32 v26, v27, -v32, v5
	v_mov_b32_e32 v25, v4
.LBB41_35:                              ;   in Loop: Header=BB41_31 Depth=2
	v_mov_b32_e32 v4, s26
	s_waitcnt lgkmcnt(0)
	ds_read2_b32 v[6:7], v4 offset0:1 offset1:33
	s_andn2_b64 vcc, exec, s[4:5]
	s_mov_b64 s[2:3], -1
                                        ; implicit-def: $vgpr5
	s_cbranch_vccnz .LBB41_37
; %bb.36:                               ;   in Loop: Header=BB41_31 Depth=2
	s_waitcnt lgkmcnt(0)
	v_add_u32_e32 v4, v6, v0
	v_ashrrev_i32_e32 v5, 31, v4
	v_lshlrev_b64 v[4:5], 3, v[4:5]
	v_mov_b32_e32 v27, s21
	v_add_co_u32_e32 v4, vcc, s20, v4
	v_addc_co_u32_e32 v5, vcc, v27, v5, vcc
	v_add_u32_e32 v27, v7, v1
	v_ashrrev_i32_e32 v28, 31, v27
	v_lshlrev_b64 v[27:28], 3, v[27:28]
	v_mov_b32_e32 v29, s21
	v_add_co_u32_e32 v27, vcc, s20, v27
	v_addc_co_u32_e32 v28, vcc, v29, v28, vcc
	global_load_dwordx2 v[29:30], v[4:5], off
	global_load_dwordx2 v[31:32], v[27:28], off
	v_add_u32_e32 v4, v18, v6
	v_ashrrev_i32_e32 v5, 31, v4
	v_lshlrev_b64 v[4:5], 3, v[4:5]
	v_mov_b32_e32 v27, s21
	v_add_co_u32_e32 v4, vcc, s20, v4
	v_addc_co_u32_e32 v5, vcc, v27, v5, vcc
	v_add_u32_e32 v27, v19, v7
	v_ashrrev_i32_e32 v28, 31, v27
	v_lshlrev_b64 v[27:28], 3, v[27:28]
	v_mov_b32_e32 v33, s21
	v_add_co_u32_e32 v27, vcc, s20, v27
	v_addc_co_u32_e32 v28, vcc, v33, v28, vcc
	global_load_dwordx2 v[33:34], v[4:5], off
	global_load_dwordx2 v[35:36], v[27:28], off
	s_mov_b64 s[2:3], 0
	s_waitcnt vmcnt(2)
	v_fma_f32 v4, v29, v31, v25
	v_fma_f32 v5, v30, v31, v26
	v_fmac_f32_e32 v4, v30, v32
	v_fma_f32 v5, v29, -v32, v5
	s_waitcnt vmcnt(0)
	v_fmac_f32_e32 v4, v33, v35
	v_fmac_f32_e32 v5, v34, v35
	;; [unrolled: 1-line block ×3, first 2 shown]
	v_fma_f32 v5, v33, -v36, v5
.LBB41_37:                              ;   in Loop: Header=BB41_31 Depth=2
	s_andn2_b64 vcc, exec, s[2:3]
	s_cbranch_vccnz .LBB41_30
; %bb.38:                               ;   in Loop: Header=BB41_31 Depth=2
	s_waitcnt lgkmcnt(0)
	v_add_u32_e32 v4, v6, v14
	v_ashrrev_i32_e32 v5, 31, v4
	v_lshlrev_b64 v[4:5], 3, v[4:5]
	v_mov_b32_e32 v6, s21
	v_add_co_u32_e32 v31, vcc, s20, v4
	v_add_u32_e32 v4, v7, v12
	v_addc_co_u32_e32 v32, vcc, v6, v5, vcc
	v_ashrrev_i32_e32 v5, 31, v4
	v_lshlrev_b64 v[4:5], 3, v[4:5]
	v_add_co_u32_e32 v33, vcc, s20, v4
	v_addc_co_u32_e32 v34, vcc, v6, v5, vcc
	global_load_dwordx4 v[4:7], v[31:32], off
	global_load_dwordx4 v[27:30], v[33:34], off
	s_waitcnt vmcnt(0)
	v_fmac_f32_e32 v25, v4, v27
	v_fmac_f32_e32 v26, v5, v27
	;; [unrolled: 1-line block ×3, first 2 shown]
	v_fma_f32 v4, v4, -v28, v26
	v_fmac_f32_e32 v25, v6, v29
	v_fmac_f32_e32 v4, v7, v29
	;; [unrolled: 1-line block ×3, first 2 shown]
	v_fma_f32 v5, v6, -v30, v4
	v_mov_b32_e32 v4, v25
	s_branch .LBB41_30
.LBB41_39:                              ;   in Loop: Header=BB41_12 Depth=1
                                        ; implicit-def: $sgpr22
	s_cbranch_execz .LBB41_12
	s_branch .LBB41_54
.LBB41_40:                              ;   in Loop: Header=BB41_12 Depth=1
	v_mov_b32_e32 v4, 0
	s_mov_b32 s24, 0
	v_mov_b32_e32 v5, v4
.LBB41_41:                              ;   in Loop: Header=BB41_12 Depth=1
	s_bitcmp0_b32 s25, 0
	s_cbranch_scc1 .LBB41_47
; %bb.42:                               ;   in Loop: Header=BB41_12 Depth=1
	s_lshl_b32 s2, s24, 2
	s_waitcnt lgkmcnt(0)
	v_mov_b32_e32 v6, s2
	ds_read2_b32 v[6:7], v6 offset1:32
	s_andn2_b64 vcc, exec, s[4:5]
	s_mov_b64 s[2:3], -1
                                        ; implicit-def: $vgpr26
                                        ; implicit-def: $vgpr25
	s_cbranch_vccnz .LBB41_44
; %bb.43:                               ;   in Loop: Header=BB41_12 Depth=1
	s_waitcnt lgkmcnt(0)
	v_add_u32_e32 v25, v6, v0
	v_ashrrev_i32_e32 v26, 31, v25
	v_lshlrev_b64 v[25:26], 3, v[25:26]
	v_mov_b32_e32 v27, s21
	v_add_co_u32_e32 v25, vcc, s20, v25
	v_addc_co_u32_e32 v26, vcc, v27, v26, vcc
	v_add_u32_e32 v27, v7, v1
	v_ashrrev_i32_e32 v28, 31, v27
	v_lshlrev_b64 v[27:28], 3, v[27:28]
	v_mov_b32_e32 v29, s21
	v_add_co_u32_e32 v27, vcc, s20, v27
	v_addc_co_u32_e32 v28, vcc, v29, v28, vcc
	global_load_dwordx2 v[29:30], v[25:26], off
	global_load_dwordx2 v[31:32], v[27:28], off
	v_add_u32_e32 v25, v18, v6
	v_ashrrev_i32_e32 v26, 31, v25
	v_lshlrev_b64 v[25:26], 3, v[25:26]
	v_mov_b32_e32 v27, s21
	v_add_co_u32_e32 v25, vcc, s20, v25
	v_addc_co_u32_e32 v26, vcc, v27, v26, vcc
	v_add_u32_e32 v27, v19, v7
	v_ashrrev_i32_e32 v28, 31, v27
	v_lshlrev_b64 v[27:28], 3, v[27:28]
	v_mov_b32_e32 v33, s21
	v_add_co_u32_e32 v27, vcc, s20, v27
	v_addc_co_u32_e32 v28, vcc, v33, v28, vcc
	global_load_dwordx2 v[33:34], v[25:26], off
	global_load_dwordx2 v[35:36], v[27:28], off
	s_mov_b64 s[2:3], 0
	s_waitcnt vmcnt(2)
	v_fma_f32 v25, v29, v31, v4
	v_fma_f32 v26, v30, v31, v5
	v_fmac_f32_e32 v25, v30, v32
	v_fma_f32 v26, v29, -v32, v26
	s_waitcnt vmcnt(0)
	v_fmac_f32_e32 v25, v33, v35
	v_fmac_f32_e32 v26, v34, v35
	;; [unrolled: 1-line block ×3, first 2 shown]
	v_fma_f32 v26, v33, -v36, v26
.LBB41_44:                              ;   in Loop: Header=BB41_12 Depth=1
	s_andn2_b64 vcc, exec, s[2:3]
	s_cbranch_vccnz .LBB41_46
; %bb.45:                               ;   in Loop: Header=BB41_12 Depth=1
	s_waitcnt lgkmcnt(0)
	v_add_u32_e32 v25, v6, v14
	v_ashrrev_i32_e32 v26, 31, v25
	v_lshlrev_b64 v[25:26], 3, v[25:26]
	v_mov_b32_e32 v6, s21
	v_add_co_u32_e32 v33, vcc, s20, v25
	v_addc_co_u32_e32 v34, vcc, v6, v26, vcc
	v_add_u32_e32 v6, v7, v12
	v_ashrrev_i32_e32 v7, 31, v6
	v_lshlrev_b64 v[6:7], 3, v[6:7]
	v_mov_b32_e32 v25, s21
	v_add_co_u32_e32 v6, vcc, s20, v6
	v_addc_co_u32_e32 v7, vcc, v25, v7, vcc
	global_load_dwordx4 v[25:28], v[33:34], off
	global_load_dwordx4 v[29:32], v[6:7], off
	s_waitcnt vmcnt(0)
	v_fmac_f32_e32 v4, v25, v29
	v_fmac_f32_e32 v5, v26, v29
	;; [unrolled: 1-line block ×3, first 2 shown]
	v_fma_f32 v5, v25, -v30, v5
	v_fmac_f32_e32 v4, v27, v31
	v_fmac_f32_e32 v5, v28, v31
	;; [unrolled: 1-line block ×3, first 2 shown]
	v_fma_f32 v26, v27, -v32, v5
	v_mov_b32_e32 v25, v4
.LBB41_46:                              ;   in Loop: Header=BB41_12 Depth=1
	v_mov_b32_e32 v5, v26
	v_mov_b32_e32 v4, v25
.LBB41_47:                              ;   in Loop: Header=BB41_12 Depth=1
	ds_write_b64 v21, v[4:5]
	s_waitcnt lgkmcnt(0)
	ds_read_b64 v[6:7], v24 offset:384
	ds_read_b64 v[4:5], v15
	s_waitcnt lgkmcnt(1)
	v_cmp_neq_f32_e32 vcc, 0, v6
	v_cmp_neq_f32_e64 s[2:3], 0, v7
	s_or_b64 vcc, vcc, s[2:3]
	v_cndmask_b32_e32 v6, 1.0, v6, vcc
	s_nor_b64 s[24:25], vcc, s[0:1]
	v_cndmask_b32_e32 v7, 0, v7, vcc
	s_and_saveexec_b64 s[2:3], s[24:25]
	s_cbranch_execz .LBB41_51
; %bb.48:                               ;   in Loop: Header=BB41_12 Depth=1
	v_mbcnt_lo_u32_b32 v6, exec_lo, 0
	v_mbcnt_hi_u32_b32 v6, exec_hi, v6
	v_cmp_eq_u32_e32 vcc, 0, v6
	s_and_saveexec_b64 s[24:25], vcc
	s_cbranch_execz .LBB41_50
; %bb.49:                               ;   in Loop: Header=BB41_12 Depth=1
	v_mov_b32_e32 v6, s23
	global_atomic_smin v24, v6, s[14:15]
.LBB41_50:                              ;   in Loop: Header=BB41_12 Depth=1
	s_or_b64 exec, exec, s[24:25]
	v_mov_b32_e32 v7, 0
	v_mov_b32_e32 v6, 1.0
.LBB41_51:                              ;   in Loop: Header=BB41_12 Depth=1
	s_or_b64 exec, exec, s[2:3]
	v_mul_f32_e32 v27, v7, v7
	v_fmac_f32_e32 v27, v6, v6
	v_div_scale_f32 v25, s[2:3], v27, v27, 1.0
	v_div_scale_f32 v26, vcc, 1.0, v27, 1.0
	v_rcp_f32_e32 v28, v25
	v_fma_f32 v29, -v25, v28, 1.0
	v_fmac_f32_e32 v28, v29, v28
	v_mul_f32_e32 v29, v26, v28
	v_fma_f32 v30, -v25, v29, v26
	v_fmac_f32_e32 v29, v30, v28
	v_fma_f32 v25, -v25, v29, v26
	v_div_fmas_f32 v28, v25, v28, v29
	ds_read_b64 v[25:26], v20
	s_waitcnt lgkmcnt(0)
	v_sub_f32_e32 v4, v4, v25
	v_sub_f32_e32 v5, v5, v26
	v_mul_f32_e32 v25, v7, v5
	v_mul_f32_e64 v7, v7, -v4
	v_fmac_f32_e32 v25, v4, v6
	v_fmac_f32_e32 v7, v5, v6
	v_div_fixup_f32 v5, v28, v27, 1.0
	v_mul_f32_e32 v4, v5, v25
	v_mul_f32_e32 v5, v5, v7
	ds_write_b64 v15, v[4:5]
	s_waitcnt lgkmcnt(0)
	ds_read_b64 v[6:7], v22
	ds_read_b64 v[25:26], v8
	s_waitcnt lgkmcnt(0)
	v_fma_f32 v25, v4, v6, v25
	v_fmac_f32_e32 v26, v5, v6
	v_fmac_f32_e32 v25, v5, v7
	v_fma_f32 v26, v4, -v7, v26
	ds_write_b64 v8, v[25:26]
	s_waitcnt lgkmcnt(0)
	ds_read_b64 v[6:7], v24 offset:416
	ds_read_b64 v[4:5], v15 offset:8
	s_waitcnt lgkmcnt(1)
	v_cmp_neq_f32_e32 vcc, 0, v6
	v_cmp_neq_f32_e64 s[2:3], 0, v7
	s_or_b64 vcc, vcc, s[2:3]
	v_cndmask_b32_e32 v6, 1.0, v6, vcc
	s_nor_b64 s[24:25], vcc, s[0:1]
	v_cndmask_b32_e32 v7, 0, v7, vcc
	s_and_saveexec_b64 s[2:3], s[24:25]
	s_cbranch_execz .LBB41_11
; %bb.52:                               ;   in Loop: Header=BB41_12 Depth=1
	v_mbcnt_lo_u32_b32 v6, exec_lo, 0
	v_mbcnt_hi_u32_b32 v6, exec_hi, v6
	v_cmp_eq_u32_e32 vcc, 0, v6
	s_and_saveexec_b64 s[24:25], vcc
	s_cbranch_execz .LBB41_10
; %bb.53:                               ;   in Loop: Header=BB41_12 Depth=1
	v_mov_b32_e32 v6, s23
	global_atomic_smin v24, v6, s[14:15]
	s_branch .LBB41_10
.LBB41_54:
	s_waitcnt lgkmcnt(0)
	s_cmp_eq_u32 s33, 0
	s_cselect_b64 vcc, -1, 0
	v_cndmask_b32_e32 v2, v13, v11, vcc
	v_lshl_add_u32 v2, s30, 2, v2
	v_ashrrev_i32_e32 v3, 31, v2
	v_lshlrev_b64 v[2:3], 3, v[2:3]
	v_mov_b32_e32 v4, s21
	v_add_co_u32_e32 v2, vcc, s20, v2
	v_addc_co_u32_e32 v3, vcc, v4, v3, vcc
	global_load_dwordx2 v[6:7], v[2:3], off
	v_mov_b32_e32 v4, 0x1e0
	v_mad_u32_u24 v5, v1, 24, v4
	v_cmp_ne_u32_e64 s[2:3], 0, v1
	v_lshl_add_u32 v4, v0, 3, v5
	v_cmp_eq_u32_e32 vcc, 0, v1
	s_waitcnt vmcnt(0)
	ds_write_b64 v4, v[6:7]
	s_waitcnt lgkmcnt(0)
	s_and_saveexec_b64 s[4:5], vcc
	s_cbranch_execz .LBB41_62
; %bb.55:
	v_mov_b32_e32 v11, 0
	ds_read2_b64 v[12:15], v11 offset0:60 offset1:66
	s_waitcnt lgkmcnt(0)
	v_sub_f32_e32 v6, v12, v14
	v_sub_f32_e32 v12, v13, v15
	v_cmp_gt_f32_e32 vcc, 0, v6
	v_cndmask_b32_e64 v6, v6, -v6, vcc
	v_cmp_gt_f32_e32 vcc, 0, v12
	v_cndmask_b32_e64 v7, v12, -v12, vcc
	v_cmp_ngt_f32_e32 vcc, v6, v7
	s_cbranch_vccz .LBB41_59
; %bb.56:
	v_cmp_eq_f32_e32 vcc, 0, v12
	s_cbranch_vccnz .LBB41_58
; %bb.57:
	v_div_scale_f32 v11, s[0:1], v7, v7, v6
	v_div_scale_f32 v12, vcc, v6, v7, v6
	s_mov_b32 s0, 0xf800000
	v_rcp_f32_e32 v13, v11
	v_fma_f32 v14, -v11, v13, 1.0
	v_fmac_f32_e32 v13, v14, v13
	v_mul_f32_e32 v14, v12, v13
	v_fma_f32 v15, -v11, v14, v12
	v_fmac_f32_e32 v14, v15, v13
	v_fma_f32 v11, -v11, v14, v12
	v_div_fmas_f32 v11, v11, v13, v14
	v_mov_b32_e32 v13, 0x260
	v_div_fixup_f32 v11, v11, v7, v6
	v_fma_f32 v11, v11, v11, 1.0
	v_mul_f32_e32 v12, 0x4f800000, v11
	v_cmp_gt_f32_e32 vcc, s0, v11
	v_cndmask_b32_e32 v11, v11, v12, vcc
	v_sqrt_f32_e32 v12, v11
	v_add_u32_e32 v14, -1, v12
	v_add_u32_e32 v15, 1, v12
	v_fma_f32 v16, -v14, v12, v11
	v_fma_f32 v17, -v15, v12, v11
	v_cmp_ge_f32_e64 s[0:1], 0, v16
	v_cndmask_b32_e64 v12, v12, v14, s[0:1]
	v_cmp_lt_f32_e64 s[0:1], 0, v17
	v_cndmask_b32_e64 v12, v12, v15, s[0:1]
	v_mul_f32_e32 v14, 0x37800000, v12
	v_cndmask_b32_e32 v12, v12, v14, vcc
	v_cmp_class_f32_e32 vcc, v11, v13
	v_cndmask_b32_e32 v11, v12, v11, vcc
	v_mul_f32_e32 v11, v7, v11
.LBB41_58:
	s_cbranch_execz .LBB41_60
	s_branch .LBB41_61
.LBB41_59:
                                        ; implicit-def: $vgpr11
.LBB41_60:
	v_div_scale_f32 v11, s[0:1], v6, v6, v7
	v_div_scale_f32 v12, vcc, v7, v6, v7
	s_mov_b32 s0, 0xf800000
	v_rcp_f32_e32 v13, v11
	v_fma_f32 v14, -v11, v13, 1.0
	v_fmac_f32_e32 v13, v14, v13
	v_mul_f32_e32 v14, v12, v13
	v_fma_f32 v15, -v11, v14, v12
	v_fmac_f32_e32 v14, v15, v13
	v_fma_f32 v11, -v11, v14, v12
	v_div_fmas_f32 v11, v11, v13, v14
	v_mov_b32_e32 v12, 0x260
	v_div_fixup_f32 v7, v11, v6, v7
	v_fma_f32 v7, v7, v7, 1.0
	v_mul_f32_e32 v11, 0x4f800000, v7
	v_cmp_gt_f32_e32 vcc, s0, v7
	v_cndmask_b32_e32 v7, v7, v11, vcc
	v_sqrt_f32_e32 v11, v7
	v_add_u32_e32 v13, -1, v11
	v_add_u32_e32 v14, 1, v11
	v_fma_f32 v15, -v13, v11, v7
	v_fma_f32 v16, -v14, v11, v7
	v_cmp_ge_f32_e64 s[0:1], 0, v15
	v_cndmask_b32_e64 v11, v11, v13, s[0:1]
	v_cmp_lt_f32_e64 s[0:1], 0, v16
	v_cndmask_b32_e64 v11, v11, v14, s[0:1]
	v_mul_f32_e32 v13, 0x37800000, v11
	v_cndmask_b32_e32 v11, v11, v13, vcc
	v_cmp_class_f32_e32 vcc, v7, v12
	v_cndmask_b32_e32 v7, v11, v7, vcc
	v_mul_f32_e32 v11, v6, v7
.LBB41_61:
	s_mov_b32 s0, 0xf800000
	v_mul_f32_e32 v6, 0x4f800000, v11
	v_cmp_gt_f32_e32 vcc, s0, v11
	v_cndmask_b32_e32 v6, v11, v6, vcc
	v_sqrt_f32_e32 v7, v6
	v_add_u32_e32 v11, -1, v7
	v_fma_f32 v12, -v11, v7, v6
	v_cmp_ge_f32_e64 s[0:1], 0, v12
	v_add_u32_e32 v12, 1, v7
	v_cndmask_b32_e64 v11, v7, v11, s[0:1]
	v_fma_f32 v7, -v12, v7, v6
	v_cmp_lt_f32_e64 s[0:1], 0, v7
	v_cndmask_b32_e64 v7, v11, v12, s[0:1]
	v_mul_f32_e32 v11, 0x37800000, v7
	v_cndmask_b32_e32 v7, v7, v11, vcc
	v_mov_b32_e32 v11, 0x260
	v_cmp_class_f32_e32 vcc, v6, v11
	v_cndmask_b32_e32 v6, v7, v6, vcc
	v_mov_b32_e32 v7, 0
	ds_write_b64 v7, v[6:7] offset:480
.LBB41_62:
	s_or_b64 exec, exec, s[4:5]
	v_mov_b32_e32 v6, 0
	s_waitcnt lgkmcnt(0)
	ds_read_b64 v[11:12], v6 offset:480
	v_cmp_ne_u32_e64 s[0:1], 0, v9
	s_add_i32 s16, s12, s13
	s_waitcnt lgkmcnt(0)
	v_cmp_neq_f32_e32 vcc, 0, v11
	v_cmp_neq_f32_e64 s[4:5], 0, v12
	s_or_b64 vcc, vcc, s[4:5]
	v_cndmask_b32_e32 v7, 1.0, v11, vcc
	s_nor_b64 s[8:9], vcc, s[0:1]
	v_cndmask_b32_e32 v11, 0, v12, vcc
	s_and_saveexec_b64 s[4:5], s[8:9]
	s_cbranch_execz .LBB41_66
; %bb.63:
	v_mbcnt_lo_u32_b32 v6, exec_lo, 0
	v_mbcnt_hi_u32_b32 v6, exec_hi, v6
	v_cmp_eq_u32_e32 vcc, 0, v6
	s_and_saveexec_b64 s[8:9], vcc
	s_cbranch_execz .LBB41_65
; %bb.64:
	v_mov_b32_e32 v6, 0
	v_mov_b32_e32 v7, s16
	global_atomic_smin v6, v7, s[14:15]
.LBB41_65:
	s_or_b64 exec, exec, s[8:9]
	v_mov_b32_e32 v11, 0
	v_mov_b32_e32 v7, 1.0
.LBB41_66:
	s_or_b64 exec, exec, s[4:5]
	v_mov_b32_e32 v6, 0x1e0
	v_mad_u32_u24 v6, v0, 24, v6
	s_and_saveexec_b64 s[4:5], s[2:3]
	s_cbranch_execz .LBB41_68
; %bb.67:
	v_mul_f32_e32 v16, v11, v11
	v_fmac_f32_e32 v16, v7, v7
	v_div_scale_f32 v12, s[2:3], v16, v16, 1.0
	v_div_scale_f32 v13, vcc, 1.0, v16, 1.0
	v_rcp_f32_e32 v14, v12
	v_fma_f32 v15, -v12, v14, 1.0
	v_fmac_f32_e32 v14, v15, v14
	v_mul_f32_e32 v15, v13, v14
	v_fma_f32 v17, -v12, v15, v13
	v_fmac_f32_e32 v15, v17, v14
	v_fma_f32 v12, -v12, v15, v13
	v_div_fmas_f32 v17, v12, v14, v15
	ds_read_b64 v[12:13], v5
	ds_read_b64 v[14:15], v10
	s_waitcnt lgkmcnt(0)
	v_sub_f32_e32 v12, v12, v14
	v_sub_f32_e32 v13, v13, v15
	v_mul_f32_e32 v14, v11, v13
	v_mul_f32_e64 v15, v11, -v12
	v_fmac_f32_e32 v14, v12, v7
	v_fmac_f32_e32 v15, v13, v7
	v_div_fixup_f32 v7, v17, v16, 1.0
	v_mul_f32_e32 v11, v7, v14
	v_mul_f32_e32 v12, v7, v15
	ds_write_b64 v5, v[11:12]
	s_waitcnt lgkmcnt(0)
	ds_read_b64 v[13:14], v6
	ds_read_b64 v[15:16], v8
	s_waitcnt lgkmcnt(0)
	v_fma_f32 v15, v11, v13, v15
	v_fmac_f32_e32 v16, v12, v13
	v_fmac_f32_e32 v15, v12, v14
	v_fma_f32 v16, v11, -v14, v16
	ds_write_b64 v8, v[15:16]
.LBB41_68:
	s_or_b64 exec, exec, s[4:5]
	v_cmp_eq_u32_e32 vcc, 1, v1
	s_waitcnt lgkmcnt(0)
	s_and_saveexec_b64 s[4:5], vcc
	s_cbranch_execz .LBB41_76
; %bb.69:
	v_mov_b32_e32 v12, 0
	ds_read2_b64 v[13:16], v12 offset0:64 offset1:70
	s_waitcnt lgkmcnt(0)
	v_sub_f32_e32 v7, v13, v15
	v_sub_f32_e32 v13, v14, v16
	v_cmp_gt_f32_e32 vcc, 0, v7
	v_cndmask_b32_e64 v7, v7, -v7, vcc
	v_cmp_gt_f32_e32 vcc, 0, v13
	v_cndmask_b32_e64 v11, v13, -v13, vcc
	v_cmp_gt_f32_e32 vcc, v7, v11
	s_cbranch_vccnz .LBB41_73
; %bb.70:
	v_cmp_eq_f32_e32 vcc, 0, v13
	s_cbranch_vccnz .LBB41_72
; %bb.71:
	v_div_scale_f32 v12, s[2:3], v11, v11, v7
	v_div_scale_f32 v13, vcc, v7, v11, v7
	s_mov_b32 s2, 0xf800000
	v_rcp_f32_e32 v14, v12
	v_fma_f32 v15, -v12, v14, 1.0
	v_fmac_f32_e32 v14, v15, v14
	v_mul_f32_e32 v15, v13, v14
	v_fma_f32 v16, -v12, v15, v13
	v_fmac_f32_e32 v15, v16, v14
	v_fma_f32 v12, -v12, v15, v13
	v_div_fmas_f32 v12, v12, v14, v15
	v_mov_b32_e32 v14, 0x260
	v_div_fixup_f32 v12, v12, v11, v7
	v_fma_f32 v12, v12, v12, 1.0
	v_mul_f32_e32 v13, 0x4f800000, v12
	v_cmp_gt_f32_e32 vcc, s2, v12
	v_cndmask_b32_e32 v12, v12, v13, vcc
	v_sqrt_f32_e32 v13, v12
	v_add_u32_e32 v15, -1, v13
	v_add_u32_e32 v16, 1, v13
	v_fma_f32 v17, -v15, v13, v12
	v_fma_f32 v18, -v16, v13, v12
	v_cmp_ge_f32_e64 s[2:3], 0, v17
	v_cndmask_b32_e64 v13, v13, v15, s[2:3]
	v_cmp_lt_f32_e64 s[2:3], 0, v18
	v_cndmask_b32_e64 v13, v13, v16, s[2:3]
	v_mul_f32_e32 v15, 0x37800000, v13
	v_cndmask_b32_e32 v13, v13, v15, vcc
	v_cmp_class_f32_e32 vcc, v12, v14
	v_cndmask_b32_e32 v12, v13, v12, vcc
	v_mul_f32_e32 v12, v11, v12
.LBB41_72:
	s_cbranch_execz .LBB41_74
	s_branch .LBB41_75
.LBB41_73:
                                        ; implicit-def: $vgpr12
.LBB41_74:
	v_div_scale_f32 v12, s[2:3], v7, v7, v11
	v_div_scale_f32 v13, vcc, v11, v7, v11
	s_mov_b32 s2, 0xf800000
	v_rcp_f32_e32 v14, v12
	v_fma_f32 v15, -v12, v14, 1.0
	v_fmac_f32_e32 v14, v15, v14
	v_mul_f32_e32 v15, v13, v14
	v_fma_f32 v16, -v12, v15, v13
	v_fmac_f32_e32 v15, v16, v14
	v_fma_f32 v12, -v12, v15, v13
	v_div_fmas_f32 v12, v12, v14, v15
	v_mov_b32_e32 v13, 0x260
	v_div_fixup_f32 v11, v12, v7, v11
	v_fma_f32 v11, v11, v11, 1.0
	v_mul_f32_e32 v12, 0x4f800000, v11
	v_cmp_gt_f32_e32 vcc, s2, v11
	v_cndmask_b32_e32 v11, v11, v12, vcc
	v_sqrt_f32_e32 v12, v11
	v_add_u32_e32 v14, -1, v12
	v_add_u32_e32 v15, 1, v12
	v_fma_f32 v16, -v14, v12, v11
	v_fma_f32 v17, -v15, v12, v11
	v_cmp_ge_f32_e64 s[2:3], 0, v16
	v_cndmask_b32_e64 v12, v12, v14, s[2:3]
	v_cmp_lt_f32_e64 s[2:3], 0, v17
	v_cndmask_b32_e64 v12, v12, v15, s[2:3]
	v_mul_f32_e32 v14, 0x37800000, v12
	v_cndmask_b32_e32 v12, v12, v14, vcc
	v_cmp_class_f32_e32 vcc, v11, v13
	v_cndmask_b32_e32 v11, v12, v11, vcc
	v_mul_f32_e32 v12, v7, v11
.LBB41_75:
	s_mov_b32 s2, 0xf800000
	v_mul_f32_e32 v7, 0x4f800000, v12
	v_cmp_gt_f32_e32 vcc, s2, v12
	v_cndmask_b32_e32 v7, v12, v7, vcc
	v_sqrt_f32_e32 v11, v7
	v_add_u32_e32 v12, -1, v11
	v_fma_f32 v13, -v12, v11, v7
	v_cmp_ge_f32_e64 s[2:3], 0, v13
	v_add_u32_e32 v13, 1, v11
	v_cndmask_b32_e64 v12, v11, v12, s[2:3]
	v_fma_f32 v11, -v13, v11, v7
	v_cmp_lt_f32_e64 s[2:3], 0, v11
	v_cndmask_b32_e64 v11, v12, v13, s[2:3]
	v_mul_f32_e32 v12, 0x37800000, v11
	v_cndmask_b32_e32 v11, v11, v12, vcc
	v_mov_b32_e32 v12, 0x260
	v_cmp_class_f32_e32 vcc, v7, v12
	v_cndmask_b32_e32 v11, v11, v7, vcc
	v_mov_b32_e32 v12, 0
	ds_write_b64 v12, v[11:12] offset:512
.LBB41_76:
	s_or_b64 exec, exec, s[4:5]
	v_mov_b32_e32 v7, 0
	s_waitcnt lgkmcnt(0)
	ds_read_b64 v[11:12], v7 offset:512
	s_waitcnt lgkmcnt(0)
	v_cmp_neq_f32_e32 vcc, 0, v11
	v_cmp_neq_f32_e64 s[2:3], 0, v12
	s_or_b64 vcc, vcc, s[2:3]
	v_cndmask_b32_e32 v7, 1.0, v11, vcc
	s_nor_b64 s[2:3], vcc, s[0:1]
	v_cndmask_b32_e32 v11, 0, v12, vcc
	s_and_saveexec_b64 s[0:1], s[2:3]
	s_cbranch_execz .LBB41_80
; %bb.77:
	v_mbcnt_lo_u32_b32 v7, exec_lo, 0
	v_mbcnt_hi_u32_b32 v7, exec_hi, v7
	v_cmp_eq_u32_e32 vcc, 0, v7
	s_and_saveexec_b64 s[2:3], vcc
	s_cbranch_execz .LBB41_79
; %bb.78:
	v_mov_b32_e32 v7, 0
	v_mov_b32_e32 v11, s16
	global_atomic_smin v7, v11, s[14:15]
.LBB41_79:
	s_or_b64 exec, exec, s[2:3]
	v_mov_b32_e32 v11, 0
	v_mov_b32_e32 v7, 1.0
.LBB41_80:
	s_or_b64 exec, exec, s[0:1]
	v_cmp_lt_u32_e32 vcc, 1, v1
	s_and_saveexec_b64 s[0:1], vcc
	s_cbranch_execz .LBB41_82
; %bb.81:
	v_mul_f32_e32 v16, v11, v11
	v_fmac_f32_e32 v16, v7, v7
	v_div_scale_f32 v12, s[2:3], v16, v16, 1.0
	v_div_scale_f32 v13, vcc, 1.0, v16, 1.0
	v_rcp_f32_e32 v14, v12
	v_fma_f32 v15, -v12, v14, 1.0
	v_fmac_f32_e32 v14, v15, v14
	v_mul_f32_e32 v15, v13, v14
	v_fma_f32 v17, -v12, v15, v13
	v_fmac_f32_e32 v15, v17, v14
	v_fma_f32 v12, -v12, v15, v13
	v_div_fmas_f32 v17, v12, v14, v15
	ds_read_b64 v[12:13], v5 offset:8
	ds_read_b64 v[14:15], v10 offset:8
	s_waitcnt lgkmcnt(0)
	v_sub_f32_e32 v10, v12, v14
	v_sub_f32_e32 v12, v13, v15
	v_mul_f32_e32 v13, v11, v12
	v_mul_f32_e64 v11, v11, -v10
	v_fmac_f32_e32 v13, v10, v7
	v_fmac_f32_e32 v11, v12, v7
	v_div_fixup_f32 v7, v17, v16, 1.0
	v_mul_f32_e32 v10, v7, v13
	v_mul_f32_e32 v11, v7, v11
	ds_write_b64 v5, v[10:11] offset:8
	s_waitcnt lgkmcnt(0)
	ds_read_b64 v[5:6], v6 offset:8
	ds_read_b64 v[12:13], v8
	s_waitcnt lgkmcnt(0)
	v_fma_f32 v12, v10, v5, v12
	v_fmac_f32_e32 v13, v11, v5
	v_fmac_f32_e32 v12, v11, v6
	v_fma_f32 v13, v10, -v6, v13
	ds_write_b64 v8, v[12:13]
.LBB41_82:
	s_or_b64 exec, exec, s[0:1]
	s_waitcnt lgkmcnt(0)
	ds_read_b64 v[4:5], v4
	v_cmp_eq_u32_e32 vcc, 0, v9
	s_waitcnt lgkmcnt(0)
	global_store_dwordx2 v[2:3], v[4:5], off
	s_and_saveexec_b64 s[0:1], vcc
	s_cbranch_execz .LBB41_84
; %bb.83:
	s_add_u32 s2, s10, s6
	s_addc_u32 s3, s11, s7
	v_mov_b32_e32 v2, 0
	v_mov_b32_e32 v3, 1
	s_waitcnt vmcnt(0)
	global_store_dword v2, v3, s[2:3]
.LBB41_84:
	s_or_b64 exec, exec, s[0:1]
	s_branch .LBB41_7
.LBB41_85:
	v_or_b32_e32 v0, v0, v1
	v_cmp_eq_u32_e32 vcc, 0, v0
	s_and_saveexec_b64 s[0:1], vcc
	s_cbranch_execz .LBB41_7
; %bb.86:
	v_mbcnt_lo_u32_b32 v0, exec_lo, 0
	v_mbcnt_hi_u32_b32 v0, exec_hi, v0
	v_cmp_eq_u32_e32 vcc, 0, v0
	s_and_saveexec_b64 s[0:1], vcc
	s_cbranch_execz .LBB41_88
; %bb.87:
	s_add_i32 s2, s12, s13
	v_mov_b32_e32 v0, 0
	v_mov_b32_e32 v1, s2
	global_atomic_smin v0, v1, s[14:15]
.LBB41_88:
	s_or_b64 exec, exec, s[0:1]
	s_add_u32 s0, s10, s6
	s_addc_u32 s1, s11, s7
	v_mov_b32_e32 v0, 0
	v_mov_b32_e32 v1, 1
	s_waitcnt vmcnt(0)
	global_store_dword v0, v1, s[0:1]
	s_endpgm
	.section	.rodata,"a",@progbits
	.p2align	6, 0x0
	.amdhsa_kernel _ZN9rocsparseL26bsric0_2_8_unrolled_kernelILi4ELi32ELi2E21rocsparse_complex_numIfEEEv20rocsparse_direction_iiPKiS5_PT2_S5_PiS5_S8_21rocsparse_index_base_
		.amdhsa_group_segment_fixed_size 576
		.amdhsa_private_segment_fixed_size 0
		.amdhsa_kernarg_size 76
		.amdhsa_user_sgpr_count 6
		.amdhsa_user_sgpr_private_segment_buffer 1
		.amdhsa_user_sgpr_dispatch_ptr 0
		.amdhsa_user_sgpr_queue_ptr 0
		.amdhsa_user_sgpr_kernarg_segment_ptr 1
		.amdhsa_user_sgpr_dispatch_id 0
		.amdhsa_user_sgpr_flat_scratch_init 0
		.amdhsa_user_sgpr_private_segment_size 0
		.amdhsa_uses_dynamic_stack 0
		.amdhsa_system_sgpr_private_segment_wavefront_offset 0
		.amdhsa_system_sgpr_workgroup_id_x 1
		.amdhsa_system_sgpr_workgroup_id_y 0
		.amdhsa_system_sgpr_workgroup_id_z 0
		.amdhsa_system_sgpr_workgroup_info 0
		.amdhsa_system_vgpr_workitem_id 1
		.amdhsa_next_free_vgpr 37
		.amdhsa_next_free_sgpr 40
		.amdhsa_reserve_vcc 1
		.amdhsa_reserve_flat_scratch 0
		.amdhsa_float_round_mode_32 0
		.amdhsa_float_round_mode_16_64 0
		.amdhsa_float_denorm_mode_32 3
		.amdhsa_float_denorm_mode_16_64 3
		.amdhsa_dx10_clamp 1
		.amdhsa_ieee_mode 1
		.amdhsa_fp16_overflow 0
		.amdhsa_exception_fp_ieee_invalid_op 0
		.amdhsa_exception_fp_denorm_src 0
		.amdhsa_exception_fp_ieee_div_zero 0
		.amdhsa_exception_fp_ieee_overflow 0
		.amdhsa_exception_fp_ieee_underflow 0
		.amdhsa_exception_fp_ieee_inexact 0
		.amdhsa_exception_int_div_zero 0
	.end_amdhsa_kernel
	.section	.text._ZN9rocsparseL26bsric0_2_8_unrolled_kernelILi4ELi32ELi2E21rocsparse_complex_numIfEEEv20rocsparse_direction_iiPKiS5_PT2_S5_PiS5_S8_21rocsparse_index_base_,"axG",@progbits,_ZN9rocsparseL26bsric0_2_8_unrolled_kernelILi4ELi32ELi2E21rocsparse_complex_numIfEEEv20rocsparse_direction_iiPKiS5_PT2_S5_PiS5_S8_21rocsparse_index_base_,comdat
.Lfunc_end41:
	.size	_ZN9rocsparseL26bsric0_2_8_unrolled_kernelILi4ELi32ELi2E21rocsparse_complex_numIfEEEv20rocsparse_direction_iiPKiS5_PT2_S5_PiS5_S8_21rocsparse_index_base_, .Lfunc_end41-_ZN9rocsparseL26bsric0_2_8_unrolled_kernelILi4ELi32ELi2E21rocsparse_complex_numIfEEEv20rocsparse_direction_iiPKiS5_PT2_S5_PiS5_S8_21rocsparse_index_base_
                                        ; -- End function
	.set _ZN9rocsparseL26bsric0_2_8_unrolled_kernelILi4ELi32ELi2E21rocsparse_complex_numIfEEEv20rocsparse_direction_iiPKiS5_PT2_S5_PiS5_S8_21rocsparse_index_base_.num_vgpr, 37
	.set _ZN9rocsparseL26bsric0_2_8_unrolled_kernelILi4ELi32ELi2E21rocsparse_complex_numIfEEEv20rocsparse_direction_iiPKiS5_PT2_S5_PiS5_S8_21rocsparse_index_base_.num_agpr, 0
	.set _ZN9rocsparseL26bsric0_2_8_unrolled_kernelILi4ELi32ELi2E21rocsparse_complex_numIfEEEv20rocsparse_direction_iiPKiS5_PT2_S5_PiS5_S8_21rocsparse_index_base_.numbered_sgpr, 40
	.set _ZN9rocsparseL26bsric0_2_8_unrolled_kernelILi4ELi32ELi2E21rocsparse_complex_numIfEEEv20rocsparse_direction_iiPKiS5_PT2_S5_PiS5_S8_21rocsparse_index_base_.num_named_barrier, 0
	.set _ZN9rocsparseL26bsric0_2_8_unrolled_kernelILi4ELi32ELi2E21rocsparse_complex_numIfEEEv20rocsparse_direction_iiPKiS5_PT2_S5_PiS5_S8_21rocsparse_index_base_.private_seg_size, 0
	.set _ZN9rocsparseL26bsric0_2_8_unrolled_kernelILi4ELi32ELi2E21rocsparse_complex_numIfEEEv20rocsparse_direction_iiPKiS5_PT2_S5_PiS5_S8_21rocsparse_index_base_.uses_vcc, 1
	.set _ZN9rocsparseL26bsric0_2_8_unrolled_kernelILi4ELi32ELi2E21rocsparse_complex_numIfEEEv20rocsparse_direction_iiPKiS5_PT2_S5_PiS5_S8_21rocsparse_index_base_.uses_flat_scratch, 0
	.set _ZN9rocsparseL26bsric0_2_8_unrolled_kernelILi4ELi32ELi2E21rocsparse_complex_numIfEEEv20rocsparse_direction_iiPKiS5_PT2_S5_PiS5_S8_21rocsparse_index_base_.has_dyn_sized_stack, 0
	.set _ZN9rocsparseL26bsric0_2_8_unrolled_kernelILi4ELi32ELi2E21rocsparse_complex_numIfEEEv20rocsparse_direction_iiPKiS5_PT2_S5_PiS5_S8_21rocsparse_index_base_.has_recursion, 0
	.set _ZN9rocsparseL26bsric0_2_8_unrolled_kernelILi4ELi32ELi2E21rocsparse_complex_numIfEEEv20rocsparse_direction_iiPKiS5_PT2_S5_PiS5_S8_21rocsparse_index_base_.has_indirect_call, 0
	.section	.AMDGPU.csdata,"",@progbits
; Kernel info:
; codeLenInByte = 5096
; TotalNumSgprs: 44
; NumVgprs: 37
; ScratchSize: 0
; MemoryBound: 0
; FloatMode: 240
; IeeeMode: 1
; LDSByteSize: 576 bytes/workgroup (compile time only)
; SGPRBlocks: 5
; VGPRBlocks: 9
; NumSGPRsForWavesPerEU: 44
; NumVGPRsForWavesPerEU: 37
; Occupancy: 6
; WaveLimiterHint : 1
; COMPUTE_PGM_RSRC2:SCRATCH_EN: 0
; COMPUTE_PGM_RSRC2:USER_SGPR: 6
; COMPUTE_PGM_RSRC2:TRAP_HANDLER: 0
; COMPUTE_PGM_RSRC2:TGID_X_EN: 1
; COMPUTE_PGM_RSRC2:TGID_Y_EN: 0
; COMPUTE_PGM_RSRC2:TGID_Z_EN: 0
; COMPUTE_PGM_RSRC2:TIDIG_COMP_CNT: 1
	.section	.text._ZN9rocsparseL26bsric0_2_8_unrolled_kernelILi9ELi32ELi3E21rocsparse_complex_numIfEEEv20rocsparse_direction_iiPKiS5_PT2_S5_PiS5_S8_21rocsparse_index_base_,"axG",@progbits,_ZN9rocsparseL26bsric0_2_8_unrolled_kernelILi9ELi32ELi3E21rocsparse_complex_numIfEEEv20rocsparse_direction_iiPKiS5_PT2_S5_PiS5_S8_21rocsparse_index_base_,comdat
	.globl	_ZN9rocsparseL26bsric0_2_8_unrolled_kernelILi9ELi32ELi3E21rocsparse_complex_numIfEEEv20rocsparse_direction_iiPKiS5_PT2_S5_PiS5_S8_21rocsparse_index_base_ ; -- Begin function _ZN9rocsparseL26bsric0_2_8_unrolled_kernelILi9ELi32ELi3E21rocsparse_complex_numIfEEEv20rocsparse_direction_iiPKiS5_PT2_S5_PiS5_S8_21rocsparse_index_base_
	.p2align	8
	.type	_ZN9rocsparseL26bsric0_2_8_unrolled_kernelILi9ELi32ELi3E21rocsparse_complex_numIfEEEv20rocsparse_direction_iiPKiS5_PT2_S5_PiS5_S8_21rocsparse_index_base_,@function
_ZN9rocsparseL26bsric0_2_8_unrolled_kernelILi9ELi32ELi3E21rocsparse_complex_numIfEEEv20rocsparse_direction_iiPKiS5_PT2_S5_PiS5_S8_21rocsparse_index_base_: ; @_ZN9rocsparseL26bsric0_2_8_unrolled_kernelILi9ELi32ELi3E21rocsparse_complex_numIfEEEv20rocsparse_direction_iiPKiS5_PT2_S5_PiS5_S8_21rocsparse_index_base_
; %bb.0:
	s_load_dwordx8 s[8:15], s[4:5], 0x28
	s_mov_b32 s7, 0
	s_lshl_b64 s[0:1], s[6:7], 2
	s_waitcnt lgkmcnt(0)
	s_add_u32 s0, s12, s0
	s_addc_u32 s1, s13, s1
	s_load_dword s12, s[0:1], 0x0
	s_waitcnt lgkmcnt(0)
	s_ashr_i32 s13, s12, 31
	s_lshl_b64 s[6:7], s[12:13], 2
	s_add_u32 s0, s8, s6
	s_addc_u32 s1, s9, s7
	s_load_dword s30, s[0:1], 0x0
	s_load_dword s13, s[4:5], 0x48
	s_waitcnt lgkmcnt(0)
	s_cmp_lg_u32 s30, -1
	s_cbranch_scc0 .LBB42_50
; %bb.1:
	s_load_dwordx4 s[16:19], s[4:5], 0x10
	s_load_dwordx2 s[20:21], s[4:5], 0x20
	v_mad_u32_u24 v10, v1, 3, v0
	s_waitcnt lgkmcnt(0)
	s_add_u32 s0, s16, s6
	s_addc_u32 s1, s17, s7
	s_load_dword s0, s[0:1], 0x0
	s_waitcnt lgkmcnt(0)
	s_sub_i32 s31, s0, s13
	v_add_u32_e32 v2, s31, v10
	v_cmp_ge_i32_e32 vcc, s30, v2
	s_and_saveexec_b64 s[0:1], vcc
	s_cbranch_execz .LBB42_4
; %bb.2:
	v_mov_b32_e32 v3, 0x100
	v_lshl_add_u32 v5, v10, 2, v3
	v_ashrrev_i32_e32 v3, 31, v2
	v_lshlrev_b64 v[3:4], 2, v[2:3]
	v_mov_b32_e32 v6, s19
	v_add_co_u32_e32 v3, vcc, s18, v3
	v_addc_co_u32_e32 v4, vcc, v6, v4, vcc
	s_mov_b64 s[2:3], 0
.LBB42_3:                               ; =>This Inner Loop Header: Depth=1
	global_load_dword v6, v[3:4], off
	v_add_co_u32_e32 v3, vcc, 36, v3
	v_add_u32_e32 v2, 9, v2
	v_addc_co_u32_e32 v4, vcc, 0, v4, vcc
	v_cmp_lt_i32_e32 vcc, s30, v2
	s_or_b64 s[2:3], vcc, s[2:3]
	s_waitcnt vmcnt(0)
	v_subrev_u32_e32 v6, s13, v6
	ds_write_b32 v5, v6
	v_add_u32_e32 v5, 36, v5
	s_andn2_b64 exec, exec, s[2:3]
	s_cbranch_execnz .LBB42_3
.LBB42_4:
	s_or_b64 exec, exec, s[0:1]
	s_load_dword s33, s[4:5], 0x0
	v_mov_b32_e32 v2, 0x2a0
	v_lshl_add_u32 v12, v1, 5, v2
	v_mov_b32_e32 v2, 0
	v_mul_u32_u24_e32 v13, 3, v1
	v_lshl_add_u32 v11, v0, 3, v12
	v_mov_b32_e32 v3, v2
	s_cmp_ge_i32 s31, s30
	ds_write_b64 v11, v[2:3]
	s_waitcnt lgkmcnt(0)
	s_cbranch_scc1 .LBB42_43
; %bb.5:
	s_cmp_lg_u32 s33, 0
	v_lshlrev_b32_e32 v4, 5, v1
	v_lshlrev_b32_e32 v5, 3, v0
	s_movk_i32 s0, 0x180
	s_cselect_b64 s[4:5], -1, 0
	s_cmp_eq_u32 s33, 0
	v_add_u32_e32 v14, 0x240, v4
	v_add3_u32 v16, v4, v5, s0
	v_add_u32_e32 v17, 0x1e0, v4
	v_mov_b32_e32 v4, 0x240
	v_mad_u32_u24 v3, v0, 3, v1
	v_lshl_add_u32 v19, v0, 5, v4
	v_or_b32_e32 v4, v0, v1
	s_cselect_b64 vcc, -1, 0
	v_add_u32_e32 v15, v14, v5
	v_add_u32_e32 v18, v17, v5
	v_cmp_ne_u32_e64 s[0:1], 0, v4
	v_cndmask_b32_e32 v3, v3, v10, vcc
	s_mov_b32 s22, s31
	s_branch .LBB42_8
.LBB42_6:                               ;   in Loop: Header=BB42_8 Depth=1
	s_or_b64 exec, exec, s[24:25]
	v_mov_b32_e32 v9, 0
	v_mov_b32_e32 v8, 1.0
.LBB42_7:                               ;   in Loop: Header=BB42_8 Depth=1
	s_or_b64 exec, exec, s[2:3]
	v_mul_f32_e32 v30, v9, v9
	v_fmac_f32_e32 v30, v8, v8
	v_div_scale_f32 v31, s[2:3], v30, v30, 1.0
	v_div_scale_f32 v32, vcc, 1.0, v30, 1.0
	ds_read_b128 v[20:23], v2 offset:448
	ds_read_b128 v[24:27], v14
	ds_read_b64 v[28:29], v17 offset:16
	s_add_i32 s22, s22, 1
	s_cmp_ge_i32 s22, s30
	s_cselect_b64 s[2:3], -1, 0
	s_waitcnt lgkmcnt(0)
	v_fma_f32 v29, v21, v24, v29
	v_fmac_f32_e32 v28, v20, v24
	v_fma_f32 v20, v20, -v25, v29
	v_fmac_f32_e32 v28, v21, v25
	v_fmac_f32_e32 v20, v23, v26
	;; [unrolled: 1-line block ×3, first 2 shown]
	v_fma_f32 v20, v22, -v27, v20
	v_rcp_f32_e32 v33, v31
	v_fmac_f32_e32 v28, v23, v27
	v_sub_f32_e32 v6, v6, v28
	v_sub_f32_e32 v7, v7, v20
	v_fma_f32 v34, -v31, v33, 1.0
	v_fmac_f32_e32 v33, v34, v33
	v_mul_f32_e32 v34, v32, v33
	v_fma_f32 v35, -v31, v34, v32
	v_fmac_f32_e32 v34, v35, v33
	v_fma_f32 v31, -v31, v34, v32
	v_div_fmas_f32 v31, v31, v33, v34
	v_mul_f32_e32 v20, v9, v7
	v_mul_f32_e64 v9, v9, -v6
	v_fmac_f32_e32 v20, v6, v8
	v_fmac_f32_e32 v9, v7, v8
	v_div_fixup_f32 v7, v31, v30, 1.0
	v_mul_f32_e32 v6, v7, v20
	v_mul_f32_e32 v7, v7, v9
	ds_write_b64 v14, v[6:7] offset:16
	s_waitcnt lgkmcnt(0)
	ds_read_b64 v[8:9], v19 offset:16
	ds_read_b64 v[20:21], v11
	s_waitcnt lgkmcnt(0)
	v_fma_f32 v20, v6, v8, v20
	v_fmac_f32_e32 v21, v7, v8
	v_fmac_f32_e32 v20, v7, v9
	v_fma_f32 v21, v6, -v9, v21
	ds_write_b64 v11, v[20:21]
	s_waitcnt lgkmcnt(0)
	ds_read_b64 v[6:7], v15
	s_waitcnt lgkmcnt(0)
	global_store_dwordx2 v[4:5], v[6:7], off
	s_waitcnt vmcnt(0)
	buffer_wbinvl1_vol
	s_and_b64 vcc, exec, s[2:3]
	s_cbranch_vccnz .LBB42_43
.LBB42_8:                               ; =>This Loop Header: Depth=1
                                        ;     Child Loop BB42_11 Depth 2
                                        ;     Child Loop BB42_22 Depth 2
	;; [unrolled: 1-line block ×3, first 2 shown]
	s_ashr_i32 s23, s22, 31
	s_lshl_b64 s[2:3], s[22:23], 2
	s_add_u32 s2, s18, s2
	s_addc_u32 s3, s19, s3
	s_load_dword s23, s[2:3], 0x0
	s_waitcnt lgkmcnt(0)
	s_sub_i32 s24, s23, s13
	s_ashr_i32 s25, s24, 31
	s_lshl_b64 s[2:3], s[24:25], 2
	s_add_u32 s26, s8, s2
	s_addc_u32 s27, s9, s3
	s_load_dword s25, s[26:27], 0x0
	s_waitcnt lgkmcnt(0)
	s_cmp_eq_u32 s25, -1
	s_cbranch_scc1 .LBB42_42
; %bb.9:                                ;   in Loop: Header=BB42_8 Depth=1
	v_mad_u64_u32 v[4:5], s[26:27], s22, 9, v[3:4]
	v_mov_b32_e32 v6, s21
	s_add_u32 s26, s16, s2
	v_ashrrev_i32_e32 v5, 31, v4
	v_lshlrev_b64 v[4:5], 3, v[4:5]
	s_addc_u32 s27, s17, s3
	v_add_co_u32_e32 v4, vcc, s20, v4
	v_addc_co_u32_e32 v5, vcc, v6, v5, vcc
	global_load_dwordx2 v[6:7], v[4:5], off
	s_load_dword s26, s[26:27], 0x0
	ds_read_b32 v8, v2 offset:256
	s_mov_b32 s27, 0
	s_waitcnt lgkmcnt(0)
	s_sub_i32 s26, s26, s13
	s_cmp_le_i32 s26, s25
	v_cmp_ge_i32_e32 vcc, s24, v8
	s_cselect_b64 s[28:29], -1, 0
	s_and_b64 s[28:29], s[28:29], vcc
	s_andn2_b64 vcc, exec, s[28:29]
	s_waitcnt vmcnt(0)
	ds_write_b64 v15, v[6:7]
	s_cbranch_vccnz .LBB42_21
; %bb.10:                               ;   in Loop: Header=BB42_8 Depth=1
	s_mov_b32 s34, 0
	s_mov_b32 s35, 0
.LBB42_11:                              ;   Parent Loop BB42_8 Depth=1
                                        ; =>  This Inner Loop Header: Depth=2
	s_ashr_i32 s27, s26, 31
	s_lshl_b64 s[28:29], s[26:27], 2
	s_add_u32 s28, s18, s28
	s_addc_u32 s29, s19, s29
	s_load_dword s27, s[28:29], 0x0
	s_lshl_b32 s28, s35, 2
	v_mov_b32_e32 v6, s28
	ds_read_b32 v6, v6 offset:256
	s_mov_b64 s[28:29], -1
	s_waitcnt lgkmcnt(0)
	s_sub_i32 s39, s27, s13
                                        ; implicit-def: $sgpr27
                                        ; implicit-def: $sgpr38
                                        ; implicit-def: $sgpr37
	v_cmp_ge_i32_e32 vcc, s39, v6
	v_readfirstlane_b32 s36, v6
	s_cbranch_vccz .LBB42_17
; %bb.12:                               ;   in Loop: Header=BB42_11 Depth=2
	s_cmp_le_i32 s39, s36
                                        ; implicit-def: $sgpr27
                                        ; implicit-def: $sgpr38
                                        ; implicit-def: $sgpr37
	s_cbranch_scc0 .LBB42_14
; %bb.13:                               ;   in Loop: Header=BB42_11 Depth=2
	s_add_i32 s27, s35, s31
	s_mul_i32 s27, s27, 9
	s_lshl_b32 s28, s34, 2
	v_mov_b32_e32 v7, s27
	s_mul_i32 s27, s26, 9
	v_mov_b32_e32 v6, s28
	v_mov_b32_e32 v8, s27
	ds_write2_b32 v6, v8, v7 offset1:32
	s_add_i32 s37, s35, 1
	s_add_i32 s38, s26, 1
	;; [unrolled: 1-line block ×3, first 2 shown]
	s_mov_b64 s[28:29], 0
.LBB42_14:                              ;   in Loop: Header=BB42_11 Depth=2
	s_andn2_b64 vcc, exec, s[28:29]
	s_cbranch_vccnz .LBB42_16
; %bb.15:                               ;   in Loop: Header=BB42_11 Depth=2
	s_add_i32 s37, s35, 1
	s_mov_b32 s27, s34
	s_mov_b32 s38, s26
.LBB42_16:                              ;   in Loop: Header=BB42_11 Depth=2
	s_mov_b64 s[28:29], 0
.LBB42_17:                              ;   in Loop: Header=BB42_11 Depth=2
	s_andn2_b64 vcc, exec, s[28:29]
	s_cbranch_vccnz .LBB42_19
; %bb.18:                               ;   in Loop: Header=BB42_11 Depth=2
	s_add_i32 s38, s26, 1
	s_mov_b32 s37, s35
	s_mov_b32 s27, s34
.LBB42_19:                              ;   in Loop: Header=BB42_11 Depth=2
	s_cmp_le_i32 s38, s25
	s_cselect_b64 s[28:29], -1, 0
	s_cmp_le_i32 s36, s24
	s_cselect_b64 s[34:35], -1, 0
	s_and_b64 s[28:29], s[28:29], s[34:35]
	s_and_b64 vcc, exec, s[28:29]
	s_cbranch_vccz .LBB42_21
; %bb.20:                               ;   in Loop: Header=BB42_11 Depth=2
	s_mov_b32 s34, s27
	s_mov_b32 s26, s38
	;; [unrolled: 1-line block ×3, first 2 shown]
	s_branch .LBB42_11
.LBB42_21:                              ;   in Loop: Header=BB42_8 Depth=1
	s_add_u32 s2, s10, s2
	s_addc_u32 s3, s11, s3
	s_waitcnt lgkmcnt(0)
.LBB42_22:                              ;   Parent Loop BB42_8 Depth=1
                                        ; =>  This Inner Loop Header: Depth=2
	global_load_dword v6, v2, s[2:3] glc
	s_waitcnt vmcnt(0)
	v_cmp_eq_u32_e32 vcc, 0, v6
	s_cbranch_vccnz .LBB42_22
; %bb.23:                               ;   in Loop: Header=BB42_8 Depth=1
	v_mad_u64_u32 v[6:7], s[2:3], s25, 9, v[3:4]
	v_mov_b32_e32 v8, s21
	buffer_wbinvl1_vol
	v_ashrrev_i32_e32 v7, 31, v6
	v_lshlrev_b64 v[6:7], 3, v[6:7]
	v_mov_b32_e32 v9, 0
	v_add_co_u32_e32 v6, vcc, s20, v6
	v_addc_co_u32_e32 v7, vcc, v8, v7, vcc
	global_load_dwordx2 v[6:7], v[6:7], off
	s_cmp_lt_i32 s27, 2
	v_mov_b32_e32 v8, 0
	s_waitcnt vmcnt(0)
	ds_write_b64 v16, v[6:7]
	s_waitcnt lgkmcnt(0)
	s_cbranch_scc1 .LBB42_31
; %bb.24:                               ;   in Loop: Header=BB42_8 Depth=1
	s_add_i32 s24, s27, -1
	v_mov_b32_e32 v21, 0
	s_mov_b32 s25, 0
	v_mov_b32_e32 v20, 0
.LBB42_25:                              ;   Parent Loop BB42_8 Depth=1
                                        ; =>  This Inner Loop Header: Depth=2
	s_waitcnt lgkmcnt(0)
	v_mov_b32_e32 v6, s25
	ds_read2_b32 v[6:7], v6 offset1:32
	s_mov_b64 s[2:3], -1
	s_and_b64 vcc, exec, s[4:5]
                                        ; implicit-def: $vgpr9
	s_cbranch_vccz .LBB42_28
; %bb.26:                               ;   in Loop: Header=BB42_25 Depth=2
	s_waitcnt lgkmcnt(0)
	v_add_u32_e32 v8, v6, v0
	v_ashrrev_i32_e32 v9, 31, v8
	v_lshlrev_b64 v[22:23], 3, v[8:9]
	v_add_u32_e32 v24, v7, v1
	v_ashrrev_i32_e32 v25, 31, v24
	v_mov_b32_e32 v9, s21
	v_add_co_u32_e32 v22, vcc, s20, v22
	v_lshlrev_b64 v[25:26], 3, v[24:25]
	v_add_u32_e32 v27, 3, v8
	v_addc_co_u32_e32 v23, vcc, v9, v23, vcc
	v_ashrrev_i32_e32 v28, 31, v27
	v_add_co_u32_e32 v25, vcc, s20, v25
	v_lshlrev_b64 v[27:28], 3, v[27:28]
	v_add_u32_e32 v29, 3, v24
	v_addc_co_u32_e32 v26, vcc, v9, v26, vcc
	v_ashrrev_i32_e32 v30, 31, v29
	v_add_co_u32_e32 v27, vcc, s20, v27
	v_lshlrev_b64 v[29:30], 3, v[29:30]
	v_addc_co_u32_e32 v28, vcc, v9, v28, vcc
	v_add_co_u32_e32 v29, vcc, s20, v29
	v_add_u32_e32 v8, 6, v8
	v_addc_co_u32_e32 v30, vcc, v9, v30, vcc
	v_ashrrev_i32_e32 v9, 31, v8
	v_lshlrev_b64 v[8:9], 3, v[8:9]
	global_load_dwordx2 v[31:32], v[22:23], off
	global_load_dwordx2 v[33:34], v[25:26], off
	global_load_dwordx2 v[35:36], v[27:28], off
	global_load_dwordx2 v[37:38], v[29:30], off
	v_mov_b32_e32 v22, s21
	v_add_co_u32_e32 v8, vcc, s20, v8
	v_addc_co_u32_e32 v9, vcc, v22, v9, vcc
	v_add_u32_e32 v22, 6, v24
	v_ashrrev_i32_e32 v23, 31, v22
	v_lshlrev_b64 v[22:23], 3, v[22:23]
	v_mov_b32_e32 v24, s21
	v_add_co_u32_e32 v22, vcc, s20, v22
	v_addc_co_u32_e32 v23, vcc, v24, v23, vcc
	global_load_dwordx2 v[24:25], v[8:9], off
	global_load_dwordx2 v[26:27], v[22:23], off
	s_waitcnt vmcnt(4)
	v_fma_f32 v8, v31, v33, v20
	v_fma_f32 v9, v32, v33, v21
	v_fmac_f32_e32 v8, v32, v34
	v_fma_f32 v9, v31, -v34, v9
	s_waitcnt vmcnt(2)
	v_fmac_f32_e32 v8, v35, v37
	v_fmac_f32_e32 v9, v36, v37
	;; [unrolled: 1-line block ×3, first 2 shown]
	v_fma_f32 v9, v35, -v38, v9
	s_waitcnt vmcnt(0)
	v_fmac_f32_e32 v8, v24, v26
	v_fmac_f32_e32 v9, v25, v26
	;; [unrolled: 1-line block ×3, first 2 shown]
	v_fma_f32 v9, v24, -v27, v9
	s_cbranch_execz .LBB42_29
.LBB42_27:                              ;   in Loop: Header=BB42_25 Depth=2
	s_add_i32 s24, s24, -1
	s_add_i32 s25, s25, 4
	s_cmp_eq_u32 s24, 0
	s_cbranch_scc0 .LBB42_30
	s_branch .LBB42_31
.LBB42_28:                              ;   in Loop: Header=BB42_25 Depth=2
	s_andn2_b64 vcc, exec, s[2:3]
	s_cbranch_vccnz .LBB42_27
.LBB42_29:                              ;   in Loop: Header=BB42_25 Depth=2
	v_mul_u32_u24_e32 v8, 3, v0
	s_waitcnt lgkmcnt(0)
	v_add_u32_e32 v8, v6, v8
	v_ashrrev_i32_e32 v9, 31, v8
	v_lshlrev_b64 v[8:9], 3, v[8:9]
	v_mov_b32_e32 v6, s21
	v_add_co_u32_e32 v26, vcc, s20, v8
	v_addc_co_u32_e32 v27, vcc, v6, v9, vcc
	v_add_u32_e32 v6, v7, v13
	v_ashrrev_i32_e32 v7, 31, v6
	v_lshlrev_b64 v[6:7], 3, v[6:7]
	v_mov_b32_e32 v8, s21
	v_add_co_u32_e32 v28, vcc, s20, v6
	v_addc_co_u32_e32 v29, vcc, v8, v7, vcc
	global_load_dwordx4 v[6:9], v[26:27], off
	global_load_dwordx4 v[22:25], v[28:29], off
	global_load_dwordx2 v[30:31], v[28:29], off offset:16
	global_load_dwordx2 v[32:33], v[26:27], off offset:16
	s_waitcnt vmcnt(2)
	v_fmac_f32_e32 v20, v6, v22
	v_fmac_f32_e32 v21, v7, v22
	;; [unrolled: 1-line block ×3, first 2 shown]
	v_fma_f32 v6, v6, -v23, v21
	v_fmac_f32_e32 v20, v8, v24
	v_fmac_f32_e32 v6, v9, v24
	;; [unrolled: 1-line block ×3, first 2 shown]
	v_fma_f32 v6, v8, -v25, v6
	s_waitcnt vmcnt(0)
	v_fmac_f32_e32 v20, v32, v30
	v_fmac_f32_e32 v6, v33, v30
	;; [unrolled: 1-line block ×3, first 2 shown]
	v_fma_f32 v9, v32, -v31, v6
	v_mov_b32_e32 v8, v20
	s_add_i32 s24, s24, -1
	s_add_i32 s25, s25, 4
	s_cmp_eq_u32 s24, 0
	s_cbranch_scc1 .LBB42_31
.LBB42_30:                              ;   in Loop: Header=BB42_25 Depth=2
	v_mov_b32_e32 v21, v9
	v_mov_b32_e32 v20, v8
	s_branch .LBB42_25
.LBB42_31:                              ;   in Loop: Header=BB42_8 Depth=1
	ds_write_b64 v18, v[8:9]
	s_waitcnt lgkmcnt(0)
	ds_read_b64 v[8:9], v2 offset:384
	ds_read_b64 v[6:7], v14
	s_waitcnt lgkmcnt(1)
	v_cmp_neq_f32_e32 vcc, 0, v8
	v_cmp_neq_f32_e64 s[2:3], 0, v9
	s_or_b64 vcc, vcc, s[2:3]
	v_cndmask_b32_e32 v8, 1.0, v8, vcc
	s_nor_b64 s[24:25], vcc, s[0:1]
	v_cndmask_b32_e32 v9, 0, v9, vcc
	s_and_saveexec_b64 s[2:3], s[24:25]
	s_cbranch_execz .LBB42_35
; %bb.32:                               ;   in Loop: Header=BB42_8 Depth=1
	v_mbcnt_lo_u32_b32 v8, exec_lo, 0
	v_mbcnt_hi_u32_b32 v8, exec_hi, v8
	v_cmp_eq_u32_e32 vcc, 0, v8
	s_and_saveexec_b64 s[24:25], vcc
	s_cbranch_execz .LBB42_34
; %bb.33:                               ;   in Loop: Header=BB42_8 Depth=1
	v_mov_b32_e32 v8, s23
	global_atomic_smin v2, v8, s[14:15]
.LBB42_34:                              ;   in Loop: Header=BB42_8 Depth=1
	s_or_b64 exec, exec, s[24:25]
	v_mov_b32_e32 v9, 0
	v_mov_b32_e32 v8, 1.0
.LBB42_35:                              ;   in Loop: Header=BB42_8 Depth=1
	s_or_b64 exec, exec, s[2:3]
	v_mul_f32_e32 v22, v9, v9
	v_fmac_f32_e32 v22, v8, v8
	v_div_scale_f32 v20, s[2:3], v22, v22, 1.0
	v_div_scale_f32 v21, vcc, 1.0, v22, 1.0
	v_rcp_f32_e32 v23, v20
	v_fma_f32 v24, -v20, v23, 1.0
	v_fmac_f32_e32 v23, v24, v23
	v_mul_f32_e32 v24, v21, v23
	v_fma_f32 v25, -v20, v24, v21
	v_fmac_f32_e32 v24, v25, v23
	v_fma_f32 v20, -v20, v24, v21
	v_div_fmas_f32 v23, v20, v23, v24
	ds_read_b64 v[20:21], v17
	s_waitcnt lgkmcnt(0)
	v_sub_f32_e32 v6, v6, v20
	v_sub_f32_e32 v7, v7, v21
	v_mul_f32_e32 v20, v9, v7
	v_mul_f32_e64 v9, v9, -v6
	v_fmac_f32_e32 v20, v6, v8
	v_fmac_f32_e32 v9, v7, v8
	v_div_fixup_f32 v7, v23, v22, 1.0
	v_mul_f32_e32 v6, v7, v20
	v_mul_f32_e32 v7, v7, v9
	ds_write_b64 v14, v[6:7]
	s_waitcnt lgkmcnt(0)
	ds_read_b64 v[8:9], v19
	ds_read_b64 v[20:21], v11
	s_waitcnt lgkmcnt(0)
	v_fma_f32 v20, v6, v8, v20
	v_fmac_f32_e32 v21, v7, v8
	v_fmac_f32_e32 v20, v7, v9
	v_fma_f32 v21, v6, -v9, v21
	ds_write_b64 v11, v[20:21]
	s_waitcnt lgkmcnt(0)
	ds_read_b64 v[8:9], v2 offset:424
	ds_read_b64 v[6:7], v14 offset:8
	s_waitcnt lgkmcnt(1)
	v_cmp_neq_f32_e32 vcc, 0, v8
	v_cmp_neq_f32_e64 s[2:3], 0, v9
	s_or_b64 vcc, vcc, s[2:3]
	v_cndmask_b32_e32 v8, 1.0, v8, vcc
	s_nor_b64 s[24:25], vcc, s[0:1]
	v_cndmask_b32_e32 v9, 0, v9, vcc
	s_and_saveexec_b64 s[2:3], s[24:25]
	s_cbranch_execz .LBB42_39
; %bb.36:                               ;   in Loop: Header=BB42_8 Depth=1
	v_mbcnt_lo_u32_b32 v8, exec_lo, 0
	v_mbcnt_hi_u32_b32 v8, exec_hi, v8
	v_cmp_eq_u32_e32 vcc, 0, v8
	s_and_saveexec_b64 s[24:25], vcc
	s_cbranch_execz .LBB42_38
; %bb.37:                               ;   in Loop: Header=BB42_8 Depth=1
	v_mov_b32_e32 v8, s23
	global_atomic_smin v2, v8, s[14:15]
.LBB42_38:                              ;   in Loop: Header=BB42_8 Depth=1
	s_or_b64 exec, exec, s[24:25]
	v_mov_b32_e32 v9, 0
	v_mov_b32_e32 v8, 1.0
.LBB42_39:                              ;   in Loop: Header=BB42_8 Depth=1
	s_or_b64 exec, exec, s[2:3]
	v_mul_f32_e32 v26, v9, v9
	v_fmac_f32_e32 v26, v8, v8
	v_div_scale_f32 v20, s[2:3], v26, v26, 1.0
	v_div_scale_f32 v21, vcc, 1.0, v26, 1.0
	v_rcp_f32_e32 v22, v20
	v_fma_f32 v23, -v20, v22, 1.0
	v_fmac_f32_e32 v22, v23, v22
	v_mul_f32_e32 v23, v21, v22
	v_fma_f32 v24, -v20, v23, v21
	v_fmac_f32_e32 v23, v24, v22
	v_fma_f32 v20, -v20, v23, v21
	v_div_fmas_f32 v27, v20, v22, v23
	ds_read_b64 v[20:21], v2 offset:416
	ds_read_b64 v[22:23], v14
	ds_read_b64 v[24:25], v17 offset:8
	s_waitcnt lgkmcnt(0)
	v_fma_f32 v25, v21, v22, v25
	v_fmac_f32_e32 v24, v20, v22
	v_fma_f32 v20, v20, -v23, v25
	v_fmac_f32_e32 v24, v21, v23
	v_sub_f32_e32 v6, v6, v24
	v_sub_f32_e32 v7, v7, v20
	v_mul_f32_e32 v20, v9, v7
	v_mul_f32_e64 v9, v9, -v6
	v_fmac_f32_e32 v20, v6, v8
	v_fmac_f32_e32 v9, v7, v8
	v_div_fixup_f32 v7, v27, v26, 1.0
	v_mul_f32_e32 v6, v7, v20
	v_mul_f32_e32 v7, v7, v9
	ds_write_b64 v14, v[6:7] offset:8
	s_waitcnt lgkmcnt(0)
	ds_read_b64 v[8:9], v19 offset:8
	ds_read_b64 v[20:21], v11
	s_waitcnt lgkmcnt(0)
	v_fma_f32 v20, v6, v8, v20
	v_fmac_f32_e32 v21, v7, v8
	v_fmac_f32_e32 v20, v7, v9
	v_fma_f32 v21, v6, -v9, v21
	ds_write_b64 v11, v[20:21]
	s_waitcnt lgkmcnt(0)
	ds_read_b64 v[8:9], v2 offset:464
	ds_read_b64 v[6:7], v14 offset:16
	s_waitcnt lgkmcnt(1)
	v_cmp_neq_f32_e32 vcc, 0, v8
	v_cmp_neq_f32_e64 s[2:3], 0, v9
	s_or_b64 vcc, vcc, s[2:3]
	v_cndmask_b32_e32 v8, 1.0, v8, vcc
	s_nor_b64 s[24:25], vcc, s[0:1]
	v_cndmask_b32_e32 v9, 0, v9, vcc
	s_and_saveexec_b64 s[2:3], s[24:25]
	s_cbranch_execz .LBB42_7
; %bb.40:                               ;   in Loop: Header=BB42_8 Depth=1
	v_mbcnt_lo_u32_b32 v8, exec_lo, 0
	v_mbcnt_hi_u32_b32 v8, exec_hi, v8
	v_cmp_eq_u32_e32 vcc, 0, v8
	s_and_saveexec_b64 s[24:25], vcc
	s_cbranch_execz .LBB42_6
; %bb.41:                               ;   in Loop: Header=BB42_8 Depth=1
	v_mov_b32_e32 v8, s23
	global_atomic_smin v2, v8, s[14:15]
	s_branch .LBB42_6
.LBB42_42:                              ;   in Loop: Header=BB42_8 Depth=1
                                        ; implicit-def: $sgpr22
	s_cbranch_execz .LBB42_8
.LBB42_43:
	s_cmp_lg_u32 s33, 0
	s_cselect_b64 s[8:9], -1, 0
	s_cmp_eq_u32 s33, 0
	v_mov_b32_e32 v2, v10
	s_cbranch_scc1 .LBB42_45
; %bb.44:
	v_mad_u32_u24 v2, v0, 3, v1
.LBB42_45:
	s_mul_i32 s30, s30, 9
	v_add_u32_e32 v2, s30, v2
	v_ashrrev_i32_e32 v3, 31, v2
	v_lshlrev_b64 v[2:3], 3, v[2:3]
	v_mov_b32_e32 v4, s21
	v_add_co_u32_e32 v2, vcc, s20, v2
	v_addc_co_u32_e32 v3, vcc, v4, v3, vcc
	global_load_dwordx2 v[4:5], v[2:3], off
	v_mov_b32_e32 v2, 0x240
	v_lshl_add_u32 v3, v1, 5, v2
	v_cmp_ne_u32_e64 s[2:3], 0, v1
	v_lshl_add_u32 v2, v0, 3, v3
	v_cmp_eq_u32_e32 vcc, 0, v1
	s_waitcnt vmcnt(0)
	ds_write_b64 v2, v[4:5]
	s_waitcnt lgkmcnt(0)
	s_and_saveexec_b64 s[4:5], vcc
	s_cbranch_execz .LBB42_55
; %bb.46:
	v_mov_b32_e32 v6, 0
	ds_read2_b64 v[13:16], v6 offset0:72 offset1:84
	s_waitcnt lgkmcnt(0)
	v_sub_f32_e32 v4, v13, v15
	v_sub_f32_e32 v7, v14, v16
	v_cmp_gt_f32_e32 vcc, 0, v4
	v_cndmask_b32_e64 v4, v4, -v4, vcc
	v_cmp_gt_f32_e32 vcc, 0, v7
	v_cndmask_b32_e64 v5, v7, -v7, vcc
	v_cmp_ngt_f32_e32 vcc, v4, v5
	s_cbranch_vccz .LBB42_52
; %bb.47:
	v_cmp_eq_f32_e32 vcc, 0, v7
	s_cbranch_vccnz .LBB42_49
; %bb.48:
	v_div_scale_f32 v6, s[0:1], v5, v5, v4
	v_div_scale_f32 v7, vcc, v4, v5, v4
	s_mov_b32 s0, 0xf800000
	v_rcp_f32_e32 v8, v6
	v_fma_f32 v9, -v6, v8, 1.0
	v_fmac_f32_e32 v8, v9, v8
	v_mul_f32_e32 v9, v7, v8
	v_fma_f32 v13, -v6, v9, v7
	v_fmac_f32_e32 v9, v13, v8
	v_fma_f32 v6, -v6, v9, v7
	v_div_fmas_f32 v6, v6, v8, v9
	v_mov_b32_e32 v8, 0x260
	v_div_fixup_f32 v6, v6, v5, v4
	v_fma_f32 v6, v6, v6, 1.0
	v_mul_f32_e32 v7, 0x4f800000, v6
	v_cmp_gt_f32_e32 vcc, s0, v6
	v_cndmask_b32_e32 v6, v6, v7, vcc
	v_sqrt_f32_e32 v7, v6
	v_add_u32_e32 v9, -1, v7
	v_add_u32_e32 v13, 1, v7
	v_fma_f32 v14, -v9, v7, v6
	v_fma_f32 v15, -v13, v7, v6
	v_cmp_ge_f32_e64 s[0:1], 0, v14
	v_cndmask_b32_e64 v7, v7, v9, s[0:1]
	v_cmp_lt_f32_e64 s[0:1], 0, v15
	v_cndmask_b32_e64 v7, v7, v13, s[0:1]
	v_mul_f32_e32 v9, 0x37800000, v7
	v_cndmask_b32_e32 v7, v7, v9, vcc
	v_cmp_class_f32_e32 vcc, v6, v8
	v_cndmask_b32_e32 v6, v7, v6, vcc
	v_mul_f32_e32 v6, v5, v6
.LBB42_49:
	s_cbranch_execz .LBB42_53
	s_branch .LBB42_54
.LBB42_50:
	s_cbranch_execnz .LBB42_92
.LBB42_51:
	s_endpgm
.LBB42_52:
                                        ; implicit-def: $vgpr6
.LBB42_53:
	v_div_scale_f32 v6, s[0:1], v4, v4, v5
	v_div_scale_f32 v7, vcc, v5, v4, v5
	s_mov_b32 s0, 0xf800000
	v_rcp_f32_e32 v8, v6
	v_fma_f32 v9, -v6, v8, 1.0
	v_fmac_f32_e32 v8, v9, v8
	v_mul_f32_e32 v9, v7, v8
	v_fma_f32 v13, -v6, v9, v7
	v_fmac_f32_e32 v9, v13, v8
	v_fma_f32 v6, -v6, v9, v7
	v_div_fmas_f32 v6, v6, v8, v9
	v_mov_b32_e32 v7, 0x260
	v_div_fixup_f32 v5, v6, v4, v5
	v_fma_f32 v5, v5, v5, 1.0
	v_mul_f32_e32 v6, 0x4f800000, v5
	v_cmp_gt_f32_e32 vcc, s0, v5
	v_cndmask_b32_e32 v5, v5, v6, vcc
	v_sqrt_f32_e32 v6, v5
	v_add_u32_e32 v8, -1, v6
	v_add_u32_e32 v9, 1, v6
	v_fma_f32 v13, -v8, v6, v5
	v_fma_f32 v14, -v9, v6, v5
	v_cmp_ge_f32_e64 s[0:1], 0, v13
	v_cndmask_b32_e64 v6, v6, v8, s[0:1]
	v_cmp_lt_f32_e64 s[0:1], 0, v14
	v_cndmask_b32_e64 v6, v6, v9, s[0:1]
	v_mul_f32_e32 v8, 0x37800000, v6
	v_cndmask_b32_e32 v6, v6, v8, vcc
	v_cmp_class_f32_e32 vcc, v5, v7
	v_cndmask_b32_e32 v5, v6, v5, vcc
	v_mul_f32_e32 v6, v4, v5
.LBB42_54:
	s_mov_b32 s0, 0xf800000
	v_mul_f32_e32 v4, 0x4f800000, v6
	v_cmp_gt_f32_e32 vcc, s0, v6
	v_cndmask_b32_e32 v4, v6, v4, vcc
	v_sqrt_f32_e32 v5, v4
	v_add_u32_e32 v6, -1, v5
	v_fma_f32 v7, -v6, v5, v4
	v_cmp_ge_f32_e64 s[0:1], 0, v7
	v_add_u32_e32 v7, 1, v5
	v_cndmask_b32_e64 v6, v5, v6, s[0:1]
	v_fma_f32 v5, -v7, v5, v4
	v_cmp_lt_f32_e64 s[0:1], 0, v5
	v_cndmask_b32_e64 v5, v6, v7, s[0:1]
	v_mul_f32_e32 v6, 0x37800000, v5
	v_cndmask_b32_e32 v5, v5, v6, vcc
	v_mov_b32_e32 v6, 0x260
	v_cmp_class_f32_e32 vcc, v4, v6
	v_cndmask_b32_e32 v4, v5, v4, vcc
	v_mov_b32_e32 v5, 0
	ds_write_b64 v5, v[4:5] offset:576
.LBB42_55:
	s_or_b64 exec, exec, s[4:5]
	v_mov_b32_e32 v4, 0
	s_waitcnt lgkmcnt(0)
	ds_read_b64 v[6:7], v4 offset:576
	v_or_b32_e32 v4, v0, v1
	v_cmp_ne_u32_e64 s[0:1], 0, v4
	s_add_i32 s18, s12, s13
	s_waitcnt lgkmcnt(0)
	v_cmp_neq_f32_e32 vcc, 0, v6
	v_cmp_neq_f32_e64 s[4:5], 0, v7
	s_or_b64 vcc, vcc, s[4:5]
	v_cndmask_b32_e32 v6, 1.0, v6, vcc
	s_nor_b64 s[16:17], vcc, s[0:1]
	v_cndmask_b32_e32 v7, 0, v7, vcc
	s_and_saveexec_b64 s[4:5], s[16:17]
	s_cbranch_execz .LBB42_59
; %bb.56:
	v_mbcnt_lo_u32_b32 v5, exec_lo, 0
	v_mbcnt_hi_u32_b32 v5, exec_hi, v5
	v_cmp_eq_u32_e32 vcc, 0, v5
	s_and_saveexec_b64 s[16:17], vcc
	s_cbranch_execz .LBB42_58
; %bb.57:
	v_mov_b32_e32 v5, 0
	v_mov_b32_e32 v6, s18
	global_atomic_smin v5, v6, s[14:15]
.LBB42_58:
	s_or_b64 exec, exec, s[16:17]
	v_mov_b32_e32 v7, 0
	v_mov_b32_e32 v6, 1.0
.LBB42_59:
	s_or_b64 exec, exec, s[4:5]
	v_mov_b32_e32 v5, 0x240
	v_lshl_add_u32 v5, v0, 5, v5
	s_and_saveexec_b64 s[4:5], s[2:3]
	s_cbranch_execz .LBB42_61
; %bb.60:
	v_mul_f32_e32 v15, v7, v7
	v_fmac_f32_e32 v15, v6, v6
	v_div_scale_f32 v8, s[2:3], v15, v15, 1.0
	v_div_scale_f32 v9, vcc, 1.0, v15, 1.0
	v_rcp_f32_e32 v13, v8
	v_fma_f32 v14, -v8, v13, 1.0
	v_fmac_f32_e32 v13, v14, v13
	v_mul_f32_e32 v14, v9, v13
	v_fma_f32 v16, -v8, v14, v9
	v_fmac_f32_e32 v14, v16, v13
	v_fma_f32 v8, -v8, v14, v9
	v_div_fmas_f32 v16, v8, v13, v14
	ds_read_b64 v[8:9], v3
	ds_read_b64 v[13:14], v12
	s_waitcnt lgkmcnt(0)
	v_sub_f32_e32 v8, v8, v13
	v_sub_f32_e32 v9, v9, v14
	v_mul_f32_e32 v13, v7, v9
	v_mul_f32_e64 v7, v7, -v8
	v_fmac_f32_e32 v13, v8, v6
	v_fmac_f32_e32 v7, v9, v6
	v_div_fixup_f32 v8, v16, v15, 1.0
	v_mul_f32_e32 v6, v8, v13
	v_mul_f32_e32 v7, v8, v7
	ds_write_b64 v3, v[6:7]
	s_waitcnt lgkmcnt(0)
	ds_read_b64 v[8:9], v5
	ds_read_b64 v[13:14], v11
	s_waitcnt lgkmcnt(0)
	v_fma_f32 v13, v6, v8, v13
	v_fmac_f32_e32 v14, v7, v8
	v_fmac_f32_e32 v13, v7, v9
	v_fma_f32 v14, v6, -v9, v14
	ds_write_b64 v11, v[13:14]
.LBB42_61:
	s_or_b64 exec, exec, s[4:5]
	v_cmp_eq_u32_e32 vcc, 1, v1
	s_waitcnt lgkmcnt(0)
	s_and_saveexec_b64 s[4:5], vcc
	s_cbranch_execz .LBB42_69
; %bb.62:
	v_mov_b32_e32 v8, 0
	ds_read2_b64 v[13:16], v8 offset0:77 offset1:89
	s_waitcnt lgkmcnt(0)
	v_sub_f32_e32 v6, v13, v15
	v_sub_f32_e32 v9, v14, v16
	v_cmp_gt_f32_e32 vcc, 0, v6
	v_cndmask_b32_e64 v6, v6, -v6, vcc
	v_cmp_gt_f32_e32 vcc, 0, v9
	v_cndmask_b32_e64 v7, v9, -v9, vcc
	v_cmp_gt_f32_e32 vcc, v6, v7
	s_cbranch_vccnz .LBB42_66
; %bb.63:
	v_cmp_eq_f32_e32 vcc, 0, v9
	s_cbranch_vccnz .LBB42_65
; %bb.64:
	v_div_scale_f32 v8, s[2:3], v7, v7, v6
	v_div_scale_f32 v9, vcc, v6, v7, v6
	s_mov_b32 s2, 0xf800000
	v_rcp_f32_e32 v13, v8
	v_fma_f32 v14, -v8, v13, 1.0
	v_fmac_f32_e32 v13, v14, v13
	v_mul_f32_e32 v14, v9, v13
	v_fma_f32 v15, -v8, v14, v9
	v_fmac_f32_e32 v14, v15, v13
	v_fma_f32 v8, -v8, v14, v9
	v_div_fmas_f32 v8, v8, v13, v14
	v_mov_b32_e32 v13, 0x260
	v_div_fixup_f32 v8, v8, v7, v6
	v_fma_f32 v8, v8, v8, 1.0
	v_mul_f32_e32 v9, 0x4f800000, v8
	v_cmp_gt_f32_e32 vcc, s2, v8
	v_cndmask_b32_e32 v8, v8, v9, vcc
	v_sqrt_f32_e32 v9, v8
	v_add_u32_e32 v14, -1, v9
	v_add_u32_e32 v15, 1, v9
	v_fma_f32 v16, -v14, v9, v8
	v_fma_f32 v17, -v15, v9, v8
	v_cmp_ge_f32_e64 s[2:3], 0, v16
	v_cndmask_b32_e64 v9, v9, v14, s[2:3]
	v_cmp_lt_f32_e64 s[2:3], 0, v17
	v_cndmask_b32_e64 v9, v9, v15, s[2:3]
	v_mul_f32_e32 v14, 0x37800000, v9
	v_cndmask_b32_e32 v9, v9, v14, vcc
	v_cmp_class_f32_e32 vcc, v8, v13
	v_cndmask_b32_e32 v8, v9, v8, vcc
	v_mul_f32_e32 v8, v7, v8
.LBB42_65:
	s_cbranch_execz .LBB42_67
	s_branch .LBB42_68
.LBB42_66:
                                        ; implicit-def: $vgpr8
.LBB42_67:
	v_div_scale_f32 v8, s[2:3], v6, v6, v7
	v_div_scale_f32 v9, vcc, v7, v6, v7
	s_mov_b32 s2, 0xf800000
	v_rcp_f32_e32 v13, v8
	v_fma_f32 v14, -v8, v13, 1.0
	v_fmac_f32_e32 v13, v14, v13
	v_mul_f32_e32 v14, v9, v13
	v_fma_f32 v15, -v8, v14, v9
	v_fmac_f32_e32 v14, v15, v13
	v_fma_f32 v8, -v8, v14, v9
	v_div_fmas_f32 v8, v8, v13, v14
	v_mov_b32_e32 v9, 0x260
	v_div_fixup_f32 v7, v8, v6, v7
	v_fma_f32 v7, v7, v7, 1.0
	v_mul_f32_e32 v8, 0x4f800000, v7
	v_cmp_gt_f32_e32 vcc, s2, v7
	v_cndmask_b32_e32 v7, v7, v8, vcc
	v_sqrt_f32_e32 v8, v7
	v_add_u32_e32 v13, -1, v8
	v_add_u32_e32 v14, 1, v8
	v_fma_f32 v15, -v13, v8, v7
	v_fma_f32 v16, -v14, v8, v7
	v_cmp_ge_f32_e64 s[2:3], 0, v15
	v_cndmask_b32_e64 v8, v8, v13, s[2:3]
	v_cmp_lt_f32_e64 s[2:3], 0, v16
	v_cndmask_b32_e64 v8, v8, v14, s[2:3]
	v_mul_f32_e32 v13, 0x37800000, v8
	v_cndmask_b32_e32 v8, v8, v13, vcc
	v_cmp_class_f32_e32 vcc, v7, v9
	v_cndmask_b32_e32 v7, v8, v7, vcc
	v_mul_f32_e32 v8, v6, v7
.LBB42_68:
	s_mov_b32 s2, 0xf800000
	v_mul_f32_e32 v6, 0x4f800000, v8
	v_cmp_gt_f32_e32 vcc, s2, v8
	v_cndmask_b32_e32 v6, v8, v6, vcc
	v_sqrt_f32_e32 v7, v6
	v_add_u32_e32 v8, -1, v7
	v_fma_f32 v9, -v8, v7, v6
	v_cmp_ge_f32_e64 s[2:3], 0, v9
	v_add_u32_e32 v9, 1, v7
	v_cndmask_b32_e64 v8, v7, v8, s[2:3]
	v_fma_f32 v7, -v9, v7, v6
	v_cmp_lt_f32_e64 s[2:3], 0, v7
	v_cndmask_b32_e64 v7, v8, v9, s[2:3]
	v_mul_f32_e32 v8, 0x37800000, v7
	v_cndmask_b32_e32 v7, v7, v8, vcc
	v_mov_b32_e32 v8, 0x260
	v_cmp_class_f32_e32 vcc, v6, v8
	v_cndmask_b32_e32 v6, v7, v6, vcc
	v_mov_b32_e32 v7, 0
	ds_write_b64 v7, v[6:7] offset:616
.LBB42_69:
	s_or_b64 exec, exec, s[4:5]
	v_mov_b32_e32 v6, 0
	s_waitcnt lgkmcnt(0)
	ds_read_b64 v[6:7], v6 offset:616
	s_waitcnt lgkmcnt(0)
	v_cmp_neq_f32_e32 vcc, 0, v6
	v_cmp_neq_f32_e64 s[2:3], 0, v7
	s_or_b64 vcc, vcc, s[2:3]
	v_cndmask_b32_e32 v6, 1.0, v6, vcc
	s_nor_b64 s[4:5], vcc, s[0:1]
	v_cndmask_b32_e32 v7, 0, v7, vcc
	s_and_saveexec_b64 s[2:3], s[4:5]
	s_cbranch_execz .LBB42_73
; %bb.70:
	v_mbcnt_lo_u32_b32 v6, exec_lo, 0
	v_mbcnt_hi_u32_b32 v6, exec_hi, v6
	v_cmp_eq_u32_e32 vcc, 0, v6
	s_and_saveexec_b64 s[4:5], vcc
	s_cbranch_execz .LBB42_72
; %bb.71:
	v_mov_b32_e32 v6, 0
	v_mov_b32_e32 v7, s18
	global_atomic_smin v6, v7, s[14:15]
.LBB42_72:
	s_or_b64 exec, exec, s[4:5]
	v_mov_b32_e32 v7, 0
	v_mov_b32_e32 v6, 1.0
.LBB42_73:
	s_or_b64 exec, exec, s[2:3]
	v_cmp_lt_u32_e32 vcc, 1, v1
	s_and_saveexec_b64 s[2:3], vcc
	s_cbranch_execz .LBB42_75
; %bb.74:
	v_mul_f32_e32 v15, v7, v7
	v_fmac_f32_e32 v15, v6, v6
	v_div_scale_f32 v8, s[4:5], v15, v15, 1.0
	v_div_scale_f32 v9, vcc, 1.0, v15, 1.0
	v_rcp_f32_e32 v13, v8
	v_fma_f32 v14, -v8, v13, 1.0
	v_fmac_f32_e32 v13, v14, v13
	v_mul_f32_e32 v14, v9, v13
	v_fma_f32 v16, -v8, v14, v9
	v_fmac_f32_e32 v14, v16, v13
	v_fma_f32 v8, -v8, v14, v9
	v_div_fmas_f32 v16, v8, v13, v14
	ds_read_b64 v[8:9], v3 offset:8
	ds_read_b64 v[13:14], v12 offset:8
	s_waitcnt lgkmcnt(0)
	v_sub_f32_e32 v8, v8, v13
	v_sub_f32_e32 v9, v9, v14
	v_mul_f32_e32 v13, v7, v9
	v_mul_f32_e64 v7, v7, -v8
	v_fmac_f32_e32 v13, v8, v6
	v_fmac_f32_e32 v7, v9, v6
	v_div_fixup_f32 v8, v16, v15, 1.0
	v_mul_f32_e32 v6, v8, v13
	v_mul_f32_e32 v7, v8, v7
	ds_write_b64 v3, v[6:7] offset:8
	s_waitcnt lgkmcnt(0)
	ds_read_b64 v[8:9], v5 offset:8
	ds_read_b64 v[13:14], v11
	s_waitcnt lgkmcnt(0)
	v_fma_f32 v13, v6, v8, v13
	v_fmac_f32_e32 v14, v7, v8
	v_fmac_f32_e32 v13, v7, v9
	v_fma_f32 v14, v6, -v9, v14
	ds_write_b64 v11, v[13:14]
.LBB42_75:
	s_or_b64 exec, exec, s[2:3]
	v_cmp_eq_u32_e32 vcc, 2, v1
	s_waitcnt lgkmcnt(0)
	s_and_saveexec_b64 s[4:5], vcc
	s_cbranch_execz .LBB42_83
; %bb.76:
	v_mov_b32_e32 v8, 0
	ds_read2_b64 v[13:16], v8 offset0:82 offset1:94
	s_waitcnt lgkmcnt(0)
	v_sub_f32_e32 v6, v13, v15
	v_sub_f32_e32 v9, v14, v16
	v_cmp_gt_f32_e32 vcc, 0, v6
	v_cndmask_b32_e64 v6, v6, -v6, vcc
	v_cmp_gt_f32_e32 vcc, 0, v9
	v_cndmask_b32_e64 v7, v9, -v9, vcc
	v_cmp_gt_f32_e32 vcc, v6, v7
	s_cbranch_vccnz .LBB42_80
; %bb.77:
	v_cmp_eq_f32_e32 vcc, 0, v9
	s_cbranch_vccnz .LBB42_79
; %bb.78:
	v_div_scale_f32 v8, s[2:3], v7, v7, v6
	v_div_scale_f32 v9, vcc, v6, v7, v6
	s_mov_b32 s2, 0xf800000
	v_rcp_f32_e32 v13, v8
	v_fma_f32 v14, -v8, v13, 1.0
	v_fmac_f32_e32 v13, v14, v13
	v_mul_f32_e32 v14, v9, v13
	v_fma_f32 v15, -v8, v14, v9
	v_fmac_f32_e32 v14, v15, v13
	v_fma_f32 v8, -v8, v14, v9
	v_div_fmas_f32 v8, v8, v13, v14
	v_mov_b32_e32 v13, 0x260
	v_div_fixup_f32 v8, v8, v7, v6
	v_fma_f32 v8, v8, v8, 1.0
	v_mul_f32_e32 v9, 0x4f800000, v8
	v_cmp_gt_f32_e32 vcc, s2, v8
	v_cndmask_b32_e32 v8, v8, v9, vcc
	v_sqrt_f32_e32 v9, v8
	v_add_u32_e32 v14, -1, v9
	v_add_u32_e32 v15, 1, v9
	v_fma_f32 v16, -v14, v9, v8
	v_fma_f32 v17, -v15, v9, v8
	v_cmp_ge_f32_e64 s[2:3], 0, v16
	v_cndmask_b32_e64 v9, v9, v14, s[2:3]
	v_cmp_lt_f32_e64 s[2:3], 0, v17
	v_cndmask_b32_e64 v9, v9, v15, s[2:3]
	v_mul_f32_e32 v14, 0x37800000, v9
	v_cndmask_b32_e32 v9, v9, v14, vcc
	v_cmp_class_f32_e32 vcc, v8, v13
	v_cndmask_b32_e32 v8, v9, v8, vcc
	v_mul_f32_e32 v8, v7, v8
.LBB42_79:
	s_cbranch_execz .LBB42_81
	s_branch .LBB42_82
.LBB42_80:
                                        ; implicit-def: $vgpr8
.LBB42_81:
	v_div_scale_f32 v8, s[2:3], v6, v6, v7
	v_div_scale_f32 v9, vcc, v7, v6, v7
	s_mov_b32 s2, 0xf800000
	v_rcp_f32_e32 v13, v8
	v_fma_f32 v14, -v8, v13, 1.0
	v_fmac_f32_e32 v13, v14, v13
	v_mul_f32_e32 v14, v9, v13
	v_fma_f32 v15, -v8, v14, v9
	v_fmac_f32_e32 v14, v15, v13
	v_fma_f32 v8, -v8, v14, v9
	v_div_fmas_f32 v8, v8, v13, v14
	v_mov_b32_e32 v9, 0x260
	v_div_fixup_f32 v7, v8, v6, v7
	v_fma_f32 v7, v7, v7, 1.0
	v_mul_f32_e32 v8, 0x4f800000, v7
	v_cmp_gt_f32_e32 vcc, s2, v7
	v_cndmask_b32_e32 v7, v7, v8, vcc
	v_sqrt_f32_e32 v8, v7
	v_add_u32_e32 v13, -1, v8
	v_add_u32_e32 v14, 1, v8
	v_fma_f32 v15, -v13, v8, v7
	v_fma_f32 v16, -v14, v8, v7
	v_cmp_ge_f32_e64 s[2:3], 0, v15
	v_cndmask_b32_e64 v8, v8, v13, s[2:3]
	v_cmp_lt_f32_e64 s[2:3], 0, v16
	v_cndmask_b32_e64 v8, v8, v14, s[2:3]
	v_mul_f32_e32 v13, 0x37800000, v8
	v_cndmask_b32_e32 v8, v8, v13, vcc
	v_cmp_class_f32_e32 vcc, v7, v9
	v_cndmask_b32_e32 v7, v8, v7, vcc
	v_mul_f32_e32 v8, v6, v7
.LBB42_82:
	s_mov_b32 s2, 0xf800000
	v_mul_f32_e32 v6, 0x4f800000, v8
	v_cmp_gt_f32_e32 vcc, s2, v8
	v_cndmask_b32_e32 v6, v8, v6, vcc
	v_sqrt_f32_e32 v7, v6
	v_add_u32_e32 v8, -1, v7
	v_fma_f32 v9, -v8, v7, v6
	v_cmp_ge_f32_e64 s[2:3], 0, v9
	v_add_u32_e32 v9, 1, v7
	v_cndmask_b32_e64 v8, v7, v8, s[2:3]
	v_fma_f32 v7, -v9, v7, v6
	v_cmp_lt_f32_e64 s[2:3], 0, v7
	v_cndmask_b32_e64 v7, v8, v9, s[2:3]
	v_mul_f32_e32 v8, 0x37800000, v7
	v_cndmask_b32_e32 v7, v7, v8, vcc
	v_mov_b32_e32 v8, 0x260
	v_cmp_class_f32_e32 vcc, v6, v8
	v_cndmask_b32_e32 v6, v7, v6, vcc
	v_mov_b32_e32 v7, 0
	ds_write_b64 v7, v[6:7] offset:656
.LBB42_83:
	s_or_b64 exec, exec, s[4:5]
	v_mov_b32_e32 v6, 0
	s_waitcnt lgkmcnt(0)
	ds_read_b64 v[6:7], v6 offset:656
	s_waitcnt lgkmcnt(0)
	v_cmp_neq_f32_e32 vcc, 0, v6
	v_cmp_neq_f32_e64 s[2:3], 0, v7
	s_or_b64 vcc, vcc, s[2:3]
	v_cndmask_b32_e32 v6, 1.0, v6, vcc
	s_nor_b64 s[2:3], vcc, s[0:1]
	v_cndmask_b32_e32 v7, 0, v7, vcc
	s_and_saveexec_b64 s[0:1], s[2:3]
	s_cbranch_execz .LBB42_96
; %bb.84:
	v_mbcnt_lo_u32_b32 v6, exec_lo, 0
	v_mbcnt_hi_u32_b32 v6, exec_hi, v6
	v_cmp_eq_u32_e32 vcc, 0, v6
	s_and_saveexec_b64 s[2:3], vcc
	s_cbranch_execz .LBB42_86
; %bb.85:
	v_mov_b32_e32 v6, 0
	v_mov_b32_e32 v7, s18
	global_atomic_smin v6, v7, s[14:15]
.LBB42_86:
	s_or_b64 exec, exec, s[2:3]
	v_mov_b32_e32 v7, 0
	v_mov_b32_e32 v6, 1.0
	s_or_b64 exec, exec, s[0:1]
	v_cmp_lt_u32_e32 vcc, 2, v1
	s_and_saveexec_b64 s[0:1], vcc
	s_cbranch_execnz .LBB42_97
.LBB42_87:
	s_or_b64 exec, exec, s[0:1]
	s_andn2_b64 vcc, exec, s[8:9]
	s_cbranch_vccnz .LBB42_89
.LBB42_88:
	v_mad_u32_u24 v10, v0, 3, v1
.LBB42_89:
	v_add_u32_e32 v5, s30, v10
	v_ashrrev_i32_e32 v6, 31, v5
	v_lshlrev_b64 v[5:6], 3, v[5:6]
	ds_read_b64 v[2:3], v2
	v_mov_b32_e32 v7, s21
	v_add_co_u32_e32 v5, vcc, s20, v5
	v_addc_co_u32_e32 v6, vcc, v7, v6, vcc
	v_cmp_eq_u32_e32 vcc, 0, v4
	s_waitcnt lgkmcnt(0)
	global_store_dwordx2 v[5:6], v[2:3], off
	s_and_saveexec_b64 s[0:1], vcc
	s_cbranch_execz .LBB42_91
; %bb.90:
	s_add_u32 s2, s10, s6
	s_addc_u32 s3, s11, s7
	v_mov_b32_e32 v2, 0
	v_mov_b32_e32 v3, 1
	s_waitcnt vmcnt(0)
	global_store_dword v2, v3, s[2:3]
.LBB42_91:
	s_or_b64 exec, exec, s[0:1]
	s_branch .LBB42_51
.LBB42_92:
	v_or_b32_e32 v0, v0, v1
	v_cmp_eq_u32_e32 vcc, 0, v0
	s_and_saveexec_b64 s[0:1], vcc
	s_cbranch_execz .LBB42_51
; %bb.93:
	v_mbcnt_lo_u32_b32 v0, exec_lo, 0
	v_mbcnt_hi_u32_b32 v0, exec_hi, v0
	v_cmp_eq_u32_e32 vcc, 0, v0
	s_and_saveexec_b64 s[0:1], vcc
	s_cbranch_execz .LBB42_95
; %bb.94:
	s_add_i32 s2, s12, s13
	v_mov_b32_e32 v0, 0
	v_mov_b32_e32 v1, s2
	global_atomic_smin v0, v1, s[14:15]
.LBB42_95:
	s_or_b64 exec, exec, s[0:1]
	s_add_u32 s0, s10, s6
	s_addc_u32 s1, s11, s7
	v_mov_b32_e32 v0, 0
	v_mov_b32_e32 v1, 1
	s_waitcnt vmcnt(0)
	global_store_dword v0, v1, s[0:1]
	s_endpgm
.LBB42_96:
	s_or_b64 exec, exec, s[0:1]
	v_cmp_lt_u32_e32 vcc, 2, v1
	s_and_saveexec_b64 s[0:1], vcc
	s_cbranch_execz .LBB42_87
.LBB42_97:
	v_mul_f32_e32 v14, v7, v7
	v_fmac_f32_e32 v14, v6, v6
	v_div_scale_f32 v8, s[2:3], v14, v14, 1.0
	v_div_scale_f32 v9, vcc, 1.0, v14, 1.0
	v_rcp_f32_e32 v13, v8
	v_fma_f32 v15, -v8, v13, 1.0
	v_fmac_f32_e32 v13, v15, v13
	v_mul_f32_e32 v15, v9, v13
	v_fma_f32 v16, -v8, v15, v9
	v_fmac_f32_e32 v15, v16, v13
	v_fma_f32 v8, -v8, v15, v9
	v_div_fmas_f32 v15, v8, v13, v15
	ds_read_b64 v[8:9], v3 offset:16
	ds_read_b64 v[12:13], v12 offset:16
	s_waitcnt lgkmcnt(0)
	v_sub_f32_e32 v8, v8, v12
	v_sub_f32_e32 v9, v9, v13
	v_mul_f32_e32 v12, v7, v9
	v_mul_f32_e64 v7, v7, -v8
	v_fmac_f32_e32 v12, v8, v6
	v_fmac_f32_e32 v7, v9, v6
	v_div_fixup_f32 v8, v15, v14, 1.0
	v_mul_f32_e32 v6, v8, v12
	v_mul_f32_e32 v7, v8, v7
	ds_write_b64 v3, v[6:7] offset:16
	s_waitcnt lgkmcnt(0)
	ds_read_b64 v[8:9], v5 offset:16
	ds_read_b64 v[12:13], v11
	s_waitcnt lgkmcnt(0)
	v_fma_f32 v5, v6, v8, v12
	v_fmac_f32_e32 v13, v7, v8
	v_fmac_f32_e32 v5, v7, v9
	v_fma_f32 v6, v6, -v9, v13
	ds_write_b64 v11, v[5:6]
	s_or_b64 exec, exec, s[0:1]
	s_andn2_b64 vcc, exec, s[8:9]
	s_waitcnt lgkmcnt(0)
	s_cbranch_vccz .LBB42_88
	s_branch .LBB42_89
	.section	.rodata,"a",@progbits
	.p2align	6, 0x0
	.amdhsa_kernel _ZN9rocsparseL26bsric0_2_8_unrolled_kernelILi9ELi32ELi3E21rocsparse_complex_numIfEEEv20rocsparse_direction_iiPKiS5_PT2_S5_PiS5_S8_21rocsparse_index_base_
		.amdhsa_group_segment_fixed_size 768
		.amdhsa_private_segment_fixed_size 0
		.amdhsa_kernarg_size 76
		.amdhsa_user_sgpr_count 6
		.amdhsa_user_sgpr_private_segment_buffer 1
		.amdhsa_user_sgpr_dispatch_ptr 0
		.amdhsa_user_sgpr_queue_ptr 0
		.amdhsa_user_sgpr_kernarg_segment_ptr 1
		.amdhsa_user_sgpr_dispatch_id 0
		.amdhsa_user_sgpr_flat_scratch_init 0
		.amdhsa_user_sgpr_private_segment_size 0
		.amdhsa_uses_dynamic_stack 0
		.amdhsa_system_sgpr_private_segment_wavefront_offset 0
		.amdhsa_system_sgpr_workgroup_id_x 1
		.amdhsa_system_sgpr_workgroup_id_y 0
		.amdhsa_system_sgpr_workgroup_id_z 0
		.amdhsa_system_sgpr_workgroup_info 0
		.amdhsa_system_vgpr_workitem_id 1
		.amdhsa_next_free_vgpr 39
		.amdhsa_next_free_sgpr 40
		.amdhsa_reserve_vcc 1
		.amdhsa_reserve_flat_scratch 0
		.amdhsa_float_round_mode_32 0
		.amdhsa_float_round_mode_16_64 0
		.amdhsa_float_denorm_mode_32 3
		.amdhsa_float_denorm_mode_16_64 3
		.amdhsa_dx10_clamp 1
		.amdhsa_ieee_mode 1
		.amdhsa_fp16_overflow 0
		.amdhsa_exception_fp_ieee_invalid_op 0
		.amdhsa_exception_fp_denorm_src 0
		.amdhsa_exception_fp_ieee_div_zero 0
		.amdhsa_exception_fp_ieee_overflow 0
		.amdhsa_exception_fp_ieee_underflow 0
		.amdhsa_exception_fp_ieee_inexact 0
		.amdhsa_exception_int_div_zero 0
	.end_amdhsa_kernel
	.section	.text._ZN9rocsparseL26bsric0_2_8_unrolled_kernelILi9ELi32ELi3E21rocsparse_complex_numIfEEEv20rocsparse_direction_iiPKiS5_PT2_S5_PiS5_S8_21rocsparse_index_base_,"axG",@progbits,_ZN9rocsparseL26bsric0_2_8_unrolled_kernelILi9ELi32ELi3E21rocsparse_complex_numIfEEEv20rocsparse_direction_iiPKiS5_PT2_S5_PiS5_S8_21rocsparse_index_base_,comdat
.Lfunc_end42:
	.size	_ZN9rocsparseL26bsric0_2_8_unrolled_kernelILi9ELi32ELi3E21rocsparse_complex_numIfEEEv20rocsparse_direction_iiPKiS5_PT2_S5_PiS5_S8_21rocsparse_index_base_, .Lfunc_end42-_ZN9rocsparseL26bsric0_2_8_unrolled_kernelILi9ELi32ELi3E21rocsparse_complex_numIfEEEv20rocsparse_direction_iiPKiS5_PT2_S5_PiS5_S8_21rocsparse_index_base_
                                        ; -- End function
	.set _ZN9rocsparseL26bsric0_2_8_unrolled_kernelILi9ELi32ELi3E21rocsparse_complex_numIfEEEv20rocsparse_direction_iiPKiS5_PT2_S5_PiS5_S8_21rocsparse_index_base_.num_vgpr, 39
	.set _ZN9rocsparseL26bsric0_2_8_unrolled_kernelILi9ELi32ELi3E21rocsparse_complex_numIfEEEv20rocsparse_direction_iiPKiS5_PT2_S5_PiS5_S8_21rocsparse_index_base_.num_agpr, 0
	.set _ZN9rocsparseL26bsric0_2_8_unrolled_kernelILi9ELi32ELi3E21rocsparse_complex_numIfEEEv20rocsparse_direction_iiPKiS5_PT2_S5_PiS5_S8_21rocsparse_index_base_.numbered_sgpr, 40
	.set _ZN9rocsparseL26bsric0_2_8_unrolled_kernelILi9ELi32ELi3E21rocsparse_complex_numIfEEEv20rocsparse_direction_iiPKiS5_PT2_S5_PiS5_S8_21rocsparse_index_base_.num_named_barrier, 0
	.set _ZN9rocsparseL26bsric0_2_8_unrolled_kernelILi9ELi32ELi3E21rocsparse_complex_numIfEEEv20rocsparse_direction_iiPKiS5_PT2_S5_PiS5_S8_21rocsparse_index_base_.private_seg_size, 0
	.set _ZN9rocsparseL26bsric0_2_8_unrolled_kernelILi9ELi32ELi3E21rocsparse_complex_numIfEEEv20rocsparse_direction_iiPKiS5_PT2_S5_PiS5_S8_21rocsparse_index_base_.uses_vcc, 1
	.set _ZN9rocsparseL26bsric0_2_8_unrolled_kernelILi9ELi32ELi3E21rocsparse_complex_numIfEEEv20rocsparse_direction_iiPKiS5_PT2_S5_PiS5_S8_21rocsparse_index_base_.uses_flat_scratch, 0
	.set _ZN9rocsparseL26bsric0_2_8_unrolled_kernelILi9ELi32ELi3E21rocsparse_complex_numIfEEEv20rocsparse_direction_iiPKiS5_PT2_S5_PiS5_S8_21rocsparse_index_base_.has_dyn_sized_stack, 0
	.set _ZN9rocsparseL26bsric0_2_8_unrolled_kernelILi9ELi32ELi3E21rocsparse_complex_numIfEEEv20rocsparse_direction_iiPKiS5_PT2_S5_PiS5_S8_21rocsparse_index_base_.has_recursion, 0
	.set _ZN9rocsparseL26bsric0_2_8_unrolled_kernelILi9ELi32ELi3E21rocsparse_complex_numIfEEEv20rocsparse_direction_iiPKiS5_PT2_S5_PiS5_S8_21rocsparse_index_base_.has_indirect_call, 0
	.section	.AMDGPU.csdata,"",@progbits
; Kernel info:
; codeLenInByte = 5812
; TotalNumSgprs: 44
; NumVgprs: 39
; ScratchSize: 0
; MemoryBound: 0
; FloatMode: 240
; IeeeMode: 1
; LDSByteSize: 768 bytes/workgroup (compile time only)
; SGPRBlocks: 5
; VGPRBlocks: 9
; NumSGPRsForWavesPerEU: 44
; NumVGPRsForWavesPerEU: 39
; Occupancy: 6
; WaveLimiterHint : 1
; COMPUTE_PGM_RSRC2:SCRATCH_EN: 0
; COMPUTE_PGM_RSRC2:USER_SGPR: 6
; COMPUTE_PGM_RSRC2:TRAP_HANDLER: 0
; COMPUTE_PGM_RSRC2:TGID_X_EN: 1
; COMPUTE_PGM_RSRC2:TGID_Y_EN: 0
; COMPUTE_PGM_RSRC2:TGID_Z_EN: 0
; COMPUTE_PGM_RSRC2:TIDIG_COMP_CNT: 1
	.section	.text._ZN9rocsparseL26bsric0_2_8_unrolled_kernelILi16ELi32ELi4E21rocsparse_complex_numIfEEEv20rocsparse_direction_iiPKiS5_PT2_S5_PiS5_S8_21rocsparse_index_base_,"axG",@progbits,_ZN9rocsparseL26bsric0_2_8_unrolled_kernelILi16ELi32ELi4E21rocsparse_complex_numIfEEEv20rocsparse_direction_iiPKiS5_PT2_S5_PiS5_S8_21rocsparse_index_base_,comdat
	.globl	_ZN9rocsparseL26bsric0_2_8_unrolled_kernelILi16ELi32ELi4E21rocsparse_complex_numIfEEEv20rocsparse_direction_iiPKiS5_PT2_S5_PiS5_S8_21rocsparse_index_base_ ; -- Begin function _ZN9rocsparseL26bsric0_2_8_unrolled_kernelILi16ELi32ELi4E21rocsparse_complex_numIfEEEv20rocsparse_direction_iiPKiS5_PT2_S5_PiS5_S8_21rocsparse_index_base_
	.p2align	8
	.type	_ZN9rocsparseL26bsric0_2_8_unrolled_kernelILi16ELi32ELi4E21rocsparse_complex_numIfEEEv20rocsparse_direction_iiPKiS5_PT2_S5_PiS5_S8_21rocsparse_index_base_,@function
_ZN9rocsparseL26bsric0_2_8_unrolled_kernelILi16ELi32ELi4E21rocsparse_complex_numIfEEEv20rocsparse_direction_iiPKiS5_PT2_S5_PiS5_S8_21rocsparse_index_base_: ; @_ZN9rocsparseL26bsric0_2_8_unrolled_kernelILi16ELi32ELi4E21rocsparse_complex_numIfEEEv20rocsparse_direction_iiPKiS5_PT2_S5_PiS5_S8_21rocsparse_index_base_
; %bb.0:
	s_load_dwordx8 s[8:15], s[4:5], 0x28
	s_mov_b32 s7, 0
	s_lshl_b64 s[0:1], s[6:7], 2
	s_waitcnt lgkmcnt(0)
	s_add_u32 s0, s12, s0
	s_addc_u32 s1, s13, s1
	s_load_dword s12, s[0:1], 0x0
	s_waitcnt lgkmcnt(0)
	s_ashr_i32 s13, s12, 31
	s_lshl_b64 s[6:7], s[12:13], 2
	s_add_u32 s0, s8, s6
	s_addc_u32 s1, s9, s7
	s_load_dword s30, s[0:1], 0x0
	s_load_dword s13, s[4:5], 0x48
	s_waitcnt lgkmcnt(0)
	s_cmp_lg_u32 s30, -1
	s_cbranch_scc0 .LBB43_6
; %bb.1:
	s_load_dwordx4 s[16:19], s[4:5], 0x10
	s_load_dwordx2 s[20:21], s[4:5], 0x20
	v_lshlrev_b32_e32 v12, 2, v1
	v_add_u32_e32 v11, v12, v0
	s_waitcnt lgkmcnt(0)
	s_add_u32 s0, s16, s6
	s_addc_u32 s1, s17, s7
	s_load_dword s0, s[0:1], 0x0
	s_waitcnt lgkmcnt(0)
	s_sub_i32 s31, s0, s13
	v_add_u32_e32 v2, s31, v11
	v_cmp_ge_i32_e32 vcc, s30, v2
	s_and_saveexec_b64 s[0:1], vcc
	s_cbranch_execz .LBB43_4
; %bb.2:
	v_lshlrev_b32_e32 v3, 4, v1
	v_lshlrev_b32_e32 v4, 2, v0
	s_movk_i32 s2, 0x380
	v_add3_u32 v5, v3, v4, s2
	v_ashrrev_i32_e32 v3, 31, v2
	v_lshlrev_b64 v[3:4], 2, v[2:3]
	v_mov_b32_e32 v6, s19
	v_add_co_u32_e32 v3, vcc, s18, v3
	v_addc_co_u32_e32 v4, vcc, v6, v4, vcc
	s_mov_b64 s[2:3], 0
.LBB43_3:                               ; =>This Inner Loop Header: Depth=1
	global_load_dword v6, v[3:4], off
	v_add_co_u32_e32 v3, vcc, 64, v3
	v_add_u32_e32 v2, 16, v2
	v_addc_co_u32_e32 v4, vcc, 0, v4, vcc
	v_cmp_lt_i32_e32 vcc, s30, v2
	s_or_b64 s[2:3], vcc, s[2:3]
	s_waitcnt vmcnt(0)
	v_subrev_u32_e32 v6, s13, v6
	ds_write_b32 v5, v6
	v_add_u32_e32 v5, 64, v5
	s_andn2_b64 exec, exec, s[2:3]
	s_cbranch_execnz .LBB43_3
.LBB43_4:
	s_or_b64 exec, exec, s[0:1]
	v_mov_b32_e32 v2, 0x1e0
	v_mad_u32_u24 v10, v1, 40, v2
	v_mov_b32_e32 v2, 0
	v_lshl_add_u32 v8, v0, 3, v10
	v_mov_b32_e32 v3, v2
	s_cmp_lt_i32 s31, s30
	ds_write_b64 v8, v[2:3]
	s_waitcnt lgkmcnt(0)
	s_cbranch_scc1 .LBB43_8
; %bb.5:
	v_lshl_add_u32 v13, v0, 2, v1
	v_or_b32_e32 v9, v0, v1
	s_load_dword s33, s[4:5], 0x0
	s_cbranch_execz .LBB43_9
	s_branch .LBB43_51
.LBB43_6:
	s_cbranch_execnz .LBB43_110
.LBB43_7:
	s_endpgm
.LBB43_8:
                                        ; implicit-def: $vgpr13
                                        ; implicit-def: $vgpr9
	s_load_dword s33, s[4:5], 0x0
.LBB43_9:
	s_waitcnt lgkmcnt(0)
	s_cmp_lg_u32 s33, 0
	s_cselect_b64 s[4:5], -1, 0
	s_cmp_eq_u32 s33, 0
	v_lshlrev_b32_e32 v14, 2, v0
	v_mov_b32_e32 v2, 0x140
	v_mov_b32_e32 v4, 0xa0
	v_add_u32_e32 v13, v14, v1
	v_mad_u32_u24 v15, v1, 40, v2
	v_lshlrev_b32_e32 v3, 3, v0
	v_mad_u32_u24 v18, v1, 40, v4
	v_or_b32_e32 v9, v0, v1
	s_cselect_b64 vcc, -1, 0
	v_add_u32_e32 v16, v15, v3
	v_mad_u32_u24 v17, v1, 40, v3
	v_add_u32_e32 v19, v18, v3
	v_mad_u32_u24 v20, v0, 40, v2
	v_cmp_ne_u32_e64 s[0:1], 0, v9
	v_cndmask_b32_e32 v21, v13, v11, vcc
	v_mov_b32_e32 v22, 0
	s_mov_b32 s22, s31
	s_branch .LBB43_12
.LBB43_10:                              ;   in Loop: Header=BB43_12 Depth=1
	s_or_b64 exec, exec, s[24:25]
	v_mov_b32_e32 v7, 0
	v_mov_b32_e32 v6, 1.0
.LBB43_11:                              ;   in Loop: Header=BB43_12 Depth=1
	s_or_b64 exec, exec, s[2:3]
	v_mul_f32_e32 v37, v7, v7
	v_fmac_f32_e32 v37, v6, v6
	v_div_scale_f32 v38, s[2:3], v37, v37, 1.0
	v_div_scale_f32 v39, vcc, 1.0, v37, 1.0
	ds_read2_b64 v[23:26], v22 offset0:15 offset1:16
	ds_read_b64 v[31:32], v18 offset:24
	ds_read2_b64 v[27:30], v15 offset1:1
	ds_read_b64 v[33:34], v15 offset:16
	ds_read_b64 v[35:36], v22 offset:136
	s_add_i32 s22, s22, 1
	s_cmp_ge_i32 s22, s30
	s_waitcnt lgkmcnt(2)
	v_fma_f32 v32, v24, v27, v32
	v_fmac_f32_e32 v31, v23, v27
	v_fma_f32 v23, v23, -v28, v32
	v_fmac_f32_e32 v31, v24, v28
	v_fmac_f32_e32 v23, v26, v29
	;; [unrolled: 1-line block ×3, first 2 shown]
	v_fma_f32 v23, v25, -v30, v23
	v_fmac_f32_e32 v31, v26, v30
	s_waitcnt lgkmcnt(0)
	v_fmac_f32_e32 v23, v36, v33
	v_rcp_f32_e32 v40, v38
	v_fmac_f32_e32 v31, v35, v33
	v_fma_f32 v23, v35, -v34, v23
	v_fmac_f32_e32 v31, v36, v34
	v_fma_f32 v27, -v38, v40, 1.0
	v_fmac_f32_e32 v40, v27, v40
	v_mul_f32_e32 v27, v39, v40
	v_fma_f32 v32, -v38, v27, v39
	v_fmac_f32_e32 v27, v32, v40
	v_fma_f32 v32, -v38, v27, v39
	v_div_fmas_f32 v27, v32, v40, v27
	v_sub_f32_e32 v4, v4, v31
	v_sub_f32_e32 v5, v5, v23
	v_mul_f32_e32 v23, v7, v5
	v_mul_f32_e64 v7, v7, -v4
	v_fmac_f32_e32 v23, v4, v6
	v_fmac_f32_e32 v7, v5, v6
	s_cselect_b64 s[2:3], -1, 0
	v_div_fixup_f32 v5, v27, v37, 1.0
	v_mul_f32_e32 v4, v5, v23
	v_mul_f32_e32 v5, v5, v7
	ds_write_b64 v15, v[4:5] offset:24
	s_waitcnt lgkmcnt(0)
	ds_read_b64 v[6:7], v20 offset:24
	ds_read_b64 v[23:24], v8
	s_waitcnt lgkmcnt(0)
	v_fma_f32 v23, v4, v6, v23
	v_fmac_f32_e32 v24, v5, v6
	v_fmac_f32_e32 v23, v5, v7
	v_fma_f32 v24, v4, -v7, v24
	ds_write_b64 v8, v[23:24]
	s_waitcnt lgkmcnt(0)
	ds_read_b64 v[4:5], v16
	s_waitcnt lgkmcnt(0)
	global_store_dwordx2 v[2:3], v[4:5], off
	s_waitcnt vmcnt(0)
	buffer_wbinvl1_vol
	s_and_b64 vcc, exec, s[2:3]
	s_cbranch_vccnz .LBB43_51
.LBB43_12:                              ; =>This Loop Header: Depth=1
                                        ;     Child Loop BB43_15 Depth 2
                                        ;     Child Loop BB43_26 Depth 2
	;; [unrolled: 1-line block ×3, first 2 shown]
	s_ashr_i32 s23, s22, 31
	s_lshl_b64 s[2:3], s[22:23], 2
	s_add_u32 s2, s18, s2
	s_addc_u32 s3, s19, s3
	s_load_dword s23, s[2:3], 0x0
	s_waitcnt lgkmcnt(0)
	s_sub_i32 s24, s23, s13
	s_ashr_i32 s25, s24, 31
	s_lshl_b64 s[2:3], s[24:25], 2
	s_add_u32 s26, s8, s2
	s_addc_u32 s27, s9, s3
	s_load_dword s25, s[26:27], 0x0
	s_waitcnt lgkmcnt(0)
	s_cmp_eq_u32 s25, -1
	s_cbranch_scc1 .LBB43_50
; %bb.13:                               ;   in Loop: Header=BB43_12 Depth=1
	v_lshl_add_u32 v2, s22, 4, v21
	v_ashrrev_i32_e32 v3, 31, v2
	v_lshlrev_b64 v[2:3], 3, v[2:3]
	v_mov_b32_e32 v4, s21
	v_add_co_u32_e32 v2, vcc, s20, v2
	v_addc_co_u32_e32 v3, vcc, v4, v3, vcc
	global_load_dwordx2 v[4:5], v[2:3], off
	s_add_u32 s26, s16, s2
	s_addc_u32 s27, s17, s3
	s_load_dword s26, s[26:27], 0x0
	ds_read_b32 v6, v22 offset:896
	s_mov_b32 s27, 0
	s_waitcnt lgkmcnt(0)
	s_sub_i32 s26, s26, s13
	s_cmp_le_i32 s26, s25
	v_cmp_ge_i32_e32 vcc, s24, v6
	s_cselect_b64 s[28:29], -1, 0
	s_and_b64 s[28:29], s[28:29], vcc
	s_andn2_b64 vcc, exec, s[28:29]
	s_waitcnt vmcnt(0)
	ds_write_b64 v16, v[4:5]
	s_cbranch_vccnz .LBB43_25
; %bb.14:                               ;   in Loop: Header=BB43_12 Depth=1
	s_mov_b32 s34, 0
	s_mov_b32 s35, 0
.LBB43_15:                              ;   Parent Loop BB43_12 Depth=1
                                        ; =>  This Inner Loop Header: Depth=2
	s_ashr_i32 s27, s26, 31
	s_lshl_b64 s[28:29], s[26:27], 2
	s_add_u32 s28, s18, s28
	s_addc_u32 s29, s19, s29
	s_load_dword s27, s[28:29], 0x0
	s_lshl_b32 s28, s35, 2
	v_mov_b32_e32 v4, s28
	ds_read_b32 v4, v4 offset:896
	s_mov_b64 s[28:29], -1
	s_waitcnt lgkmcnt(0)
	s_sub_i32 s39, s27, s13
                                        ; implicit-def: $sgpr27
                                        ; implicit-def: $sgpr38
                                        ; implicit-def: $sgpr37
	v_cmp_ge_i32_e32 vcc, s39, v4
	v_readfirstlane_b32 s36, v4
	s_cbranch_vccz .LBB43_21
; %bb.16:                               ;   in Loop: Header=BB43_15 Depth=2
	s_cmp_le_i32 s39, s36
                                        ; implicit-def: $sgpr27
                                        ; implicit-def: $sgpr38
                                        ; implicit-def: $sgpr37
	s_cbranch_scc0 .LBB43_18
; %bb.17:                               ;   in Loop: Header=BB43_15 Depth=2
	s_add_i32 s27, s35, s31
	s_lshl_b32 s27, s27, 4
	s_lshl_b32 s28, s34, 2
	v_mov_b32_e32 v5, s27
	s_lshl_b32 s27, s26, 4
	v_mov_b32_e32 v4, s28
	v_mov_b32_e32 v6, s27
	ds_write2_b32 v4, v6, v5 offset0:160 offset1:192
	s_add_i32 s37, s35, 1
	s_add_i32 s38, s26, 1
	;; [unrolled: 1-line block ×3, first 2 shown]
	s_mov_b64 s[28:29], 0
.LBB43_18:                              ;   in Loop: Header=BB43_15 Depth=2
	s_andn2_b64 vcc, exec, s[28:29]
	s_cbranch_vccnz .LBB43_20
; %bb.19:                               ;   in Loop: Header=BB43_15 Depth=2
	s_add_i32 s37, s35, 1
	s_mov_b32 s27, s34
	s_mov_b32 s38, s26
.LBB43_20:                              ;   in Loop: Header=BB43_15 Depth=2
	s_mov_b64 s[28:29], 0
.LBB43_21:                              ;   in Loop: Header=BB43_15 Depth=2
	s_andn2_b64 vcc, exec, s[28:29]
	s_cbranch_vccnz .LBB43_23
; %bb.22:                               ;   in Loop: Header=BB43_15 Depth=2
	s_add_i32 s38, s26, 1
	s_mov_b32 s37, s35
	s_mov_b32 s27, s34
.LBB43_23:                              ;   in Loop: Header=BB43_15 Depth=2
	s_cmp_le_i32 s38, s25
	s_cselect_b64 s[28:29], -1, 0
	s_cmp_le_i32 s36, s24
	s_cselect_b64 s[34:35], -1, 0
	s_and_b64 s[28:29], s[28:29], s[34:35]
	s_and_b64 vcc, exec, s[28:29]
	s_cbranch_vccz .LBB43_25
; %bb.24:                               ;   in Loop: Header=BB43_15 Depth=2
	s_mov_b32 s34, s27
	s_mov_b32 s26, s38
	;; [unrolled: 1-line block ×3, first 2 shown]
	s_branch .LBB43_15
.LBB43_25:                              ;   in Loop: Header=BB43_12 Depth=1
	s_add_u32 s2, s10, s2
	s_addc_u32 s3, s11, s3
	s_waitcnt lgkmcnt(0)
.LBB43_26:                              ;   Parent Loop BB43_12 Depth=1
                                        ; =>  This Inner Loop Header: Depth=2
	global_load_dword v4, v22, s[2:3] glc
	s_waitcnt vmcnt(0)
	v_cmp_eq_u32_e32 vcc, 0, v4
	s_cbranch_vccnz .LBB43_26
; %bb.27:                               ;   in Loop: Header=BB43_12 Depth=1
	v_lshl_add_u32 v4, s25, 4, v21
	v_ashrrev_i32_e32 v5, 31, v4
	v_lshlrev_b64 v[4:5], 3, v[4:5]
	v_mov_b32_e32 v6, s21
	v_add_co_u32_e32 v4, vcc, s20, v4
	v_addc_co_u32_e32 v5, vcc, v6, v5, vcc
	buffer_wbinvl1_vol
	global_load_dwordx2 v[4:5], v[4:5], off
	v_mov_b32_e32 v7, 0
	s_cmp_lt_i32 s27, 2
	v_mov_b32_e32 v6, 0
	s_waitcnt vmcnt(0)
	ds_write_b64 v17, v[4:5]
	s_waitcnt lgkmcnt(0)
	s_cbranch_scc1 .LBB43_35
; %bb.28:                               ;   in Loop: Header=BB43_12 Depth=1
	s_add_i32 s24, s27, -1
	v_mov_b32_e32 v24, 0
	s_movk_i32 s25, 0x280
	v_mov_b32_e32 v23, 0
.LBB43_29:                              ;   Parent Loop BB43_12 Depth=1
                                        ; =>  This Inner Loop Header: Depth=2
	s_waitcnt lgkmcnt(0)
	v_mov_b32_e32 v4, s25
	ds_read2_b32 v[4:5], v4 offset1:32
	s_mov_b64 s[2:3], -1
	s_and_b64 vcc, exec, s[4:5]
                                        ; implicit-def: $vgpr7
	s_cbranch_vccz .LBB43_32
; %bb.30:                               ;   in Loop: Header=BB43_29 Depth=2
	s_waitcnt lgkmcnt(0)
	v_add_u32_e32 v6, v4, v0
	v_ashrrev_i32_e32 v7, 31, v6
	v_lshlrev_b64 v[25:26], 3, v[6:7]
	v_add_u32_e32 v27, v5, v1
	v_ashrrev_i32_e32 v28, 31, v27
	v_mov_b32_e32 v7, s21
	v_add_co_u32_e32 v25, vcc, s20, v25
	v_lshlrev_b64 v[28:29], 3, v[27:28]
	v_add_u32_e32 v30, 4, v6
	v_addc_co_u32_e32 v26, vcc, v7, v26, vcc
	v_ashrrev_i32_e32 v31, 31, v30
	v_add_co_u32_e32 v28, vcc, s20, v28
	v_lshlrev_b64 v[30:31], 3, v[30:31]
	v_add_u32_e32 v32, 4, v27
	v_addc_co_u32_e32 v29, vcc, v7, v29, vcc
	v_ashrrev_i32_e32 v33, 31, v32
	v_add_co_u32_e32 v30, vcc, s20, v30
	v_lshlrev_b64 v[32:33], 3, v[32:33]
	v_addc_co_u32_e32 v31, vcc, v7, v31, vcc
	v_add_co_u32_e32 v32, vcc, s20, v32
	v_addc_co_u32_e32 v33, vcc, v7, v33, vcc
	global_load_dwordx2 v[34:35], v[25:26], off
	global_load_dwordx2 v[36:37], v[28:29], off
	;; [unrolled: 1-line block ×4, first 2 shown]
	v_add_u32_e32 v25, 8, v6
	v_ashrrev_i32_e32 v26, 31, v25
	v_lshlrev_b64 v[25:26], 3, v[25:26]
	v_add_u32_e32 v28, 8, v27
	v_ashrrev_i32_e32 v29, 31, v28
	v_add_co_u32_e32 v25, vcc, s20, v25
	v_lshlrev_b64 v[28:29], 3, v[28:29]
	v_addc_co_u32_e32 v26, vcc, v7, v26, vcc
	v_add_co_u32_e32 v28, vcc, s20, v28
	v_add_u32_e32 v6, 12, v6
	v_addc_co_u32_e32 v29, vcc, v7, v29, vcc
	v_ashrrev_i32_e32 v7, 31, v6
	v_lshlrev_b64 v[6:7], 3, v[6:7]
	global_load_dwordx2 v[30:31], v[25:26], off
	global_load_dwordx2 v[32:33], v[28:29], off
	v_mov_b32_e32 v25, s21
	v_add_co_u32_e32 v6, vcc, s20, v6
	v_addc_co_u32_e32 v7, vcc, v25, v7, vcc
	v_add_u32_e32 v25, 12, v27
	v_ashrrev_i32_e32 v26, 31, v25
	v_lshlrev_b64 v[25:26], 3, v[25:26]
	v_mov_b32_e32 v27, s21
	v_add_co_u32_e32 v25, vcc, s20, v25
	v_addc_co_u32_e32 v26, vcc, v27, v26, vcc
	global_load_dwordx2 v[27:28], v[6:7], off
	global_load_dwordx2 v[42:43], v[25:26], off
	s_waitcnt vmcnt(6)
	v_fma_f32 v6, v34, v36, v23
	v_fma_f32 v7, v35, v36, v24
	v_fmac_f32_e32 v6, v35, v37
	v_fma_f32 v7, v34, -v37, v7
	s_waitcnt vmcnt(4)
	v_fmac_f32_e32 v6, v38, v40
	v_fmac_f32_e32 v7, v39, v40
	v_fmac_f32_e32 v6, v39, v41
	v_fma_f32 v7, v38, -v41, v7
	s_waitcnt vmcnt(2)
	v_fmac_f32_e32 v6, v30, v32
	v_fmac_f32_e32 v7, v31, v32
	v_fmac_f32_e32 v6, v31, v33
	v_fma_f32 v7, v30, -v33, v7
	s_waitcnt vmcnt(0)
	v_fmac_f32_e32 v6, v27, v42
	v_fmac_f32_e32 v7, v28, v42
	v_fmac_f32_e32 v6, v28, v43
	v_fma_f32 v7, v27, -v43, v7
	s_cbranch_execz .LBB43_33
.LBB43_31:                              ;   in Loop: Header=BB43_29 Depth=2
	s_add_i32 s24, s24, -1
	s_add_i32 s25, s25, 4
	s_cmp_eq_u32 s24, 0
	s_cbranch_scc0 .LBB43_34
	s_branch .LBB43_35
.LBB43_32:                              ;   in Loop: Header=BB43_29 Depth=2
	s_andn2_b64 vcc, exec, s[2:3]
	s_cbranch_vccnz .LBB43_31
.LBB43_33:                              ;   in Loop: Header=BB43_29 Depth=2
	s_waitcnt lgkmcnt(0)
	v_add_u32_e32 v6, v4, v14
	v_ashrrev_i32_e32 v7, 31, v6
	v_lshlrev_b64 v[6:7], 3, v[6:7]
	v_mov_b32_e32 v4, s21
	v_add_co_u32_e32 v37, vcc, s20, v6
	v_addc_co_u32_e32 v38, vcc, v4, v7, vcc
	v_add_u32_e32 v4, v5, v12
	v_ashrrev_i32_e32 v5, 31, v4
	v_lshlrev_b64 v[4:5], 3, v[4:5]
	v_mov_b32_e32 v6, s21
	v_add_co_u32_e32 v39, vcc, s20, v4
	v_addc_co_u32_e32 v40, vcc, v6, v5, vcc
	global_load_dwordx4 v[4:7], v[39:40], off
	global_load_dwordx4 v[25:28], v[37:38], off
	global_load_dwordx4 v[29:32], v[37:38], off offset:16
	global_load_dwordx4 v[33:36], v[39:40], off offset:16
	s_waitcnt vmcnt(2)
	v_fmac_f32_e32 v23, v25, v4
	v_fmac_f32_e32 v24, v26, v4
	;; [unrolled: 1-line block ×3, first 2 shown]
	v_fma_f32 v4, v25, -v5, v24
	v_fmac_f32_e32 v23, v27, v6
	v_fmac_f32_e32 v4, v28, v6
	v_fmac_f32_e32 v23, v28, v7
	v_fma_f32 v4, v27, -v7, v4
	s_waitcnt vmcnt(0)
	v_fmac_f32_e32 v23, v29, v33
	v_fmac_f32_e32 v4, v30, v33
	;; [unrolled: 1-line block ×3, first 2 shown]
	v_fma_f32 v4, v29, -v34, v4
	v_fmac_f32_e32 v23, v31, v35
	v_fmac_f32_e32 v4, v32, v35
	;; [unrolled: 1-line block ×3, first 2 shown]
	v_fma_f32 v7, v31, -v36, v4
	v_mov_b32_e32 v6, v23
	s_add_i32 s24, s24, -1
	s_add_i32 s25, s25, 4
	s_cmp_eq_u32 s24, 0
	s_cbranch_scc1 .LBB43_35
.LBB43_34:                              ;   in Loop: Header=BB43_29 Depth=2
	v_mov_b32_e32 v24, v7
	v_mov_b32_e32 v23, v6
	s_branch .LBB43_29
.LBB43_35:                              ;   in Loop: Header=BB43_12 Depth=1
	ds_write_b64 v19, v[6:7]
	s_waitcnt lgkmcnt(0)
	ds_read_b64 v[6:7], v22
	ds_read_b64 v[4:5], v15
	s_waitcnt lgkmcnt(1)
	v_cmp_neq_f32_e32 vcc, 0, v6
	v_cmp_neq_f32_e64 s[2:3], 0, v7
	s_or_b64 vcc, vcc, s[2:3]
	v_cndmask_b32_e32 v6, 1.0, v6, vcc
	s_nor_b64 s[24:25], vcc, s[0:1]
	v_cndmask_b32_e32 v7, 0, v7, vcc
	s_and_saveexec_b64 s[2:3], s[24:25]
	s_cbranch_execz .LBB43_39
; %bb.36:                               ;   in Loop: Header=BB43_12 Depth=1
	v_mbcnt_lo_u32_b32 v6, exec_lo, 0
	v_mbcnt_hi_u32_b32 v6, exec_hi, v6
	v_cmp_eq_u32_e32 vcc, 0, v6
	s_and_saveexec_b64 s[24:25], vcc
	s_cbranch_execz .LBB43_38
; %bb.37:                               ;   in Loop: Header=BB43_12 Depth=1
	v_mov_b32_e32 v6, s23
	global_atomic_smin v22, v6, s[14:15]
.LBB43_38:                              ;   in Loop: Header=BB43_12 Depth=1
	s_or_b64 exec, exec, s[24:25]
	v_mov_b32_e32 v7, 0
	v_mov_b32_e32 v6, 1.0
.LBB43_39:                              ;   in Loop: Header=BB43_12 Depth=1
	s_or_b64 exec, exec, s[2:3]
	v_mul_f32_e32 v25, v7, v7
	v_fmac_f32_e32 v25, v6, v6
	v_div_scale_f32 v23, s[2:3], v25, v25, 1.0
	v_div_scale_f32 v24, vcc, 1.0, v25, 1.0
	v_rcp_f32_e32 v26, v23
	v_fma_f32 v27, -v23, v26, 1.0
	v_fmac_f32_e32 v26, v27, v26
	v_mul_f32_e32 v27, v24, v26
	v_fma_f32 v28, -v23, v27, v24
	v_fmac_f32_e32 v27, v28, v26
	v_fma_f32 v23, -v23, v27, v24
	v_div_fmas_f32 v26, v23, v26, v27
	ds_read_b64 v[23:24], v18
	s_waitcnt lgkmcnt(0)
	v_sub_f32_e32 v4, v4, v23
	v_sub_f32_e32 v5, v5, v24
	v_mul_f32_e32 v23, v7, v5
	v_mul_f32_e64 v7, v7, -v4
	v_fmac_f32_e32 v23, v4, v6
	v_fmac_f32_e32 v7, v5, v6
	v_div_fixup_f32 v5, v26, v25, 1.0
	v_mul_f32_e32 v4, v5, v23
	v_mul_f32_e32 v5, v5, v7
	ds_write_b64 v15, v[4:5]
	s_waitcnt lgkmcnt(0)
	ds_read_b64 v[6:7], v20
	ds_read_b64 v[23:24], v8
	s_waitcnt lgkmcnt(0)
	v_fma_f32 v23, v4, v6, v23
	v_fmac_f32_e32 v24, v5, v6
	v_fmac_f32_e32 v23, v5, v7
	v_fma_f32 v24, v4, -v7, v24
	ds_write_b64 v8, v[23:24]
	s_waitcnt lgkmcnt(0)
	ds_read_b64 v[6:7], v22 offset:48
	ds_read_b64 v[4:5], v15 offset:8
	s_waitcnt lgkmcnt(1)
	v_cmp_neq_f32_e32 vcc, 0, v6
	v_cmp_neq_f32_e64 s[2:3], 0, v7
	s_or_b64 vcc, vcc, s[2:3]
	v_cndmask_b32_e32 v6, 1.0, v6, vcc
	s_nor_b64 s[24:25], vcc, s[0:1]
	v_cndmask_b32_e32 v7, 0, v7, vcc
	s_and_saveexec_b64 s[2:3], s[24:25]
	s_cbranch_execz .LBB43_43
; %bb.40:                               ;   in Loop: Header=BB43_12 Depth=1
	v_mbcnt_lo_u32_b32 v6, exec_lo, 0
	v_mbcnt_hi_u32_b32 v6, exec_hi, v6
	v_cmp_eq_u32_e32 vcc, 0, v6
	s_and_saveexec_b64 s[24:25], vcc
	s_cbranch_execz .LBB43_42
; %bb.41:                               ;   in Loop: Header=BB43_12 Depth=1
	v_mov_b32_e32 v6, s23
	global_atomic_smin v22, v6, s[14:15]
.LBB43_42:                              ;   in Loop: Header=BB43_12 Depth=1
	s_or_b64 exec, exec, s[24:25]
	v_mov_b32_e32 v7, 0
	v_mov_b32_e32 v6, 1.0
.LBB43_43:                              ;   in Loop: Header=BB43_12 Depth=1
	s_or_b64 exec, exec, s[2:3]
	v_mul_f32_e32 v29, v7, v7
	v_fmac_f32_e32 v29, v6, v6
	v_div_scale_f32 v23, s[2:3], v29, v29, 1.0
	v_div_scale_f32 v24, vcc, 1.0, v29, 1.0
	v_rcp_f32_e32 v25, v23
	v_fma_f32 v26, -v23, v25, 1.0
	v_fmac_f32_e32 v25, v26, v25
	v_mul_f32_e32 v26, v24, v25
	v_fma_f32 v27, -v23, v26, v24
	v_fmac_f32_e32 v26, v27, v25
	v_fma_f32 v23, -v23, v26, v24
	v_div_fmas_f32 v30, v23, v25, v26
	ds_read_b64 v[23:24], v22 offset:40
	ds_read_b64 v[25:26], v15
	ds_read_b64 v[27:28], v18 offset:8
	s_waitcnt lgkmcnt(0)
	v_fma_f32 v28, v24, v25, v28
	v_fmac_f32_e32 v27, v23, v25
	v_fma_f32 v23, v23, -v26, v28
	v_fmac_f32_e32 v27, v24, v26
	v_sub_f32_e32 v4, v4, v27
	v_sub_f32_e32 v5, v5, v23
	v_mul_f32_e32 v23, v7, v5
	v_mul_f32_e64 v7, v7, -v4
	v_fmac_f32_e32 v23, v4, v6
	v_fmac_f32_e32 v7, v5, v6
	v_div_fixup_f32 v5, v30, v29, 1.0
	v_mul_f32_e32 v4, v5, v23
	v_mul_f32_e32 v5, v5, v7
	ds_write_b64 v15, v[4:5] offset:8
	s_waitcnt lgkmcnt(0)
	ds_read_b64 v[6:7], v20 offset:8
	ds_read_b64 v[23:24], v8
	s_waitcnt lgkmcnt(0)
	v_fma_f32 v23, v4, v6, v23
	v_fmac_f32_e32 v24, v5, v6
	v_fmac_f32_e32 v23, v5, v7
	v_fma_f32 v24, v4, -v7, v24
	ds_write_b64 v8, v[23:24]
	s_waitcnt lgkmcnt(0)
	ds_read_b64 v[6:7], v22 offset:96
	ds_read_b64 v[4:5], v15 offset:16
	s_waitcnt lgkmcnt(1)
	v_cmp_neq_f32_e32 vcc, 0, v6
	v_cmp_neq_f32_e64 s[2:3], 0, v7
	s_or_b64 vcc, vcc, s[2:3]
	v_cndmask_b32_e32 v6, 1.0, v6, vcc
	s_nor_b64 s[24:25], vcc, s[0:1]
	v_cndmask_b32_e32 v7, 0, v7, vcc
	s_and_saveexec_b64 s[2:3], s[24:25]
	s_cbranch_execz .LBB43_47
; %bb.44:                               ;   in Loop: Header=BB43_12 Depth=1
	v_mbcnt_lo_u32_b32 v6, exec_lo, 0
	v_mbcnt_hi_u32_b32 v6, exec_hi, v6
	v_cmp_eq_u32_e32 vcc, 0, v6
	s_and_saveexec_b64 s[24:25], vcc
	s_cbranch_execz .LBB43_46
; %bb.45:                               ;   in Loop: Header=BB43_12 Depth=1
	v_mov_b32_e32 v6, s23
	global_atomic_smin v22, v6, s[14:15]
.LBB43_46:                              ;   in Loop: Header=BB43_12 Depth=1
	s_or_b64 exec, exec, s[24:25]
	v_mov_b32_e32 v7, 0
	v_mov_b32_e32 v6, 1.0
.LBB43_47:                              ;   in Loop: Header=BB43_12 Depth=1
	s_or_b64 exec, exec, s[2:3]
	v_mul_f32_e32 v33, v7, v7
	v_fmac_f32_e32 v33, v6, v6
	v_div_scale_f32 v34, s[2:3], v33, v33, 1.0
	v_div_scale_f32 v35, vcc, 1.0, v33, 1.0
	ds_read_b128 v[23:26], v22 offset:80
	ds_read2_b64 v[27:30], v15 offset1:1
	ds_read_b64 v[31:32], v18 offset:16
	s_waitcnt lgkmcnt(0)
	v_fma_f32 v32, v24, v27, v32
	v_fmac_f32_e32 v31, v23, v27
	v_fma_f32 v23, v23, -v28, v32
	v_fmac_f32_e32 v31, v24, v28
	v_fmac_f32_e32 v23, v26, v29
	;; [unrolled: 1-line block ×3, first 2 shown]
	v_fma_f32 v23, v25, -v30, v23
	v_rcp_f32_e32 v36, v34
	v_fmac_f32_e32 v31, v26, v30
	v_sub_f32_e32 v4, v4, v31
	v_sub_f32_e32 v5, v5, v23
	v_fma_f32 v37, -v34, v36, 1.0
	v_fmac_f32_e32 v36, v37, v36
	v_mul_f32_e32 v37, v35, v36
	v_fma_f32 v38, -v34, v37, v35
	v_fmac_f32_e32 v37, v38, v36
	v_fma_f32 v34, -v34, v37, v35
	v_div_fmas_f32 v34, v34, v36, v37
	v_mul_f32_e32 v23, v7, v5
	v_mul_f32_e64 v7, v7, -v4
	v_fmac_f32_e32 v23, v4, v6
	v_fmac_f32_e32 v7, v5, v6
	v_div_fixup_f32 v5, v34, v33, 1.0
	v_mul_f32_e32 v4, v5, v23
	v_mul_f32_e32 v5, v5, v7
	ds_write_b64 v15, v[4:5] offset:16
	s_waitcnt lgkmcnt(0)
	ds_read_b64 v[6:7], v20 offset:16
	ds_read_b64 v[23:24], v8
	s_waitcnt lgkmcnt(0)
	v_fma_f32 v23, v4, v6, v23
	v_fmac_f32_e32 v24, v5, v6
	v_fmac_f32_e32 v23, v5, v7
	v_fma_f32 v24, v4, -v7, v24
	ds_write_b64 v8, v[23:24]
	s_waitcnt lgkmcnt(0)
	ds_read_b64 v[6:7], v22 offset:144
	ds_read_b64 v[4:5], v15 offset:24
	s_waitcnt lgkmcnt(1)
	v_cmp_neq_f32_e32 vcc, 0, v6
	v_cmp_neq_f32_e64 s[2:3], 0, v7
	s_or_b64 vcc, vcc, s[2:3]
	v_cndmask_b32_e32 v6, 1.0, v6, vcc
	s_nor_b64 s[24:25], vcc, s[0:1]
	v_cndmask_b32_e32 v7, 0, v7, vcc
	s_and_saveexec_b64 s[2:3], s[24:25]
	s_cbranch_execz .LBB43_11
; %bb.48:                               ;   in Loop: Header=BB43_12 Depth=1
	v_mbcnt_lo_u32_b32 v6, exec_lo, 0
	v_mbcnt_hi_u32_b32 v6, exec_hi, v6
	v_cmp_eq_u32_e32 vcc, 0, v6
	s_and_saveexec_b64 s[24:25], vcc
	s_cbranch_execz .LBB43_10
; %bb.49:                               ;   in Loop: Header=BB43_12 Depth=1
	v_mov_b32_e32 v6, s23
	global_atomic_smin v22, v6, s[14:15]
	s_branch .LBB43_10
.LBB43_50:                              ;   in Loop: Header=BB43_12 Depth=1
                                        ; implicit-def: $sgpr22
	s_cbranch_execz .LBB43_12
.LBB43_51:
	s_waitcnt lgkmcnt(0)
	s_cmp_eq_u32 s33, 0
	s_cselect_b64 vcc, -1, 0
	v_cndmask_b32_e32 v2, v13, v11, vcc
	v_lshl_add_u32 v2, s30, 4, v2
	v_ashrrev_i32_e32 v3, 31, v2
	v_lshlrev_b64 v[2:3], 3, v[2:3]
	v_mov_b32_e32 v4, s21
	v_add_co_u32_e32 v2, vcc, s20, v2
	v_addc_co_u32_e32 v3, vcc, v4, v3, vcc
	global_load_dwordx2 v[6:7], v[2:3], off
	v_mov_b32_e32 v4, 0x140
	v_mad_u32_u24 v5, v1, 40, v4
	v_cmp_ne_u32_e64 s[2:3], 0, v1
	v_lshl_add_u32 v4, v0, 3, v5
	v_cmp_eq_u32_e32 vcc, 0, v1
	s_waitcnt vmcnt(0)
	ds_write_b64 v4, v[6:7]
	s_waitcnt lgkmcnt(0)
	s_and_saveexec_b64 s[4:5], vcc
	s_cbranch_execz .LBB43_59
; %bb.52:
	v_mov_b32_e32 v11, 0
	ds_read2_b64 v[12:15], v11 offset0:40 offset1:60
	s_waitcnt lgkmcnt(0)
	v_sub_f32_e32 v6, v12, v14
	v_sub_f32_e32 v12, v13, v15
	v_cmp_gt_f32_e32 vcc, 0, v6
	v_cndmask_b32_e64 v6, v6, -v6, vcc
	v_cmp_gt_f32_e32 vcc, 0, v12
	v_cndmask_b32_e64 v7, v12, -v12, vcc
	v_cmp_ngt_f32_e32 vcc, v6, v7
	s_cbranch_vccz .LBB43_56
; %bb.53:
	v_cmp_eq_f32_e32 vcc, 0, v12
	s_cbranch_vccnz .LBB43_55
; %bb.54:
	v_div_scale_f32 v11, s[0:1], v7, v7, v6
	v_div_scale_f32 v12, vcc, v6, v7, v6
	s_mov_b32 s0, 0xf800000
	v_rcp_f32_e32 v13, v11
	v_fma_f32 v14, -v11, v13, 1.0
	v_fmac_f32_e32 v13, v14, v13
	v_mul_f32_e32 v14, v12, v13
	v_fma_f32 v15, -v11, v14, v12
	v_fmac_f32_e32 v14, v15, v13
	v_fma_f32 v11, -v11, v14, v12
	v_div_fmas_f32 v11, v11, v13, v14
	v_mov_b32_e32 v13, 0x260
	v_div_fixup_f32 v11, v11, v7, v6
	v_fma_f32 v11, v11, v11, 1.0
	v_mul_f32_e32 v12, 0x4f800000, v11
	v_cmp_gt_f32_e32 vcc, s0, v11
	v_cndmask_b32_e32 v11, v11, v12, vcc
	v_sqrt_f32_e32 v12, v11
	v_add_u32_e32 v14, -1, v12
	v_add_u32_e32 v15, 1, v12
	v_fma_f32 v16, -v14, v12, v11
	v_fma_f32 v17, -v15, v12, v11
	v_cmp_ge_f32_e64 s[0:1], 0, v16
	v_cndmask_b32_e64 v12, v12, v14, s[0:1]
	v_cmp_lt_f32_e64 s[0:1], 0, v17
	v_cndmask_b32_e64 v12, v12, v15, s[0:1]
	v_mul_f32_e32 v14, 0x37800000, v12
	v_cndmask_b32_e32 v12, v12, v14, vcc
	v_cmp_class_f32_e32 vcc, v11, v13
	v_cndmask_b32_e32 v11, v12, v11, vcc
	v_mul_f32_e32 v11, v7, v11
.LBB43_55:
	s_cbranch_execz .LBB43_57
	s_branch .LBB43_58
.LBB43_56:
                                        ; implicit-def: $vgpr11
.LBB43_57:
	v_div_scale_f32 v11, s[0:1], v6, v6, v7
	v_div_scale_f32 v12, vcc, v7, v6, v7
	s_mov_b32 s0, 0xf800000
	v_rcp_f32_e32 v13, v11
	v_fma_f32 v14, -v11, v13, 1.0
	v_fmac_f32_e32 v13, v14, v13
	v_mul_f32_e32 v14, v12, v13
	v_fma_f32 v15, -v11, v14, v12
	v_fmac_f32_e32 v14, v15, v13
	v_fma_f32 v11, -v11, v14, v12
	v_div_fmas_f32 v11, v11, v13, v14
	v_mov_b32_e32 v12, 0x260
	v_div_fixup_f32 v7, v11, v6, v7
	v_fma_f32 v7, v7, v7, 1.0
	v_mul_f32_e32 v11, 0x4f800000, v7
	v_cmp_gt_f32_e32 vcc, s0, v7
	v_cndmask_b32_e32 v7, v7, v11, vcc
	v_sqrt_f32_e32 v11, v7
	v_add_u32_e32 v13, -1, v11
	v_add_u32_e32 v14, 1, v11
	v_fma_f32 v15, -v13, v11, v7
	v_fma_f32 v16, -v14, v11, v7
	v_cmp_ge_f32_e64 s[0:1], 0, v15
	v_cndmask_b32_e64 v11, v11, v13, s[0:1]
	v_cmp_lt_f32_e64 s[0:1], 0, v16
	v_cndmask_b32_e64 v11, v11, v14, s[0:1]
	v_mul_f32_e32 v13, 0x37800000, v11
	v_cndmask_b32_e32 v11, v11, v13, vcc
	v_cmp_class_f32_e32 vcc, v7, v12
	v_cndmask_b32_e32 v7, v11, v7, vcc
	v_mul_f32_e32 v11, v6, v7
.LBB43_58:
	s_mov_b32 s0, 0xf800000
	v_mul_f32_e32 v6, 0x4f800000, v11
	v_cmp_gt_f32_e32 vcc, s0, v11
	v_cndmask_b32_e32 v6, v11, v6, vcc
	v_sqrt_f32_e32 v7, v6
	v_add_u32_e32 v11, -1, v7
	v_fma_f32 v12, -v11, v7, v6
	v_cmp_ge_f32_e64 s[0:1], 0, v12
	v_add_u32_e32 v12, 1, v7
	v_cndmask_b32_e64 v11, v7, v11, s[0:1]
	v_fma_f32 v7, -v12, v7, v6
	v_cmp_lt_f32_e64 s[0:1], 0, v7
	v_cndmask_b32_e64 v7, v11, v12, s[0:1]
	v_mul_f32_e32 v11, 0x37800000, v7
	v_cndmask_b32_e32 v7, v7, v11, vcc
	v_mov_b32_e32 v11, 0x260
	v_cmp_class_f32_e32 vcc, v6, v11
	v_cndmask_b32_e32 v6, v7, v6, vcc
	v_mov_b32_e32 v7, 0
	ds_write_b64 v7, v[6:7] offset:320
.LBB43_59:
	s_or_b64 exec, exec, s[4:5]
	v_mov_b32_e32 v6, 0
	s_waitcnt lgkmcnt(0)
	ds_read_b64 v[11:12], v6 offset:320
	v_cmp_ne_u32_e64 s[0:1], 0, v9
	s_add_i32 s16, s12, s13
	s_waitcnt lgkmcnt(0)
	v_cmp_neq_f32_e32 vcc, 0, v11
	v_cmp_neq_f32_e64 s[4:5], 0, v12
	s_or_b64 vcc, vcc, s[4:5]
	v_cndmask_b32_e32 v7, 1.0, v11, vcc
	s_nor_b64 s[8:9], vcc, s[0:1]
	v_cndmask_b32_e32 v11, 0, v12, vcc
	s_and_saveexec_b64 s[4:5], s[8:9]
	s_cbranch_execz .LBB43_63
; %bb.60:
	v_mbcnt_lo_u32_b32 v6, exec_lo, 0
	v_mbcnt_hi_u32_b32 v6, exec_hi, v6
	v_cmp_eq_u32_e32 vcc, 0, v6
	s_and_saveexec_b64 s[8:9], vcc
	s_cbranch_execz .LBB43_62
; %bb.61:
	v_mov_b32_e32 v6, 0
	v_mov_b32_e32 v7, s16
	global_atomic_smin v6, v7, s[14:15]
.LBB43_62:
	s_or_b64 exec, exec, s[8:9]
	v_mov_b32_e32 v11, 0
	v_mov_b32_e32 v7, 1.0
.LBB43_63:
	s_or_b64 exec, exec, s[4:5]
	v_mov_b32_e32 v6, 0x140
	v_mad_u32_u24 v6, v0, 40, v6
	s_and_saveexec_b64 s[4:5], s[2:3]
	s_cbranch_execz .LBB43_65
; %bb.64:
	v_mul_f32_e32 v16, v11, v11
	v_fmac_f32_e32 v16, v7, v7
	v_div_scale_f32 v12, s[2:3], v16, v16, 1.0
	v_div_scale_f32 v13, vcc, 1.0, v16, 1.0
	v_rcp_f32_e32 v14, v12
	v_fma_f32 v15, -v12, v14, 1.0
	v_fmac_f32_e32 v14, v15, v14
	v_mul_f32_e32 v15, v13, v14
	v_fma_f32 v17, -v12, v15, v13
	v_fmac_f32_e32 v15, v17, v14
	v_fma_f32 v12, -v12, v15, v13
	v_div_fmas_f32 v17, v12, v14, v15
	ds_read_b64 v[12:13], v5
	ds_read_b64 v[14:15], v10
	s_waitcnt lgkmcnt(0)
	v_sub_f32_e32 v12, v12, v14
	v_sub_f32_e32 v13, v13, v15
	v_mul_f32_e32 v14, v11, v13
	v_mul_f32_e64 v15, v11, -v12
	v_fmac_f32_e32 v14, v12, v7
	v_fmac_f32_e32 v15, v13, v7
	v_div_fixup_f32 v7, v17, v16, 1.0
	v_mul_f32_e32 v11, v7, v14
	v_mul_f32_e32 v12, v7, v15
	ds_write_b64 v5, v[11:12]
	s_waitcnt lgkmcnt(0)
	ds_read_b64 v[13:14], v6
	ds_read_b64 v[15:16], v8
	s_waitcnt lgkmcnt(0)
	v_fma_f32 v15, v11, v13, v15
	v_fmac_f32_e32 v16, v12, v13
	v_fmac_f32_e32 v15, v12, v14
	v_fma_f32 v16, v11, -v14, v16
	ds_write_b64 v8, v[15:16]
.LBB43_65:
	s_or_b64 exec, exec, s[4:5]
	v_cmp_eq_u32_e32 vcc, 1, v1
	s_waitcnt lgkmcnt(0)
	s_and_saveexec_b64 s[4:5], vcc
	s_cbranch_execz .LBB43_73
; %bb.66:
	v_mov_b32_e32 v12, 0
	ds_read2_b64 v[13:16], v12 offset0:46 offset1:66
	s_waitcnt lgkmcnt(0)
	v_sub_f32_e32 v7, v13, v15
	v_sub_f32_e32 v13, v14, v16
	v_cmp_gt_f32_e32 vcc, 0, v7
	v_cndmask_b32_e64 v7, v7, -v7, vcc
	v_cmp_gt_f32_e32 vcc, 0, v13
	v_cndmask_b32_e64 v11, v13, -v13, vcc
	v_cmp_gt_f32_e32 vcc, v7, v11
	s_cbranch_vccnz .LBB43_70
; %bb.67:
	v_cmp_eq_f32_e32 vcc, 0, v13
	s_cbranch_vccnz .LBB43_69
; %bb.68:
	v_div_scale_f32 v12, s[2:3], v11, v11, v7
	v_div_scale_f32 v13, vcc, v7, v11, v7
	s_mov_b32 s2, 0xf800000
	v_rcp_f32_e32 v14, v12
	v_fma_f32 v15, -v12, v14, 1.0
	v_fmac_f32_e32 v14, v15, v14
	v_mul_f32_e32 v15, v13, v14
	v_fma_f32 v16, -v12, v15, v13
	v_fmac_f32_e32 v15, v16, v14
	v_fma_f32 v12, -v12, v15, v13
	v_div_fmas_f32 v12, v12, v14, v15
	v_mov_b32_e32 v14, 0x260
	v_div_fixup_f32 v12, v12, v11, v7
	v_fma_f32 v12, v12, v12, 1.0
	v_mul_f32_e32 v13, 0x4f800000, v12
	v_cmp_gt_f32_e32 vcc, s2, v12
	v_cndmask_b32_e32 v12, v12, v13, vcc
	v_sqrt_f32_e32 v13, v12
	v_add_u32_e32 v15, -1, v13
	v_add_u32_e32 v16, 1, v13
	v_fma_f32 v17, -v15, v13, v12
	v_fma_f32 v18, -v16, v13, v12
	v_cmp_ge_f32_e64 s[2:3], 0, v17
	v_cndmask_b32_e64 v13, v13, v15, s[2:3]
	v_cmp_lt_f32_e64 s[2:3], 0, v18
	v_cndmask_b32_e64 v13, v13, v16, s[2:3]
	v_mul_f32_e32 v15, 0x37800000, v13
	v_cndmask_b32_e32 v13, v13, v15, vcc
	v_cmp_class_f32_e32 vcc, v12, v14
	v_cndmask_b32_e32 v12, v13, v12, vcc
	v_mul_f32_e32 v12, v11, v12
.LBB43_69:
	s_cbranch_execz .LBB43_71
	s_branch .LBB43_72
.LBB43_70:
                                        ; implicit-def: $vgpr12
.LBB43_71:
	v_div_scale_f32 v12, s[2:3], v7, v7, v11
	v_div_scale_f32 v13, vcc, v11, v7, v11
	s_mov_b32 s2, 0xf800000
	v_rcp_f32_e32 v14, v12
	v_fma_f32 v15, -v12, v14, 1.0
	v_fmac_f32_e32 v14, v15, v14
	v_mul_f32_e32 v15, v13, v14
	v_fma_f32 v16, -v12, v15, v13
	v_fmac_f32_e32 v15, v16, v14
	v_fma_f32 v12, -v12, v15, v13
	v_div_fmas_f32 v12, v12, v14, v15
	v_mov_b32_e32 v13, 0x260
	v_div_fixup_f32 v11, v12, v7, v11
	v_fma_f32 v11, v11, v11, 1.0
	v_mul_f32_e32 v12, 0x4f800000, v11
	v_cmp_gt_f32_e32 vcc, s2, v11
	v_cndmask_b32_e32 v11, v11, v12, vcc
	v_sqrt_f32_e32 v12, v11
	v_add_u32_e32 v14, -1, v12
	v_add_u32_e32 v15, 1, v12
	v_fma_f32 v16, -v14, v12, v11
	v_fma_f32 v17, -v15, v12, v11
	v_cmp_ge_f32_e64 s[2:3], 0, v16
	v_cndmask_b32_e64 v12, v12, v14, s[2:3]
	v_cmp_lt_f32_e64 s[2:3], 0, v17
	v_cndmask_b32_e64 v12, v12, v15, s[2:3]
	v_mul_f32_e32 v14, 0x37800000, v12
	v_cndmask_b32_e32 v12, v12, v14, vcc
	v_cmp_class_f32_e32 vcc, v11, v13
	v_cndmask_b32_e32 v11, v12, v11, vcc
	v_mul_f32_e32 v12, v7, v11
.LBB43_72:
	s_mov_b32 s2, 0xf800000
	v_mul_f32_e32 v7, 0x4f800000, v12
	v_cmp_gt_f32_e32 vcc, s2, v12
	v_cndmask_b32_e32 v7, v12, v7, vcc
	v_sqrt_f32_e32 v11, v7
	v_add_u32_e32 v12, -1, v11
	v_fma_f32 v13, -v12, v11, v7
	v_cmp_ge_f32_e64 s[2:3], 0, v13
	v_add_u32_e32 v13, 1, v11
	v_cndmask_b32_e64 v12, v11, v12, s[2:3]
	v_fma_f32 v11, -v13, v11, v7
	v_cmp_lt_f32_e64 s[2:3], 0, v11
	v_cndmask_b32_e64 v11, v12, v13, s[2:3]
	v_mul_f32_e32 v12, 0x37800000, v11
	v_cndmask_b32_e32 v11, v11, v12, vcc
	v_mov_b32_e32 v12, 0x260
	v_cmp_class_f32_e32 vcc, v7, v12
	v_cndmask_b32_e32 v11, v11, v7, vcc
	v_mov_b32_e32 v12, 0
	ds_write_b64 v12, v[11:12] offset:368
.LBB43_73:
	s_or_b64 exec, exec, s[4:5]
	v_mov_b32_e32 v7, 0
	s_waitcnt lgkmcnt(0)
	ds_read_b64 v[11:12], v7 offset:368
	s_waitcnt lgkmcnt(0)
	v_cmp_neq_f32_e32 vcc, 0, v11
	v_cmp_neq_f32_e64 s[2:3], 0, v12
	s_or_b64 vcc, vcc, s[2:3]
	v_cndmask_b32_e32 v7, 1.0, v11, vcc
	s_nor_b64 s[4:5], vcc, s[0:1]
	v_cndmask_b32_e32 v11, 0, v12, vcc
	s_and_saveexec_b64 s[2:3], s[4:5]
	s_cbranch_execz .LBB43_77
; %bb.74:
	v_mbcnt_lo_u32_b32 v7, exec_lo, 0
	v_mbcnt_hi_u32_b32 v7, exec_hi, v7
	v_cmp_eq_u32_e32 vcc, 0, v7
	s_and_saveexec_b64 s[4:5], vcc
	s_cbranch_execz .LBB43_76
; %bb.75:
	v_mov_b32_e32 v7, 0
	v_mov_b32_e32 v11, s16
	global_atomic_smin v7, v11, s[14:15]
.LBB43_76:
	s_or_b64 exec, exec, s[4:5]
	v_mov_b32_e32 v11, 0
	v_mov_b32_e32 v7, 1.0
.LBB43_77:
	s_or_b64 exec, exec, s[2:3]
	v_cmp_lt_u32_e32 vcc, 1, v1
	s_and_saveexec_b64 s[2:3], vcc
	s_cbranch_execz .LBB43_79
; %bb.78:
	v_mul_f32_e32 v16, v11, v11
	v_fmac_f32_e32 v16, v7, v7
	v_div_scale_f32 v12, s[4:5], v16, v16, 1.0
	v_div_scale_f32 v13, vcc, 1.0, v16, 1.0
	v_rcp_f32_e32 v14, v12
	v_fma_f32 v15, -v12, v14, 1.0
	v_fmac_f32_e32 v14, v15, v14
	v_mul_f32_e32 v15, v13, v14
	v_fma_f32 v17, -v12, v15, v13
	v_fmac_f32_e32 v15, v17, v14
	v_fma_f32 v12, -v12, v15, v13
	v_div_fmas_f32 v17, v12, v14, v15
	ds_read_b64 v[12:13], v5 offset:8
	ds_read_b64 v[14:15], v10 offset:8
	s_waitcnt lgkmcnt(0)
	v_sub_f32_e32 v12, v12, v14
	v_sub_f32_e32 v13, v13, v15
	v_mul_f32_e32 v14, v11, v13
	v_mul_f32_e64 v15, v11, -v12
	v_fmac_f32_e32 v14, v12, v7
	v_fmac_f32_e32 v15, v13, v7
	v_div_fixup_f32 v7, v17, v16, 1.0
	v_mul_f32_e32 v11, v7, v14
	v_mul_f32_e32 v12, v7, v15
	ds_write_b64 v5, v[11:12] offset:8
	s_waitcnt lgkmcnt(0)
	ds_read_b64 v[13:14], v6 offset:8
	ds_read_b64 v[15:16], v8
	s_waitcnt lgkmcnt(0)
	v_fma_f32 v15, v11, v13, v15
	v_fmac_f32_e32 v16, v12, v13
	v_fmac_f32_e32 v15, v12, v14
	v_fma_f32 v16, v11, -v14, v16
	ds_write_b64 v8, v[15:16]
.LBB43_79:
	s_or_b64 exec, exec, s[2:3]
	v_cmp_eq_u32_e32 vcc, 2, v1
	s_waitcnt lgkmcnt(0)
	s_and_saveexec_b64 s[4:5], vcc
	s_cbranch_execz .LBB43_87
; %bb.80:
	v_mov_b32_e32 v12, 0
	ds_read2_b64 v[13:16], v12 offset0:52 offset1:72
	s_waitcnt lgkmcnt(0)
	v_sub_f32_e32 v7, v13, v15
	v_sub_f32_e32 v13, v14, v16
	v_cmp_gt_f32_e32 vcc, 0, v7
	v_cndmask_b32_e64 v7, v7, -v7, vcc
	v_cmp_gt_f32_e32 vcc, 0, v13
	v_cndmask_b32_e64 v11, v13, -v13, vcc
	v_cmp_gt_f32_e32 vcc, v7, v11
	s_cbranch_vccnz .LBB43_84
; %bb.81:
	v_cmp_eq_f32_e32 vcc, 0, v13
	s_cbranch_vccnz .LBB43_83
; %bb.82:
	v_div_scale_f32 v12, s[2:3], v11, v11, v7
	v_div_scale_f32 v13, vcc, v7, v11, v7
	s_mov_b32 s2, 0xf800000
	v_rcp_f32_e32 v14, v12
	v_fma_f32 v15, -v12, v14, 1.0
	v_fmac_f32_e32 v14, v15, v14
	v_mul_f32_e32 v15, v13, v14
	v_fma_f32 v16, -v12, v15, v13
	v_fmac_f32_e32 v15, v16, v14
	v_fma_f32 v12, -v12, v15, v13
	v_div_fmas_f32 v12, v12, v14, v15
	v_mov_b32_e32 v14, 0x260
	v_div_fixup_f32 v12, v12, v11, v7
	v_fma_f32 v12, v12, v12, 1.0
	v_mul_f32_e32 v13, 0x4f800000, v12
	v_cmp_gt_f32_e32 vcc, s2, v12
	v_cndmask_b32_e32 v12, v12, v13, vcc
	v_sqrt_f32_e32 v13, v12
	v_add_u32_e32 v15, -1, v13
	v_add_u32_e32 v16, 1, v13
	v_fma_f32 v17, -v15, v13, v12
	v_fma_f32 v18, -v16, v13, v12
	v_cmp_ge_f32_e64 s[2:3], 0, v17
	v_cndmask_b32_e64 v13, v13, v15, s[2:3]
	v_cmp_lt_f32_e64 s[2:3], 0, v18
	v_cndmask_b32_e64 v13, v13, v16, s[2:3]
	v_mul_f32_e32 v15, 0x37800000, v13
	v_cndmask_b32_e32 v13, v13, v15, vcc
	v_cmp_class_f32_e32 vcc, v12, v14
	v_cndmask_b32_e32 v12, v13, v12, vcc
	v_mul_f32_e32 v12, v11, v12
.LBB43_83:
	s_cbranch_execz .LBB43_85
	s_branch .LBB43_86
.LBB43_84:
                                        ; implicit-def: $vgpr12
.LBB43_85:
	v_div_scale_f32 v12, s[2:3], v7, v7, v11
	v_div_scale_f32 v13, vcc, v11, v7, v11
	s_mov_b32 s2, 0xf800000
	v_rcp_f32_e32 v14, v12
	v_fma_f32 v15, -v12, v14, 1.0
	v_fmac_f32_e32 v14, v15, v14
	v_mul_f32_e32 v15, v13, v14
	v_fma_f32 v16, -v12, v15, v13
	v_fmac_f32_e32 v15, v16, v14
	v_fma_f32 v12, -v12, v15, v13
	v_div_fmas_f32 v12, v12, v14, v15
	v_mov_b32_e32 v13, 0x260
	v_div_fixup_f32 v11, v12, v7, v11
	v_fma_f32 v11, v11, v11, 1.0
	v_mul_f32_e32 v12, 0x4f800000, v11
	v_cmp_gt_f32_e32 vcc, s2, v11
	v_cndmask_b32_e32 v11, v11, v12, vcc
	v_sqrt_f32_e32 v12, v11
	v_add_u32_e32 v14, -1, v12
	v_add_u32_e32 v15, 1, v12
	v_fma_f32 v16, -v14, v12, v11
	v_fma_f32 v17, -v15, v12, v11
	v_cmp_ge_f32_e64 s[2:3], 0, v16
	v_cndmask_b32_e64 v12, v12, v14, s[2:3]
	v_cmp_lt_f32_e64 s[2:3], 0, v17
	v_cndmask_b32_e64 v12, v12, v15, s[2:3]
	v_mul_f32_e32 v14, 0x37800000, v12
	v_cndmask_b32_e32 v12, v12, v14, vcc
	v_cmp_class_f32_e32 vcc, v11, v13
	v_cndmask_b32_e32 v11, v12, v11, vcc
	v_mul_f32_e32 v12, v7, v11
.LBB43_86:
	s_mov_b32 s2, 0xf800000
	v_mul_f32_e32 v7, 0x4f800000, v12
	v_cmp_gt_f32_e32 vcc, s2, v12
	v_cndmask_b32_e32 v7, v12, v7, vcc
	v_sqrt_f32_e32 v11, v7
	v_add_u32_e32 v12, -1, v11
	v_fma_f32 v13, -v12, v11, v7
	v_cmp_ge_f32_e64 s[2:3], 0, v13
	v_add_u32_e32 v13, 1, v11
	v_cndmask_b32_e64 v12, v11, v12, s[2:3]
	v_fma_f32 v11, -v13, v11, v7
	v_cmp_lt_f32_e64 s[2:3], 0, v11
	v_cndmask_b32_e64 v11, v12, v13, s[2:3]
	v_mul_f32_e32 v12, 0x37800000, v11
	v_cndmask_b32_e32 v11, v11, v12, vcc
	v_mov_b32_e32 v12, 0x260
	v_cmp_class_f32_e32 vcc, v7, v12
	v_cndmask_b32_e32 v11, v11, v7, vcc
	v_mov_b32_e32 v12, 0
	ds_write_b64 v12, v[11:12] offset:416
.LBB43_87:
	s_or_b64 exec, exec, s[4:5]
	v_mov_b32_e32 v7, 0
	s_waitcnt lgkmcnt(0)
	ds_read_b64 v[11:12], v7 offset:416
	s_waitcnt lgkmcnt(0)
	v_cmp_neq_f32_e32 vcc, 0, v11
	v_cmp_neq_f32_e64 s[2:3], 0, v12
	s_or_b64 vcc, vcc, s[2:3]
	v_cndmask_b32_e32 v7, 1.0, v11, vcc
	s_nor_b64 s[4:5], vcc, s[0:1]
	v_cndmask_b32_e32 v11, 0, v12, vcc
	s_and_saveexec_b64 s[2:3], s[4:5]
	s_cbranch_execz .LBB43_91
; %bb.88:
	v_mbcnt_lo_u32_b32 v7, exec_lo, 0
	v_mbcnt_hi_u32_b32 v7, exec_hi, v7
	v_cmp_eq_u32_e32 vcc, 0, v7
	s_and_saveexec_b64 s[4:5], vcc
	s_cbranch_execz .LBB43_90
; %bb.89:
	v_mov_b32_e32 v7, 0
	v_mov_b32_e32 v11, s16
	global_atomic_smin v7, v11, s[14:15]
.LBB43_90:
	s_or_b64 exec, exec, s[4:5]
	v_mov_b32_e32 v11, 0
	v_mov_b32_e32 v7, 1.0
.LBB43_91:
	s_or_b64 exec, exec, s[2:3]
	v_cmp_lt_u32_e32 vcc, 2, v1
	s_and_saveexec_b64 s[2:3], vcc
	s_cbranch_execz .LBB43_93
; %bb.92:
	v_mul_f32_e32 v16, v11, v11
	v_fmac_f32_e32 v16, v7, v7
	v_div_scale_f32 v12, s[4:5], v16, v16, 1.0
	v_div_scale_f32 v13, vcc, 1.0, v16, 1.0
	v_rcp_f32_e32 v14, v12
	v_fma_f32 v15, -v12, v14, 1.0
	v_fmac_f32_e32 v14, v15, v14
	v_mul_f32_e32 v15, v13, v14
	v_fma_f32 v17, -v12, v15, v13
	v_fmac_f32_e32 v15, v17, v14
	v_fma_f32 v12, -v12, v15, v13
	v_div_fmas_f32 v17, v12, v14, v15
	ds_read_b64 v[12:13], v5 offset:16
	ds_read_b64 v[14:15], v10 offset:16
	s_waitcnt lgkmcnt(0)
	v_sub_f32_e32 v12, v12, v14
	v_sub_f32_e32 v13, v13, v15
	v_mul_f32_e32 v14, v11, v13
	v_mul_f32_e64 v15, v11, -v12
	v_fmac_f32_e32 v14, v12, v7
	v_fmac_f32_e32 v15, v13, v7
	v_div_fixup_f32 v7, v17, v16, 1.0
	v_mul_f32_e32 v11, v7, v14
	v_mul_f32_e32 v12, v7, v15
	ds_write_b64 v5, v[11:12] offset:16
	s_waitcnt lgkmcnt(0)
	ds_read_b64 v[13:14], v6 offset:16
	ds_read_b64 v[15:16], v8
	s_waitcnt lgkmcnt(0)
	v_fma_f32 v15, v11, v13, v15
	v_fmac_f32_e32 v16, v12, v13
	v_fmac_f32_e32 v15, v12, v14
	v_fma_f32 v16, v11, -v14, v16
	ds_write_b64 v8, v[15:16]
.LBB43_93:
	s_or_b64 exec, exec, s[2:3]
	v_cmp_eq_u32_e32 vcc, 3, v1
	s_waitcnt lgkmcnt(0)
	s_and_saveexec_b64 s[4:5], vcc
	s_cbranch_execz .LBB43_101
; %bb.94:
	v_mov_b32_e32 v12, 0
	ds_read2_b64 v[13:16], v12 offset0:58 offset1:78
	s_waitcnt lgkmcnt(0)
	v_sub_f32_e32 v7, v13, v15
	v_sub_f32_e32 v13, v14, v16
	v_cmp_gt_f32_e32 vcc, 0, v7
	v_cndmask_b32_e64 v7, v7, -v7, vcc
	v_cmp_gt_f32_e32 vcc, 0, v13
	v_cndmask_b32_e64 v11, v13, -v13, vcc
	v_cmp_gt_f32_e32 vcc, v7, v11
	s_cbranch_vccnz .LBB43_98
; %bb.95:
	v_cmp_eq_f32_e32 vcc, 0, v13
	s_cbranch_vccnz .LBB43_97
; %bb.96:
	v_div_scale_f32 v12, s[2:3], v11, v11, v7
	v_div_scale_f32 v13, vcc, v7, v11, v7
	s_mov_b32 s2, 0xf800000
	v_rcp_f32_e32 v14, v12
	v_fma_f32 v15, -v12, v14, 1.0
	v_fmac_f32_e32 v14, v15, v14
	v_mul_f32_e32 v15, v13, v14
	v_fma_f32 v16, -v12, v15, v13
	v_fmac_f32_e32 v15, v16, v14
	v_fma_f32 v12, -v12, v15, v13
	v_div_fmas_f32 v12, v12, v14, v15
	v_mov_b32_e32 v14, 0x260
	v_div_fixup_f32 v12, v12, v11, v7
	v_fma_f32 v12, v12, v12, 1.0
	v_mul_f32_e32 v13, 0x4f800000, v12
	v_cmp_gt_f32_e32 vcc, s2, v12
	v_cndmask_b32_e32 v12, v12, v13, vcc
	v_sqrt_f32_e32 v13, v12
	v_add_u32_e32 v15, -1, v13
	v_add_u32_e32 v16, 1, v13
	v_fma_f32 v17, -v15, v13, v12
	v_fma_f32 v18, -v16, v13, v12
	v_cmp_ge_f32_e64 s[2:3], 0, v17
	v_cndmask_b32_e64 v13, v13, v15, s[2:3]
	v_cmp_lt_f32_e64 s[2:3], 0, v18
	v_cndmask_b32_e64 v13, v13, v16, s[2:3]
	v_mul_f32_e32 v15, 0x37800000, v13
	v_cndmask_b32_e32 v13, v13, v15, vcc
	v_cmp_class_f32_e32 vcc, v12, v14
	v_cndmask_b32_e32 v12, v13, v12, vcc
	v_mul_f32_e32 v12, v11, v12
.LBB43_97:
	s_cbranch_execz .LBB43_99
	s_branch .LBB43_100
.LBB43_98:
                                        ; implicit-def: $vgpr12
.LBB43_99:
	v_div_scale_f32 v12, s[2:3], v7, v7, v11
	v_div_scale_f32 v13, vcc, v11, v7, v11
	s_mov_b32 s2, 0xf800000
	v_rcp_f32_e32 v14, v12
	v_fma_f32 v15, -v12, v14, 1.0
	v_fmac_f32_e32 v14, v15, v14
	v_mul_f32_e32 v15, v13, v14
	v_fma_f32 v16, -v12, v15, v13
	v_fmac_f32_e32 v15, v16, v14
	v_fma_f32 v12, -v12, v15, v13
	v_div_fmas_f32 v12, v12, v14, v15
	v_mov_b32_e32 v13, 0x260
	v_div_fixup_f32 v11, v12, v7, v11
	v_fma_f32 v11, v11, v11, 1.0
	v_mul_f32_e32 v12, 0x4f800000, v11
	v_cmp_gt_f32_e32 vcc, s2, v11
	v_cndmask_b32_e32 v11, v11, v12, vcc
	v_sqrt_f32_e32 v12, v11
	v_add_u32_e32 v14, -1, v12
	v_add_u32_e32 v15, 1, v12
	v_fma_f32 v16, -v14, v12, v11
	v_fma_f32 v17, -v15, v12, v11
	v_cmp_ge_f32_e64 s[2:3], 0, v16
	v_cndmask_b32_e64 v12, v12, v14, s[2:3]
	v_cmp_lt_f32_e64 s[2:3], 0, v17
	v_cndmask_b32_e64 v12, v12, v15, s[2:3]
	v_mul_f32_e32 v14, 0x37800000, v12
	v_cndmask_b32_e32 v12, v12, v14, vcc
	v_cmp_class_f32_e32 vcc, v11, v13
	v_cndmask_b32_e32 v11, v12, v11, vcc
	v_mul_f32_e32 v12, v7, v11
.LBB43_100:
	s_mov_b32 s2, 0xf800000
	v_mul_f32_e32 v7, 0x4f800000, v12
	v_cmp_gt_f32_e32 vcc, s2, v12
	v_cndmask_b32_e32 v7, v12, v7, vcc
	v_sqrt_f32_e32 v11, v7
	v_add_u32_e32 v12, -1, v11
	v_fma_f32 v13, -v12, v11, v7
	v_cmp_ge_f32_e64 s[2:3], 0, v13
	v_add_u32_e32 v13, 1, v11
	v_cndmask_b32_e64 v12, v11, v12, s[2:3]
	v_fma_f32 v11, -v13, v11, v7
	v_cmp_lt_f32_e64 s[2:3], 0, v11
	v_cndmask_b32_e64 v11, v12, v13, s[2:3]
	v_mul_f32_e32 v12, 0x37800000, v11
	v_cndmask_b32_e32 v11, v11, v12, vcc
	v_mov_b32_e32 v12, 0x260
	v_cmp_class_f32_e32 vcc, v7, v12
	v_cndmask_b32_e32 v11, v11, v7, vcc
	v_mov_b32_e32 v12, 0
	ds_write_b64 v12, v[11:12] offset:464
.LBB43_101:
	s_or_b64 exec, exec, s[4:5]
	v_mov_b32_e32 v7, 0
	s_waitcnt lgkmcnt(0)
	ds_read_b64 v[11:12], v7 offset:464
	s_waitcnt lgkmcnt(0)
	v_cmp_neq_f32_e32 vcc, 0, v11
	v_cmp_neq_f32_e64 s[2:3], 0, v12
	s_or_b64 vcc, vcc, s[2:3]
	v_cndmask_b32_e32 v7, 1.0, v11, vcc
	s_nor_b64 s[2:3], vcc, s[0:1]
	v_cndmask_b32_e32 v11, 0, v12, vcc
	s_and_saveexec_b64 s[0:1], s[2:3]
	s_cbranch_execz .LBB43_105
; %bb.102:
	v_mbcnt_lo_u32_b32 v7, exec_lo, 0
	v_mbcnt_hi_u32_b32 v7, exec_hi, v7
	v_cmp_eq_u32_e32 vcc, 0, v7
	s_and_saveexec_b64 s[2:3], vcc
	s_cbranch_execz .LBB43_104
; %bb.103:
	v_mov_b32_e32 v7, 0
	v_mov_b32_e32 v11, s16
	global_atomic_smin v7, v11, s[14:15]
.LBB43_104:
	s_or_b64 exec, exec, s[2:3]
	v_mov_b32_e32 v11, 0
	v_mov_b32_e32 v7, 1.0
.LBB43_105:
	s_or_b64 exec, exec, s[0:1]
	v_cmp_lt_u32_e32 vcc, 3, v1
	s_and_saveexec_b64 s[0:1], vcc
	s_cbranch_execz .LBB43_107
; %bb.106:
	v_mul_f32_e32 v16, v11, v11
	v_fmac_f32_e32 v16, v7, v7
	v_div_scale_f32 v12, s[2:3], v16, v16, 1.0
	v_div_scale_f32 v13, vcc, 1.0, v16, 1.0
	v_rcp_f32_e32 v14, v12
	v_fma_f32 v15, -v12, v14, 1.0
	v_fmac_f32_e32 v14, v15, v14
	v_mul_f32_e32 v15, v13, v14
	v_fma_f32 v17, -v12, v15, v13
	v_fmac_f32_e32 v15, v17, v14
	v_fma_f32 v12, -v12, v15, v13
	v_div_fmas_f32 v17, v12, v14, v15
	ds_read_b64 v[12:13], v5 offset:24
	ds_read_b64 v[14:15], v10 offset:24
	s_waitcnt lgkmcnt(0)
	v_sub_f32_e32 v10, v12, v14
	v_sub_f32_e32 v12, v13, v15
	v_mul_f32_e32 v13, v11, v12
	v_mul_f32_e64 v11, v11, -v10
	v_fmac_f32_e32 v13, v10, v7
	v_fmac_f32_e32 v11, v12, v7
	v_div_fixup_f32 v7, v17, v16, 1.0
	v_mul_f32_e32 v10, v7, v13
	v_mul_f32_e32 v11, v7, v11
	ds_write_b64 v5, v[10:11] offset:24
	s_waitcnt lgkmcnt(0)
	ds_read_b64 v[5:6], v6 offset:24
	ds_read_b64 v[12:13], v8
	s_waitcnt lgkmcnt(0)
	v_fma_f32 v12, v10, v5, v12
	v_fmac_f32_e32 v13, v11, v5
	v_fmac_f32_e32 v12, v11, v6
	v_fma_f32 v13, v10, -v6, v13
	ds_write_b64 v8, v[12:13]
.LBB43_107:
	s_or_b64 exec, exec, s[0:1]
	s_waitcnt lgkmcnt(0)
	ds_read_b64 v[4:5], v4
	v_cmp_eq_u32_e32 vcc, 0, v9
	s_waitcnt lgkmcnt(0)
	global_store_dwordx2 v[2:3], v[4:5], off
	s_and_saveexec_b64 s[0:1], vcc
	s_cbranch_execz .LBB43_109
; %bb.108:
	s_add_u32 s2, s10, s6
	s_addc_u32 s3, s11, s7
	v_mov_b32_e32 v2, 0
	v_mov_b32_e32 v3, 1
	s_waitcnt vmcnt(0)
	global_store_dword v2, v3, s[2:3]
.LBB43_109:
	s_or_b64 exec, exec, s[0:1]
	s_branch .LBB43_7
.LBB43_110:
	v_or_b32_e32 v0, v0, v1
	v_cmp_eq_u32_e32 vcc, 0, v0
	s_and_saveexec_b64 s[0:1], vcc
	s_cbranch_execz .LBB43_7
; %bb.111:
	v_mbcnt_lo_u32_b32 v0, exec_lo, 0
	v_mbcnt_hi_u32_b32 v0, exec_hi, v0
	v_cmp_eq_u32_e32 vcc, 0, v0
	s_and_saveexec_b64 s[0:1], vcc
	s_cbranch_execz .LBB43_113
; %bb.112:
	s_add_i32 s2, s12, s13
	v_mov_b32_e32 v0, 0
	v_mov_b32_e32 v1, s2
	global_atomic_smin v0, v1, s[14:15]
.LBB43_113:
	s_or_b64 exec, exec, s[0:1]
	s_add_u32 s0, s10, s6
	s_addc_u32 s1, s11, s7
	v_mov_b32_e32 v0, 0
	v_mov_b32_e32 v1, 1
	s_waitcnt vmcnt(0)
	global_store_dword v0, v1, s[0:1]
	s_endpgm
	.section	.rodata,"a",@progbits
	.p2align	6, 0x0
	.amdhsa_kernel _ZN9rocsparseL26bsric0_2_8_unrolled_kernelILi16ELi32ELi4E21rocsparse_complex_numIfEEEv20rocsparse_direction_iiPKiS5_PT2_S5_PiS5_S8_21rocsparse_index_base_
		.amdhsa_group_segment_fixed_size 1024
		.amdhsa_private_segment_fixed_size 0
		.amdhsa_kernarg_size 76
		.amdhsa_user_sgpr_count 6
		.amdhsa_user_sgpr_private_segment_buffer 1
		.amdhsa_user_sgpr_dispatch_ptr 0
		.amdhsa_user_sgpr_queue_ptr 0
		.amdhsa_user_sgpr_kernarg_segment_ptr 1
		.amdhsa_user_sgpr_dispatch_id 0
		.amdhsa_user_sgpr_flat_scratch_init 0
		.amdhsa_user_sgpr_private_segment_size 0
		.amdhsa_uses_dynamic_stack 0
		.amdhsa_system_sgpr_private_segment_wavefront_offset 0
		.amdhsa_system_sgpr_workgroup_id_x 1
		.amdhsa_system_sgpr_workgroup_id_y 0
		.amdhsa_system_sgpr_workgroup_id_z 0
		.amdhsa_system_sgpr_workgroup_info 0
		.amdhsa_system_vgpr_workitem_id 1
		.amdhsa_next_free_vgpr 44
		.amdhsa_next_free_sgpr 40
		.amdhsa_reserve_vcc 1
		.amdhsa_reserve_flat_scratch 0
		.amdhsa_float_round_mode_32 0
		.amdhsa_float_round_mode_16_64 0
		.amdhsa_float_denorm_mode_32 3
		.amdhsa_float_denorm_mode_16_64 3
		.amdhsa_dx10_clamp 1
		.amdhsa_ieee_mode 1
		.amdhsa_fp16_overflow 0
		.amdhsa_exception_fp_ieee_invalid_op 0
		.amdhsa_exception_fp_denorm_src 0
		.amdhsa_exception_fp_ieee_div_zero 0
		.amdhsa_exception_fp_ieee_overflow 0
		.amdhsa_exception_fp_ieee_underflow 0
		.amdhsa_exception_fp_ieee_inexact 0
		.amdhsa_exception_int_div_zero 0
	.end_amdhsa_kernel
	.section	.text._ZN9rocsparseL26bsric0_2_8_unrolled_kernelILi16ELi32ELi4E21rocsparse_complex_numIfEEEv20rocsparse_direction_iiPKiS5_PT2_S5_PiS5_S8_21rocsparse_index_base_,"axG",@progbits,_ZN9rocsparseL26bsric0_2_8_unrolled_kernelILi16ELi32ELi4E21rocsparse_complex_numIfEEEv20rocsparse_direction_iiPKiS5_PT2_S5_PiS5_S8_21rocsparse_index_base_,comdat
.Lfunc_end43:
	.size	_ZN9rocsparseL26bsric0_2_8_unrolled_kernelILi16ELi32ELi4E21rocsparse_complex_numIfEEEv20rocsparse_direction_iiPKiS5_PT2_S5_PiS5_S8_21rocsparse_index_base_, .Lfunc_end43-_ZN9rocsparseL26bsric0_2_8_unrolled_kernelILi16ELi32ELi4E21rocsparse_complex_numIfEEEv20rocsparse_direction_iiPKiS5_PT2_S5_PiS5_S8_21rocsparse_index_base_
                                        ; -- End function
	.set _ZN9rocsparseL26bsric0_2_8_unrolled_kernelILi16ELi32ELi4E21rocsparse_complex_numIfEEEv20rocsparse_direction_iiPKiS5_PT2_S5_PiS5_S8_21rocsparse_index_base_.num_vgpr, 44
	.set _ZN9rocsparseL26bsric0_2_8_unrolled_kernelILi16ELi32ELi4E21rocsparse_complex_numIfEEEv20rocsparse_direction_iiPKiS5_PT2_S5_PiS5_S8_21rocsparse_index_base_.num_agpr, 0
	.set _ZN9rocsparseL26bsric0_2_8_unrolled_kernelILi16ELi32ELi4E21rocsparse_complex_numIfEEEv20rocsparse_direction_iiPKiS5_PT2_S5_PiS5_S8_21rocsparse_index_base_.numbered_sgpr, 40
	.set _ZN9rocsparseL26bsric0_2_8_unrolled_kernelILi16ELi32ELi4E21rocsparse_complex_numIfEEEv20rocsparse_direction_iiPKiS5_PT2_S5_PiS5_S8_21rocsparse_index_base_.num_named_barrier, 0
	.set _ZN9rocsparseL26bsric0_2_8_unrolled_kernelILi16ELi32ELi4E21rocsparse_complex_numIfEEEv20rocsparse_direction_iiPKiS5_PT2_S5_PiS5_S8_21rocsparse_index_base_.private_seg_size, 0
	.set _ZN9rocsparseL26bsric0_2_8_unrolled_kernelILi16ELi32ELi4E21rocsparse_complex_numIfEEEv20rocsparse_direction_iiPKiS5_PT2_S5_PiS5_S8_21rocsparse_index_base_.uses_vcc, 1
	.set _ZN9rocsparseL26bsric0_2_8_unrolled_kernelILi16ELi32ELi4E21rocsparse_complex_numIfEEEv20rocsparse_direction_iiPKiS5_PT2_S5_PiS5_S8_21rocsparse_index_base_.uses_flat_scratch, 0
	.set _ZN9rocsparseL26bsric0_2_8_unrolled_kernelILi16ELi32ELi4E21rocsparse_complex_numIfEEEv20rocsparse_direction_iiPKiS5_PT2_S5_PiS5_S8_21rocsparse_index_base_.has_dyn_sized_stack, 0
	.set _ZN9rocsparseL26bsric0_2_8_unrolled_kernelILi16ELi32ELi4E21rocsparse_complex_numIfEEEv20rocsparse_direction_iiPKiS5_PT2_S5_PiS5_S8_21rocsparse_index_base_.has_recursion, 0
	.set _ZN9rocsparseL26bsric0_2_8_unrolled_kernelILi16ELi32ELi4E21rocsparse_complex_numIfEEEv20rocsparse_direction_iiPKiS5_PT2_S5_PiS5_S8_21rocsparse_index_base_.has_indirect_call, 0
	.section	.AMDGPU.csdata,"",@progbits
; Kernel info:
; codeLenInByte = 7208
; TotalNumSgprs: 44
; NumVgprs: 44
; ScratchSize: 0
; MemoryBound: 0
; FloatMode: 240
; IeeeMode: 1
; LDSByteSize: 1024 bytes/workgroup (compile time only)
; SGPRBlocks: 5
; VGPRBlocks: 10
; NumSGPRsForWavesPerEU: 44
; NumVGPRsForWavesPerEU: 44
; Occupancy: 5
; WaveLimiterHint : 1
; COMPUTE_PGM_RSRC2:SCRATCH_EN: 0
; COMPUTE_PGM_RSRC2:USER_SGPR: 6
; COMPUTE_PGM_RSRC2:TRAP_HANDLER: 0
; COMPUTE_PGM_RSRC2:TGID_X_EN: 1
; COMPUTE_PGM_RSRC2:TGID_Y_EN: 0
; COMPUTE_PGM_RSRC2:TGID_Z_EN: 0
; COMPUTE_PGM_RSRC2:TIDIG_COMP_CNT: 1
	.section	.text._ZN9rocsparseL26bsric0_2_8_unrolled_kernelILi25ELi32ELi5E21rocsparse_complex_numIfEEEv20rocsparse_direction_iiPKiS5_PT2_S5_PiS5_S8_21rocsparse_index_base_,"axG",@progbits,_ZN9rocsparseL26bsric0_2_8_unrolled_kernelILi25ELi32ELi5E21rocsparse_complex_numIfEEEv20rocsparse_direction_iiPKiS5_PT2_S5_PiS5_S8_21rocsparse_index_base_,comdat
	.globl	_ZN9rocsparseL26bsric0_2_8_unrolled_kernelILi25ELi32ELi5E21rocsparse_complex_numIfEEEv20rocsparse_direction_iiPKiS5_PT2_S5_PiS5_S8_21rocsparse_index_base_ ; -- Begin function _ZN9rocsparseL26bsric0_2_8_unrolled_kernelILi25ELi32ELi5E21rocsparse_complex_numIfEEEv20rocsparse_direction_iiPKiS5_PT2_S5_PiS5_S8_21rocsparse_index_base_
	.p2align	8
	.type	_ZN9rocsparseL26bsric0_2_8_unrolled_kernelILi25ELi32ELi5E21rocsparse_complex_numIfEEEv20rocsparse_direction_iiPKiS5_PT2_S5_PiS5_S8_21rocsparse_index_base_,@function
_ZN9rocsparseL26bsric0_2_8_unrolled_kernelILi25ELi32ELi5E21rocsparse_complex_numIfEEEv20rocsparse_direction_iiPKiS5_PT2_S5_PiS5_S8_21rocsparse_index_base_: ; @_ZN9rocsparseL26bsric0_2_8_unrolled_kernelILi25ELi32ELi5E21rocsparse_complex_numIfEEEv20rocsparse_direction_iiPKiS5_PT2_S5_PiS5_S8_21rocsparse_index_base_
; %bb.0:
	s_load_dwordx8 s[8:15], s[4:5], 0x28
	s_mov_b32 s7, 0
	s_lshl_b64 s[0:1], s[6:7], 2
	s_waitcnt lgkmcnt(0)
	s_add_u32 s0, s12, s0
	s_addc_u32 s1, s13, s1
	s_load_dword s12, s[0:1], 0x0
	s_waitcnt lgkmcnt(0)
	s_ashr_i32 s13, s12, 31
	s_lshl_b64 s[6:7], s[12:13], 2
	s_add_u32 s0, s8, s6
	s_addc_u32 s1, s9, s7
	s_load_dword s30, s[0:1], 0x0
	s_load_dword s13, s[4:5], 0x48
	s_waitcnt lgkmcnt(0)
	s_cmp_lg_u32 s30, -1
	s_cbranch_scc0 .LBB44_58
; %bb.1:
	s_load_dwordx4 s[16:19], s[4:5], 0x10
	s_load_dwordx2 s[20:21], s[4:5], 0x20
	v_mad_u32_u24 v10, v1, 5, v0
	s_waitcnt lgkmcnt(0)
	s_add_u32 s0, s16, s6
	s_addc_u32 s1, s17, s7
	s_load_dword s0, s[0:1], 0x0
	s_waitcnt lgkmcnt(0)
	s_sub_i32 s31, s0, s13
	v_add_u32_e32 v2, s31, v10
	v_cmp_ge_i32_e32 vcc, s30, v2
	s_and_saveexec_b64 s[0:1], vcc
	s_cbranch_execz .LBB44_4
; %bb.2:
	v_mov_b32_e32 v3, 0x4c0
	v_lshl_add_u32 v5, v10, 2, v3
	v_ashrrev_i32_e32 v3, 31, v2
	v_lshlrev_b64 v[3:4], 2, v[2:3]
	v_mov_b32_e32 v6, s19
	v_add_co_u32_e32 v3, vcc, s18, v3
	v_addc_co_u32_e32 v4, vcc, v6, v4, vcc
	s_mov_b64 s[2:3], 0
.LBB44_3:                               ; =>This Inner Loop Header: Depth=1
	global_load_dword v6, v[3:4], off
	v_add_co_u32_e32 v3, vcc, 0x64, v3
	v_add_u32_e32 v2, 25, v2
	v_addc_co_u32_e32 v4, vcc, 0, v4, vcc
	v_cmp_lt_i32_e32 vcc, s30, v2
	s_or_b64 s[2:3], vcc, s[2:3]
	s_waitcnt vmcnt(0)
	v_subrev_u32_e32 v6, s13, v6
	ds_write_b32 v5, v6
	v_add_u32_e32 v5, 0x64, v5
	s_andn2_b64 exec, exec, s[2:3]
	s_cbranch_execnz .LBB44_3
.LBB44_4:
	s_or_b64 exec, exec, s[0:1]
	s_load_dword s33, s[4:5], 0x0
	v_mov_b32_e32 v2, 0x2d0
	v_mad_u32_u24 v13, v1, 48, v2
	v_mov_b32_e32 v2, 0
	v_mul_u32_u24_e32 v14, 5, v1
	v_lshl_add_u32 v12, v0, 3, v13
	v_mov_b32_e32 v3, v2
	s_cmp_ge_i32 s31, s30
	v_mad_u32_u24 v11, v0, 5, v1
	ds_write_b64 v12, v[2:3]
	s_waitcnt lgkmcnt(0)
	s_cbranch_scc1 .LBB44_51
; %bb.5:
	s_cmp_lg_u32 s33, 0
	s_cselect_b64 s[4:5], -1, 0
	s_cmp_eq_u32 s33, 0
	v_mov_b32_e32 v4, 0x1e0
	v_mov_b32_e32 v6, 0xf0
	v_mad_u32_u24 v3, v0, 5, v1
	v_mad_u32_u24 v16, v1, 48, v4
	v_lshlrev_b32_e32 v5, 3, v0
	v_mad_u32_u24 v19, v1, 48, v6
	v_mad_u32_u24 v21, v0, 48, v4
	v_or_b32_e32 v4, v0, v1
	s_cselect_b64 vcc, -1, 0
	v_mul_u32_u24_e32 v15, 5, v0
	v_add_u32_e32 v17, v16, v5
	v_mad_u32_u24 v18, v1, 48, v5
	v_add_u32_e32 v20, v19, v5
	v_cmp_ne_u32_e64 s[0:1], 0, v4
	v_cndmask_b32_e32 v3, v3, v10, vcc
	s_mov_b32 s22, s31
	s_branch .LBB44_8
.LBB44_6:                               ;   in Loop: Header=BB44_8 Depth=1
	s_or_b64 exec, exec, s[24:25]
	v_mov_b32_e32 v9, 0
	v_mov_b32_e32 v8, 1.0
.LBB44_7:                               ;   in Loop: Header=BB44_8 Depth=1
	s_or_b64 exec, exec, s[2:3]
	v_mul_f32_e32 v40, v9, v9
	v_fmac_f32_e32 v40, v8, v8
	v_div_scale_f32 v41, s[2:3], v40, v40, 1.0
	v_div_scale_f32 v42, vcc, 1.0, v40, 1.0
	ds_read_b128 v[22:25], v16
	ds_read_b128 v[26:29], v2 offset:192
	ds_read_b64 v[38:39], v19 offset:32
	ds_read_b128 v[30:33], v2 offset:208
	ds_read_b128 v[34:37], v16 offset:16
	s_add_i32 s22, s22, 1
	s_cmp_ge_i32 s22, s30
	s_cselect_b64 s[2:3], -1, 0
	s_waitcnt lgkmcnt(2)
	v_fma_f32 v39, v27, v22, v39
	v_fmac_f32_e32 v38, v26, v22
	v_fma_f32 v22, v26, -v23, v39
	v_fmac_f32_e32 v38, v27, v23
	v_fmac_f32_e32 v22, v29, v24
	;; [unrolled: 1-line block ×3, first 2 shown]
	v_fma_f32 v22, v28, -v25, v22
	v_rcp_f32_e32 v23, v41
	v_fmac_f32_e32 v38, v29, v25
	s_waitcnt lgkmcnt(0)
	v_fmac_f32_e32 v22, v31, v34
	v_fmac_f32_e32 v38, v30, v34
	v_fma_f32 v24, -v41, v23, 1.0
	v_fmac_f32_e32 v23, v24, v23
	v_mul_f32_e32 v24, v42, v23
	v_fma_f32 v26, -v41, v24, v42
	v_fmac_f32_e32 v24, v26, v23
	v_fma_f32 v26, -v41, v24, v42
	v_div_fmas_f32 v23, v26, v23, v24
	v_fma_f32 v22, v30, -v35, v22
	v_fmac_f32_e32 v38, v31, v35
	v_fmac_f32_e32 v22, v33, v36
	v_fmac_f32_e32 v38, v32, v36
	v_fma_f32 v22, v32, -v37, v22
	v_fmac_f32_e32 v38, v33, v37
	v_sub_f32_e32 v6, v6, v38
	v_sub_f32_e32 v7, v7, v22
	v_mul_f32_e32 v22, v9, v7
	v_mul_f32_e64 v9, v9, -v6
	v_fmac_f32_e32 v22, v6, v8
	v_fmac_f32_e32 v9, v7, v8
	v_div_fixup_f32 v7, v23, v40, 1.0
	v_mul_f32_e32 v6, v7, v22
	v_mul_f32_e32 v7, v7, v9
	ds_write_b64 v16, v[6:7] offset:32
	s_waitcnt lgkmcnt(0)
	ds_read_b64 v[8:9], v21 offset:32
	ds_read_b64 v[22:23], v12
	s_waitcnt lgkmcnt(0)
	v_fma_f32 v22, v6, v8, v22
	v_fmac_f32_e32 v23, v7, v8
	v_fmac_f32_e32 v22, v7, v9
	v_fma_f32 v23, v6, -v9, v23
	ds_write_b64 v12, v[22:23]
	s_waitcnt lgkmcnt(0)
	ds_read_b64 v[6:7], v17
	s_waitcnt lgkmcnt(0)
	global_store_dwordx2 v[4:5], v[6:7], off
	s_waitcnt vmcnt(0)
	buffer_wbinvl1_vol
	s_and_b64 vcc, exec, s[2:3]
	s_cbranch_vccnz .LBB44_51
.LBB44_8:                               ; =>This Loop Header: Depth=1
                                        ;     Child Loop BB44_11 Depth 2
                                        ;     Child Loop BB44_22 Depth 2
	;; [unrolled: 1-line block ×3, first 2 shown]
	s_ashr_i32 s23, s22, 31
	s_lshl_b64 s[2:3], s[22:23], 2
	s_add_u32 s2, s18, s2
	s_addc_u32 s3, s19, s3
	s_load_dword s23, s[2:3], 0x0
	s_waitcnt lgkmcnt(0)
	s_sub_i32 s24, s23, s13
	s_ashr_i32 s25, s24, 31
	s_lshl_b64 s[2:3], s[24:25], 2
	s_add_u32 s26, s8, s2
	s_addc_u32 s27, s9, s3
	s_load_dword s25, s[26:27], 0x0
	s_waitcnt lgkmcnt(0)
	s_cmp_eq_u32 s25, -1
	s_cbranch_scc1 .LBB44_50
; %bb.9:                                ;   in Loop: Header=BB44_8 Depth=1
	v_mad_u64_u32 v[4:5], s[26:27], s22, 25, v[3:4]
	v_mov_b32_e32 v6, s21
	s_add_u32 s26, s16, s2
	v_ashrrev_i32_e32 v5, 31, v4
	v_lshlrev_b64 v[4:5], 3, v[4:5]
	s_addc_u32 s27, s17, s3
	v_add_co_u32_e32 v4, vcc, s20, v4
	v_addc_co_u32_e32 v5, vcc, v6, v5, vcc
	global_load_dwordx2 v[6:7], v[4:5], off
	s_load_dword s26, s[26:27], 0x0
	ds_read_b32 v8, v2 offset:1216
	s_mov_b32 s27, 0
	s_waitcnt lgkmcnt(0)
	s_sub_i32 s26, s26, s13
	s_cmp_le_i32 s26, s25
	v_cmp_ge_i32_e32 vcc, s24, v8
	s_cselect_b64 s[28:29], -1, 0
	s_and_b64 s[28:29], s[28:29], vcc
	s_andn2_b64 vcc, exec, s[28:29]
	s_waitcnt vmcnt(0)
	ds_write_b64 v17, v[6:7]
	s_cbranch_vccnz .LBB44_21
; %bb.10:                               ;   in Loop: Header=BB44_8 Depth=1
	s_mov_b32 s34, 0
	s_mov_b32 s35, 0
.LBB44_11:                              ;   Parent Loop BB44_8 Depth=1
                                        ; =>  This Inner Loop Header: Depth=2
	s_ashr_i32 s27, s26, 31
	s_lshl_b64 s[28:29], s[26:27], 2
	s_add_u32 s28, s18, s28
	s_addc_u32 s29, s19, s29
	s_load_dword s27, s[28:29], 0x0
	s_lshl_b32 s28, s35, 2
	v_mov_b32_e32 v6, s28
	ds_read_b32 v6, v6 offset:1216
	s_mov_b64 s[28:29], -1
	s_waitcnt lgkmcnt(0)
	s_sub_i32 s39, s27, s13
                                        ; implicit-def: $sgpr27
                                        ; implicit-def: $sgpr38
                                        ; implicit-def: $sgpr37
	v_cmp_ge_i32_e32 vcc, s39, v6
	v_readfirstlane_b32 s36, v6
	s_cbranch_vccz .LBB44_17
; %bb.12:                               ;   in Loop: Header=BB44_11 Depth=2
	s_cmp_le_i32 s39, s36
                                        ; implicit-def: $sgpr27
                                        ; implicit-def: $sgpr38
                                        ; implicit-def: $sgpr37
	s_cbranch_scc0 .LBB44_14
; %bb.13:                               ;   in Loop: Header=BB44_11 Depth=2
	s_add_i32 s27, s35, s31
	s_mul_i32 s27, s27, 25
	s_lshl_b32 s28, s34, 2
	v_mov_b32_e32 v6, s28
	v_mov_b32_e32 v7, s27
	s_mul_i32 s27, s26, 25
	v_mov_b32_e32 v8, s27
	v_add_u32_e32 v6, 0x200, v6
	ds_write2_b32 v6, v8, v7 offset0:112 offset1:144
	s_add_i32 s37, s35, 1
	s_add_i32 s38, s26, 1
	s_add_i32 s27, s34, 1
	s_mov_b64 s[28:29], 0
.LBB44_14:                              ;   in Loop: Header=BB44_11 Depth=2
	s_andn2_b64 vcc, exec, s[28:29]
	s_cbranch_vccnz .LBB44_16
; %bb.15:                               ;   in Loop: Header=BB44_11 Depth=2
	s_add_i32 s37, s35, 1
	s_mov_b32 s27, s34
	s_mov_b32 s38, s26
.LBB44_16:                              ;   in Loop: Header=BB44_11 Depth=2
	s_mov_b64 s[28:29], 0
.LBB44_17:                              ;   in Loop: Header=BB44_11 Depth=2
	s_andn2_b64 vcc, exec, s[28:29]
	s_cbranch_vccnz .LBB44_19
; %bb.18:                               ;   in Loop: Header=BB44_11 Depth=2
	s_add_i32 s38, s26, 1
	s_mov_b32 s37, s35
	s_mov_b32 s27, s34
.LBB44_19:                              ;   in Loop: Header=BB44_11 Depth=2
	s_cmp_le_i32 s38, s25
	s_cselect_b64 s[28:29], -1, 0
	s_cmp_le_i32 s36, s24
	s_cselect_b64 s[34:35], -1, 0
	s_and_b64 s[28:29], s[28:29], s[34:35]
	s_and_b64 vcc, exec, s[28:29]
	s_cbranch_vccz .LBB44_21
; %bb.20:                               ;   in Loop: Header=BB44_11 Depth=2
	s_mov_b32 s34, s27
	s_mov_b32 s26, s38
	;; [unrolled: 1-line block ×3, first 2 shown]
	s_branch .LBB44_11
.LBB44_21:                              ;   in Loop: Header=BB44_8 Depth=1
	s_add_u32 s2, s10, s2
	s_addc_u32 s3, s11, s3
	s_waitcnt lgkmcnt(0)
.LBB44_22:                              ;   Parent Loop BB44_8 Depth=1
                                        ; =>  This Inner Loop Header: Depth=2
	global_load_dword v6, v2, s[2:3] glc
	s_waitcnt vmcnt(0)
	v_cmp_eq_u32_e32 vcc, 0, v6
	s_cbranch_vccnz .LBB44_22
; %bb.23:                               ;   in Loop: Header=BB44_8 Depth=1
	v_mad_u64_u32 v[6:7], s[2:3], s25, 25, v[3:4]
	v_mov_b32_e32 v8, s21
	buffer_wbinvl1_vol
	v_ashrrev_i32_e32 v7, 31, v6
	v_lshlrev_b64 v[6:7], 3, v[6:7]
	v_mov_b32_e32 v9, 0
	v_add_co_u32_e32 v6, vcc, s20, v6
	v_addc_co_u32_e32 v7, vcc, v8, v7, vcc
	global_load_dwordx2 v[6:7], v[6:7], off
	s_cmp_lt_i32 s27, 2
	v_mov_b32_e32 v8, 0
	s_waitcnt vmcnt(0)
	ds_write_b64 v18, v[6:7]
	s_waitcnt lgkmcnt(0)
	s_cbranch_scc1 .LBB44_31
; %bb.24:                               ;   in Loop: Header=BB44_8 Depth=1
	s_add_i32 s24, s27, -1
	v_mov_b32_e32 v23, 0
	s_movk_i32 s25, 0x3c0
	v_mov_b32_e32 v22, 0
.LBB44_25:                              ;   Parent Loop BB44_8 Depth=1
                                        ; =>  This Inner Loop Header: Depth=2
	s_waitcnt lgkmcnt(0)
	v_mov_b32_e32 v6, s25
	ds_read2_b32 v[6:7], v6 offset1:32
	s_mov_b64 s[2:3], -1
	s_and_b64 vcc, exec, s[4:5]
                                        ; implicit-def: $vgpr9
	s_cbranch_vccz .LBB44_28
; %bb.26:                               ;   in Loop: Header=BB44_25 Depth=2
	s_waitcnt lgkmcnt(0)
	v_add_u32_e32 v8, v6, v0
	v_ashrrev_i32_e32 v9, 31, v8
	v_lshlrev_b64 v[24:25], 3, v[8:9]
	v_add_u32_e32 v26, v7, v1
	v_ashrrev_i32_e32 v27, 31, v26
	v_mov_b32_e32 v9, s21
	v_add_co_u32_e32 v24, vcc, s20, v24
	v_lshlrev_b64 v[27:28], 3, v[26:27]
	v_add_u32_e32 v29, 5, v8
	v_addc_co_u32_e32 v25, vcc, v9, v25, vcc
	v_ashrrev_i32_e32 v30, 31, v29
	v_add_co_u32_e32 v27, vcc, s20, v27
	v_lshlrev_b64 v[29:30], 3, v[29:30]
	v_add_u32_e32 v31, 5, v26
	v_addc_co_u32_e32 v28, vcc, v9, v28, vcc
	v_ashrrev_i32_e32 v32, 31, v31
	v_add_co_u32_e32 v29, vcc, s20, v29
	v_lshlrev_b64 v[31:32], 3, v[31:32]
	v_addc_co_u32_e32 v30, vcc, v9, v30, vcc
	v_add_co_u32_e32 v31, vcc, s20, v31
	v_addc_co_u32_e32 v32, vcc, v9, v32, vcc
	global_load_dwordx2 v[33:34], v[24:25], off
	global_load_dwordx2 v[35:36], v[27:28], off
	;; [unrolled: 1-line block ×4, first 2 shown]
	v_add_u32_e32 v24, 10, v8
	v_ashrrev_i32_e32 v25, 31, v24
	v_lshlrev_b64 v[24:25], 3, v[24:25]
	v_add_u32_e32 v27, 10, v26
	v_ashrrev_i32_e32 v28, 31, v27
	v_add_co_u32_e32 v24, vcc, s20, v24
	v_lshlrev_b64 v[27:28], 3, v[27:28]
	v_add_u32_e32 v29, 15, v8
	v_addc_co_u32_e32 v25, vcc, v9, v25, vcc
	v_ashrrev_i32_e32 v30, 31, v29
	v_add_co_u32_e32 v27, vcc, s20, v27
	v_lshlrev_b64 v[29:30], 3, v[29:30]
	v_add_u32_e32 v31, 15, v26
	v_addc_co_u32_e32 v28, vcc, v9, v28, vcc
	v_ashrrev_i32_e32 v32, 31, v31
	v_add_co_u32_e32 v29, vcc, s20, v29
	v_lshlrev_b64 v[31:32], 3, v[31:32]
	v_addc_co_u32_e32 v30, vcc, v9, v30, vcc
	v_add_co_u32_e32 v31, vcc, s20, v31
	v_add_u32_e32 v8, 20, v8
	v_addc_co_u32_e32 v32, vcc, v9, v32, vcc
	v_ashrrev_i32_e32 v9, 31, v8
	v_lshlrev_b64 v[8:9], 3, v[8:9]
	global_load_dwordx2 v[41:42], v[24:25], off
	global_load_dwordx2 v[43:44], v[27:28], off
	;; [unrolled: 1-line block ×4, first 2 shown]
	v_mov_b32_e32 v24, s21
	v_add_co_u32_e32 v8, vcc, s20, v8
	v_addc_co_u32_e32 v9, vcc, v24, v9, vcc
	v_add_u32_e32 v24, 20, v26
	v_ashrrev_i32_e32 v25, 31, v24
	v_lshlrev_b64 v[24:25], 3, v[24:25]
	v_mov_b32_e32 v26, s21
	v_add_co_u32_e32 v24, vcc, s20, v24
	v_addc_co_u32_e32 v25, vcc, v26, v25, vcc
	global_load_dwordx2 v[26:27], v[8:9], off
	global_load_dwordx2 v[28:29], v[24:25], off
	s_waitcnt vmcnt(8)
	v_fma_f32 v8, v33, v35, v22
	v_fma_f32 v9, v34, v35, v23
	v_fmac_f32_e32 v8, v34, v36
	v_fma_f32 v9, v33, -v36, v9
	s_waitcnt vmcnt(6)
	v_fmac_f32_e32 v8, v37, v39
	v_fmac_f32_e32 v9, v38, v39
	v_fmac_f32_e32 v8, v38, v40
	v_fma_f32 v9, v37, -v40, v9
	s_waitcnt vmcnt(4)
	v_fmac_f32_e32 v8, v41, v43
	v_fmac_f32_e32 v9, v42, v43
	;; [unrolled: 5-line block ×4, first 2 shown]
	v_fmac_f32_e32 v8, v27, v29
	v_fma_f32 v9, v26, -v29, v9
	s_cbranch_execz .LBB44_29
.LBB44_27:                              ;   in Loop: Header=BB44_25 Depth=2
	s_add_i32 s24, s24, -1
	s_add_i32 s25, s25, 4
	s_cmp_eq_u32 s24, 0
	s_cbranch_scc0 .LBB44_30
	s_branch .LBB44_31
.LBB44_28:                              ;   in Loop: Header=BB44_25 Depth=2
	s_andn2_b64 vcc, exec, s[2:3]
	s_cbranch_vccnz .LBB44_27
.LBB44_29:                              ;   in Loop: Header=BB44_25 Depth=2
	s_waitcnt lgkmcnt(0)
	v_add_u32_e32 v8, v6, v15
	v_ashrrev_i32_e32 v9, 31, v8
	v_lshlrev_b64 v[8:9], 3, v[8:9]
	v_mov_b32_e32 v6, s21
	v_add_co_u32_e32 v36, vcc, s20, v8
	v_addc_co_u32_e32 v37, vcc, v6, v9, vcc
	v_add_u32_e32 v6, v7, v14
	v_ashrrev_i32_e32 v7, 31, v6
	v_lshlrev_b64 v[6:7], 3, v[6:7]
	v_mov_b32_e32 v8, s21
	v_add_co_u32_e32 v38, vcc, s20, v6
	v_addc_co_u32_e32 v39, vcc, v8, v7, vcc
	global_load_dwordx4 v[6:9], v[38:39], off
	global_load_dwordx4 v[24:27], v[36:37], off
	global_load_dwordx4 v[28:31], v[36:37], off offset:16
	global_load_dwordx4 v[32:35], v[38:39], off offset:16
	global_load_dwordx2 v[40:41], v[36:37], off offset:32
	global_load_dwordx2 v[42:43], v[38:39], off offset:32
	s_waitcnt vmcnt(4)
	v_fmac_f32_e32 v22, v24, v6
	v_fmac_f32_e32 v23, v25, v6
	;; [unrolled: 1-line block ×3, first 2 shown]
	v_fma_f32 v6, v24, -v7, v23
	v_fmac_f32_e32 v22, v26, v8
	v_fmac_f32_e32 v6, v27, v8
	v_fmac_f32_e32 v22, v27, v9
	v_fma_f32 v6, v26, -v9, v6
	s_waitcnt vmcnt(2)
	v_fmac_f32_e32 v22, v28, v32
	v_fmac_f32_e32 v6, v29, v32
	;; [unrolled: 1-line block ×3, first 2 shown]
	v_fma_f32 v6, v28, -v33, v6
	v_fmac_f32_e32 v22, v30, v34
	v_fmac_f32_e32 v6, v31, v34
	;; [unrolled: 1-line block ×3, first 2 shown]
	v_fma_f32 v6, v30, -v35, v6
	s_waitcnt vmcnt(0)
	v_fmac_f32_e32 v22, v40, v42
	v_fmac_f32_e32 v6, v41, v42
	;; [unrolled: 1-line block ×3, first 2 shown]
	v_fma_f32 v9, v40, -v43, v6
	v_mov_b32_e32 v8, v22
	s_add_i32 s24, s24, -1
	s_add_i32 s25, s25, 4
	s_cmp_eq_u32 s24, 0
	s_cbranch_scc1 .LBB44_31
.LBB44_30:                              ;   in Loop: Header=BB44_25 Depth=2
	v_mov_b32_e32 v23, v9
	v_mov_b32_e32 v22, v8
	s_branch .LBB44_25
.LBB44_31:                              ;   in Loop: Header=BB44_8 Depth=1
	ds_write_b64 v20, v[8:9]
	s_waitcnt lgkmcnt(0)
	ds_read_b64 v[8:9], v2
	ds_read_b64 v[6:7], v16
	s_waitcnt lgkmcnt(1)
	v_cmp_neq_f32_e32 vcc, 0, v8
	v_cmp_neq_f32_e64 s[2:3], 0, v9
	s_or_b64 vcc, vcc, s[2:3]
	v_cndmask_b32_e32 v8, 1.0, v8, vcc
	s_nor_b64 s[24:25], vcc, s[0:1]
	v_cndmask_b32_e32 v9, 0, v9, vcc
	s_and_saveexec_b64 s[2:3], s[24:25]
	s_cbranch_execz .LBB44_35
; %bb.32:                               ;   in Loop: Header=BB44_8 Depth=1
	v_mbcnt_lo_u32_b32 v8, exec_lo, 0
	v_mbcnt_hi_u32_b32 v8, exec_hi, v8
	v_cmp_eq_u32_e32 vcc, 0, v8
	s_and_saveexec_b64 s[24:25], vcc
	s_cbranch_execz .LBB44_34
; %bb.33:                               ;   in Loop: Header=BB44_8 Depth=1
	v_mov_b32_e32 v8, s23
	global_atomic_smin v2, v8, s[14:15]
.LBB44_34:                              ;   in Loop: Header=BB44_8 Depth=1
	s_or_b64 exec, exec, s[24:25]
	v_mov_b32_e32 v9, 0
	v_mov_b32_e32 v8, 1.0
.LBB44_35:                              ;   in Loop: Header=BB44_8 Depth=1
	s_or_b64 exec, exec, s[2:3]
	v_mul_f32_e32 v24, v9, v9
	v_fmac_f32_e32 v24, v8, v8
	v_div_scale_f32 v22, s[2:3], v24, v24, 1.0
	v_div_scale_f32 v23, vcc, 1.0, v24, 1.0
	v_rcp_f32_e32 v25, v22
	v_fma_f32 v26, -v22, v25, 1.0
	v_fmac_f32_e32 v25, v26, v25
	v_mul_f32_e32 v26, v23, v25
	v_fma_f32 v27, -v22, v26, v23
	v_fmac_f32_e32 v26, v27, v25
	v_fma_f32 v22, -v22, v26, v23
	v_div_fmas_f32 v25, v22, v25, v26
	ds_read_b64 v[22:23], v19
	s_waitcnt lgkmcnt(0)
	v_sub_f32_e32 v6, v6, v22
	v_sub_f32_e32 v7, v7, v23
	v_mul_f32_e32 v22, v9, v7
	v_mul_f32_e64 v9, v9, -v6
	v_fmac_f32_e32 v22, v6, v8
	v_fmac_f32_e32 v9, v7, v8
	v_div_fixup_f32 v7, v25, v24, 1.0
	v_mul_f32_e32 v6, v7, v22
	v_mul_f32_e32 v7, v7, v9
	ds_write_b64 v16, v[6:7]
	s_waitcnt lgkmcnt(0)
	ds_read_b64 v[8:9], v21
	ds_read_b64 v[22:23], v12
	s_waitcnt lgkmcnt(0)
	v_fma_f32 v22, v6, v8, v22
	v_fmac_f32_e32 v23, v7, v8
	v_fmac_f32_e32 v22, v7, v9
	v_fma_f32 v23, v6, -v9, v23
	ds_write_b64 v12, v[22:23]
	s_waitcnt lgkmcnt(0)
	ds_read_b64 v[8:9], v2 offset:56
	ds_read_b64 v[6:7], v16 offset:8
	s_waitcnt lgkmcnt(1)
	v_cmp_neq_f32_e32 vcc, 0, v8
	v_cmp_neq_f32_e64 s[2:3], 0, v9
	s_or_b64 vcc, vcc, s[2:3]
	v_cndmask_b32_e32 v8, 1.0, v8, vcc
	s_nor_b64 s[24:25], vcc, s[0:1]
	v_cndmask_b32_e32 v9, 0, v9, vcc
	s_and_saveexec_b64 s[2:3], s[24:25]
	s_cbranch_execz .LBB44_39
; %bb.36:                               ;   in Loop: Header=BB44_8 Depth=1
	v_mbcnt_lo_u32_b32 v8, exec_lo, 0
	v_mbcnt_hi_u32_b32 v8, exec_hi, v8
	v_cmp_eq_u32_e32 vcc, 0, v8
	s_and_saveexec_b64 s[24:25], vcc
	s_cbranch_execz .LBB44_38
; %bb.37:                               ;   in Loop: Header=BB44_8 Depth=1
	v_mov_b32_e32 v8, s23
	global_atomic_smin v2, v8, s[14:15]
.LBB44_38:                              ;   in Loop: Header=BB44_8 Depth=1
	s_or_b64 exec, exec, s[24:25]
	v_mov_b32_e32 v9, 0
	v_mov_b32_e32 v8, 1.0
.LBB44_39:                              ;   in Loop: Header=BB44_8 Depth=1
	s_or_b64 exec, exec, s[2:3]
	v_mul_f32_e32 v28, v9, v9
	v_fmac_f32_e32 v28, v8, v8
	v_div_scale_f32 v22, s[2:3], v28, v28, 1.0
	v_div_scale_f32 v23, vcc, 1.0, v28, 1.0
	v_rcp_f32_e32 v24, v22
	v_fma_f32 v25, -v22, v24, 1.0
	v_fmac_f32_e32 v24, v25, v24
	v_mul_f32_e32 v25, v23, v24
	v_fma_f32 v26, -v22, v25, v23
	v_fmac_f32_e32 v25, v26, v24
	v_fma_f32 v22, -v22, v25, v23
	v_div_fmas_f32 v29, v22, v24, v25
	ds_read_b64 v[22:23], v2 offset:48
	ds_read_b64 v[24:25], v16
	ds_read_b64 v[26:27], v19 offset:8
	s_waitcnt lgkmcnt(0)
	v_fma_f32 v27, v23, v24, v27
	v_fmac_f32_e32 v26, v22, v24
	v_fma_f32 v22, v22, -v25, v27
	v_fmac_f32_e32 v26, v23, v25
	v_sub_f32_e32 v6, v6, v26
	v_sub_f32_e32 v7, v7, v22
	v_mul_f32_e32 v22, v9, v7
	v_mul_f32_e64 v9, v9, -v6
	v_fmac_f32_e32 v22, v6, v8
	v_fmac_f32_e32 v9, v7, v8
	v_div_fixup_f32 v7, v29, v28, 1.0
	v_mul_f32_e32 v6, v7, v22
	v_mul_f32_e32 v7, v7, v9
	ds_write_b64 v16, v[6:7] offset:8
	s_waitcnt lgkmcnt(0)
	ds_read_b64 v[8:9], v21 offset:8
	ds_read_b64 v[22:23], v12
	s_waitcnt lgkmcnt(0)
	v_fma_f32 v22, v6, v8, v22
	v_fmac_f32_e32 v23, v7, v8
	v_fmac_f32_e32 v22, v7, v9
	v_fma_f32 v23, v6, -v9, v23
	ds_write_b64 v12, v[22:23]
	s_waitcnt lgkmcnt(0)
	ds_read_b64 v[8:9], v2 offset:112
	ds_read_b64 v[6:7], v16 offset:16
	s_waitcnt lgkmcnt(1)
	v_cmp_neq_f32_e32 vcc, 0, v8
	v_cmp_neq_f32_e64 s[2:3], 0, v9
	s_or_b64 vcc, vcc, s[2:3]
	v_cndmask_b32_e32 v8, 1.0, v8, vcc
	s_nor_b64 s[24:25], vcc, s[0:1]
	v_cndmask_b32_e32 v9, 0, v9, vcc
	s_and_saveexec_b64 s[2:3], s[24:25]
	s_cbranch_execz .LBB44_43
; %bb.40:                               ;   in Loop: Header=BB44_8 Depth=1
	v_mbcnt_lo_u32_b32 v8, exec_lo, 0
	v_mbcnt_hi_u32_b32 v8, exec_hi, v8
	v_cmp_eq_u32_e32 vcc, 0, v8
	s_and_saveexec_b64 s[24:25], vcc
	s_cbranch_execz .LBB44_42
; %bb.41:                               ;   in Loop: Header=BB44_8 Depth=1
	v_mov_b32_e32 v8, s23
	global_atomic_smin v2, v8, s[14:15]
.LBB44_42:                              ;   in Loop: Header=BB44_8 Depth=1
	s_or_b64 exec, exec, s[24:25]
	v_mov_b32_e32 v9, 0
	v_mov_b32_e32 v8, 1.0
.LBB44_43:                              ;   in Loop: Header=BB44_8 Depth=1
	s_or_b64 exec, exec, s[2:3]
	v_mul_f32_e32 v32, v9, v9
	v_fmac_f32_e32 v32, v8, v8
	v_div_scale_f32 v33, s[2:3], v32, v32, 1.0
	v_div_scale_f32 v34, vcc, 1.0, v32, 1.0
	ds_read_b128 v[22:25], v2 offset:96
	ds_read_b128 v[26:29], v16
	ds_read_b64 v[30:31], v19 offset:16
	s_waitcnt lgkmcnt(0)
	v_fma_f32 v31, v23, v26, v31
	v_fmac_f32_e32 v30, v22, v26
	v_fma_f32 v22, v22, -v27, v31
	v_fmac_f32_e32 v30, v23, v27
	v_fmac_f32_e32 v22, v25, v28
	;; [unrolled: 1-line block ×3, first 2 shown]
	v_fma_f32 v22, v24, -v29, v22
	v_rcp_f32_e32 v35, v33
	v_fmac_f32_e32 v30, v25, v29
	v_sub_f32_e32 v6, v6, v30
	v_sub_f32_e32 v7, v7, v22
	v_fma_f32 v36, -v33, v35, 1.0
	v_fmac_f32_e32 v35, v36, v35
	v_mul_f32_e32 v36, v34, v35
	v_fma_f32 v37, -v33, v36, v34
	v_fmac_f32_e32 v36, v37, v35
	v_fma_f32 v33, -v33, v36, v34
	v_div_fmas_f32 v33, v33, v35, v36
	v_mul_f32_e32 v22, v9, v7
	v_mul_f32_e64 v9, v9, -v6
	v_fmac_f32_e32 v22, v6, v8
	v_fmac_f32_e32 v9, v7, v8
	v_div_fixup_f32 v7, v33, v32, 1.0
	v_mul_f32_e32 v6, v7, v22
	v_mul_f32_e32 v7, v7, v9
	ds_write_b64 v16, v[6:7] offset:16
	s_waitcnt lgkmcnt(0)
	ds_read_b64 v[8:9], v21 offset:16
	ds_read_b64 v[22:23], v12
	s_waitcnt lgkmcnt(0)
	v_fma_f32 v22, v6, v8, v22
	v_fmac_f32_e32 v23, v7, v8
	v_fmac_f32_e32 v22, v7, v9
	v_fma_f32 v23, v6, -v9, v23
	ds_write_b64 v12, v[22:23]
	s_waitcnt lgkmcnt(0)
	ds_read_b64 v[8:9], v2 offset:168
	ds_read_b64 v[6:7], v16 offset:24
	s_waitcnt lgkmcnt(1)
	v_cmp_neq_f32_e32 vcc, 0, v8
	v_cmp_neq_f32_e64 s[2:3], 0, v9
	s_or_b64 vcc, vcc, s[2:3]
	v_cndmask_b32_e32 v8, 1.0, v8, vcc
	s_nor_b64 s[24:25], vcc, s[0:1]
	v_cndmask_b32_e32 v9, 0, v9, vcc
	s_and_saveexec_b64 s[2:3], s[24:25]
	s_cbranch_execz .LBB44_47
; %bb.44:                               ;   in Loop: Header=BB44_8 Depth=1
	v_mbcnt_lo_u32_b32 v8, exec_lo, 0
	v_mbcnt_hi_u32_b32 v8, exec_hi, v8
	v_cmp_eq_u32_e32 vcc, 0, v8
	s_and_saveexec_b64 s[24:25], vcc
	s_cbranch_execz .LBB44_46
; %bb.45:                               ;   in Loop: Header=BB44_8 Depth=1
	v_mov_b32_e32 v8, s23
	global_atomic_smin v2, v8, s[14:15]
.LBB44_46:                              ;   in Loop: Header=BB44_8 Depth=1
	s_or_b64 exec, exec, s[24:25]
	v_mov_b32_e32 v9, 0
	v_mov_b32_e32 v8, 1.0
.LBB44_47:                              ;   in Loop: Header=BB44_8 Depth=1
	s_or_b64 exec, exec, s[2:3]
	v_mul_f32_e32 v36, v9, v9
	v_fmac_f32_e32 v36, v8, v8
	v_div_scale_f32 v37, s[2:3], v36, v36, 1.0
	v_div_scale_f32 v38, vcc, 1.0, v36, 1.0
	ds_read_b128 v[22:25], v16
	ds_read_b128 v[26:29], v2 offset:144
	ds_read_b64 v[30:31], v19 offset:24
	ds_read_b64 v[32:33], v2 offset:160
	;; [unrolled: 1-line block ×3, first 2 shown]
	s_waitcnt lgkmcnt(2)
	v_fma_f32 v31, v27, v22, v31
	v_fmac_f32_e32 v30, v26, v22
	v_fma_f32 v22, v26, -v23, v31
	v_fmac_f32_e32 v30, v27, v23
	v_fmac_f32_e32 v22, v29, v24
	;; [unrolled: 1-line block ×3, first 2 shown]
	v_fma_f32 v22, v28, -v25, v22
	v_fmac_f32_e32 v30, v29, v25
	s_waitcnt lgkmcnt(0)
	v_fmac_f32_e32 v22, v33, v34
	v_rcp_f32_e32 v39, v37
	v_fmac_f32_e32 v30, v32, v34
	v_fma_f32 v22, v32, -v35, v22
	v_fmac_f32_e32 v30, v33, v35
	v_fma_f32 v26, -v37, v39, 1.0
	v_fmac_f32_e32 v39, v26, v39
	v_mul_f32_e32 v26, v38, v39
	v_fma_f32 v31, -v37, v26, v38
	v_fmac_f32_e32 v26, v31, v39
	v_fma_f32 v31, -v37, v26, v38
	v_div_fmas_f32 v26, v31, v39, v26
	v_sub_f32_e32 v6, v6, v30
	v_sub_f32_e32 v7, v7, v22
	v_mul_f32_e32 v22, v9, v7
	v_mul_f32_e64 v9, v9, -v6
	v_fmac_f32_e32 v22, v6, v8
	v_fmac_f32_e32 v9, v7, v8
	v_div_fixup_f32 v7, v26, v36, 1.0
	v_mul_f32_e32 v6, v7, v22
	v_mul_f32_e32 v7, v7, v9
	ds_write_b64 v16, v[6:7] offset:24
	s_waitcnt lgkmcnt(0)
	ds_read_b64 v[8:9], v21 offset:24
	ds_read_b64 v[22:23], v12
	s_waitcnt lgkmcnt(0)
	v_fma_f32 v22, v6, v8, v22
	v_fmac_f32_e32 v23, v7, v8
	v_fmac_f32_e32 v22, v7, v9
	v_fma_f32 v23, v6, -v9, v23
	ds_write_b64 v12, v[22:23]
	s_waitcnt lgkmcnt(0)
	ds_read_b64 v[8:9], v2 offset:224
	ds_read_b64 v[6:7], v16 offset:32
	s_waitcnt lgkmcnt(1)
	v_cmp_neq_f32_e32 vcc, 0, v8
	v_cmp_neq_f32_e64 s[2:3], 0, v9
	s_or_b64 vcc, vcc, s[2:3]
	v_cndmask_b32_e32 v8, 1.0, v8, vcc
	s_nor_b64 s[24:25], vcc, s[0:1]
	v_cndmask_b32_e32 v9, 0, v9, vcc
	s_and_saveexec_b64 s[2:3], s[24:25]
	s_cbranch_execz .LBB44_7
; %bb.48:                               ;   in Loop: Header=BB44_8 Depth=1
	v_mbcnt_lo_u32_b32 v8, exec_lo, 0
	v_mbcnt_hi_u32_b32 v8, exec_hi, v8
	v_cmp_eq_u32_e32 vcc, 0, v8
	s_and_saveexec_b64 s[24:25], vcc
	s_cbranch_execz .LBB44_6
; %bb.49:                               ;   in Loop: Header=BB44_8 Depth=1
	v_mov_b32_e32 v8, s23
	global_atomic_smin v2, v8, s[14:15]
	s_branch .LBB44_6
.LBB44_50:                              ;   in Loop: Header=BB44_8 Depth=1
                                        ; implicit-def: $sgpr22
	s_cbranch_execz .LBB44_8
.LBB44_51:
	s_cmp_lg_u32 s33, 0
	s_cselect_b64 s[8:9], -1, 0
	s_cmp_eq_u32 s33, 0
	v_mov_b32_e32 v2, v10
	s_cbranch_scc1 .LBB44_53
; %bb.52:
	v_mad_u32_u24 v2, v0, 5, v1
.LBB44_53:
	s_mul_i32 s18, s30, 25
	v_add_u32_e32 v2, s18, v2
	v_ashrrev_i32_e32 v3, 31, v2
	v_lshlrev_b64 v[2:3], 3, v[2:3]
	v_mov_b32_e32 v4, s21
	v_add_co_u32_e32 v2, vcc, s20, v2
	v_addc_co_u32_e32 v3, vcc, v4, v3, vcc
	global_load_dwordx2 v[4:5], v[2:3], off
	v_mov_b32_e32 v2, 0x1e0
	v_mad_u32_u24 v3, v1, 48, v2
	v_cmp_ne_u32_e64 s[2:3], 0, v1
	v_lshl_add_u32 v2, v0, 3, v3
	v_cmp_eq_u32_e32 vcc, 0, v1
	s_waitcnt vmcnt(0)
	ds_write_b64 v2, v[4:5]
	s_waitcnt lgkmcnt(0)
	s_and_saveexec_b64 s[4:5], vcc
	s_cbranch_execz .LBB44_63
; %bb.54:
	v_mov_b32_e32 v6, 0
	ds_read2_b64 v[14:17], v6 offset0:60 offset1:90
	s_waitcnt lgkmcnt(0)
	v_sub_f32_e32 v4, v14, v16
	v_sub_f32_e32 v7, v15, v17
	v_cmp_gt_f32_e32 vcc, 0, v4
	v_cndmask_b32_e64 v4, v4, -v4, vcc
	v_cmp_gt_f32_e32 vcc, 0, v7
	v_cndmask_b32_e64 v5, v7, -v7, vcc
	v_cmp_ngt_f32_e32 vcc, v4, v5
	s_cbranch_vccz .LBB44_60
; %bb.55:
	v_cmp_eq_f32_e32 vcc, 0, v7
	s_cbranch_vccnz .LBB44_57
; %bb.56:
	v_div_scale_f32 v6, s[0:1], v5, v5, v4
	v_div_scale_f32 v7, vcc, v4, v5, v4
	s_mov_b32 s0, 0xf800000
	v_rcp_f32_e32 v8, v6
	v_fma_f32 v9, -v6, v8, 1.0
	v_fmac_f32_e32 v8, v9, v8
	v_mul_f32_e32 v9, v7, v8
	v_fma_f32 v14, -v6, v9, v7
	v_fmac_f32_e32 v9, v14, v8
	v_fma_f32 v6, -v6, v9, v7
	v_div_fmas_f32 v6, v6, v8, v9
	v_mov_b32_e32 v8, 0x260
	v_div_fixup_f32 v6, v6, v5, v4
	v_fma_f32 v6, v6, v6, 1.0
	v_mul_f32_e32 v7, 0x4f800000, v6
	v_cmp_gt_f32_e32 vcc, s0, v6
	v_cndmask_b32_e32 v6, v6, v7, vcc
	v_sqrt_f32_e32 v7, v6
	v_add_u32_e32 v9, -1, v7
	v_add_u32_e32 v14, 1, v7
	v_fma_f32 v15, -v9, v7, v6
	v_fma_f32 v16, -v14, v7, v6
	v_cmp_ge_f32_e64 s[0:1], 0, v15
	v_cndmask_b32_e64 v7, v7, v9, s[0:1]
	v_cmp_lt_f32_e64 s[0:1], 0, v16
	v_cndmask_b32_e64 v7, v7, v14, s[0:1]
	v_mul_f32_e32 v9, 0x37800000, v7
	v_cndmask_b32_e32 v7, v7, v9, vcc
	v_cmp_class_f32_e32 vcc, v6, v8
	v_cndmask_b32_e32 v6, v7, v6, vcc
	v_mul_f32_e32 v6, v5, v6
.LBB44_57:
	s_cbranch_execz .LBB44_61
	s_branch .LBB44_62
.LBB44_58:
	s_cbranch_execnz .LBB44_128
.LBB44_59:
	s_endpgm
.LBB44_60:
                                        ; implicit-def: $vgpr6
.LBB44_61:
	v_div_scale_f32 v6, s[0:1], v4, v4, v5
	v_div_scale_f32 v7, vcc, v5, v4, v5
	s_mov_b32 s0, 0xf800000
	v_rcp_f32_e32 v8, v6
	v_fma_f32 v9, -v6, v8, 1.0
	v_fmac_f32_e32 v8, v9, v8
	v_mul_f32_e32 v9, v7, v8
	v_fma_f32 v14, -v6, v9, v7
	v_fmac_f32_e32 v9, v14, v8
	v_fma_f32 v6, -v6, v9, v7
	v_div_fmas_f32 v6, v6, v8, v9
	v_mov_b32_e32 v7, 0x260
	v_div_fixup_f32 v5, v6, v4, v5
	v_fma_f32 v5, v5, v5, 1.0
	v_mul_f32_e32 v6, 0x4f800000, v5
	v_cmp_gt_f32_e32 vcc, s0, v5
	v_cndmask_b32_e32 v5, v5, v6, vcc
	v_sqrt_f32_e32 v6, v5
	v_add_u32_e32 v8, -1, v6
	v_add_u32_e32 v9, 1, v6
	v_fma_f32 v14, -v8, v6, v5
	v_fma_f32 v15, -v9, v6, v5
	v_cmp_ge_f32_e64 s[0:1], 0, v14
	v_cndmask_b32_e64 v6, v6, v8, s[0:1]
	v_cmp_lt_f32_e64 s[0:1], 0, v15
	v_cndmask_b32_e64 v6, v6, v9, s[0:1]
	v_mul_f32_e32 v8, 0x37800000, v6
	v_cndmask_b32_e32 v6, v6, v8, vcc
	v_cmp_class_f32_e32 vcc, v5, v7
	v_cndmask_b32_e32 v5, v6, v5, vcc
	v_mul_f32_e32 v6, v4, v5
.LBB44_62:
	s_mov_b32 s0, 0xf800000
	v_mul_f32_e32 v4, 0x4f800000, v6
	v_cmp_gt_f32_e32 vcc, s0, v6
	v_cndmask_b32_e32 v4, v6, v4, vcc
	v_sqrt_f32_e32 v5, v4
	v_add_u32_e32 v6, -1, v5
	v_fma_f32 v7, -v6, v5, v4
	v_cmp_ge_f32_e64 s[0:1], 0, v7
	v_add_u32_e32 v7, 1, v5
	v_cndmask_b32_e64 v6, v5, v6, s[0:1]
	v_fma_f32 v5, -v7, v5, v4
	v_cmp_lt_f32_e64 s[0:1], 0, v5
	v_cndmask_b32_e64 v5, v6, v7, s[0:1]
	v_mul_f32_e32 v6, 0x37800000, v5
	v_cndmask_b32_e32 v5, v5, v6, vcc
	v_mov_b32_e32 v6, 0x260
	v_cmp_class_f32_e32 vcc, v4, v6
	v_cndmask_b32_e32 v4, v5, v4, vcc
	v_mov_b32_e32 v5, 0
	ds_write_b64 v5, v[4:5] offset:480
.LBB44_63:
	s_or_b64 exec, exec, s[4:5]
	v_mov_b32_e32 v4, 0
	s_waitcnt lgkmcnt(0)
	ds_read_b64 v[6:7], v4 offset:480
	v_or_b32_e32 v4, v0, v1
	v_cmp_ne_u32_e64 s[0:1], 0, v4
	s_add_i32 s19, s12, s13
	s_waitcnt lgkmcnt(0)
	v_cmp_neq_f32_e32 vcc, 0, v6
	v_cmp_neq_f32_e64 s[4:5], 0, v7
	s_or_b64 vcc, vcc, s[4:5]
	v_cndmask_b32_e32 v6, 1.0, v6, vcc
	s_nor_b64 s[16:17], vcc, s[0:1]
	v_cndmask_b32_e32 v7, 0, v7, vcc
	s_and_saveexec_b64 s[4:5], s[16:17]
	s_cbranch_execz .LBB44_67
; %bb.64:
	v_mbcnt_lo_u32_b32 v5, exec_lo, 0
	v_mbcnt_hi_u32_b32 v5, exec_hi, v5
	v_cmp_eq_u32_e32 vcc, 0, v5
	s_and_saveexec_b64 s[16:17], vcc
	s_cbranch_execz .LBB44_66
; %bb.65:
	v_mov_b32_e32 v5, 0
	v_mov_b32_e32 v6, s19
	global_atomic_smin v5, v6, s[14:15]
.LBB44_66:
	s_or_b64 exec, exec, s[16:17]
	v_mov_b32_e32 v7, 0
	v_mov_b32_e32 v6, 1.0
.LBB44_67:
	s_or_b64 exec, exec, s[4:5]
	v_mov_b32_e32 v5, 0x1e0
	v_mad_u32_u24 v5, v0, 48, v5
	s_and_saveexec_b64 s[4:5], s[2:3]
	s_cbranch_execz .LBB44_69
; %bb.68:
	v_mul_f32_e32 v16, v7, v7
	v_fmac_f32_e32 v16, v6, v6
	v_div_scale_f32 v8, s[2:3], v16, v16, 1.0
	v_div_scale_f32 v9, vcc, 1.0, v16, 1.0
	v_rcp_f32_e32 v14, v8
	v_fma_f32 v15, -v8, v14, 1.0
	v_fmac_f32_e32 v14, v15, v14
	v_mul_f32_e32 v15, v9, v14
	v_fma_f32 v17, -v8, v15, v9
	v_fmac_f32_e32 v15, v17, v14
	v_fma_f32 v8, -v8, v15, v9
	v_div_fmas_f32 v17, v8, v14, v15
	ds_read_b64 v[8:9], v3
	ds_read_b64 v[14:15], v13
	s_waitcnt lgkmcnt(0)
	v_sub_f32_e32 v8, v8, v14
	v_sub_f32_e32 v9, v9, v15
	v_mul_f32_e32 v14, v7, v9
	v_mul_f32_e64 v7, v7, -v8
	v_fmac_f32_e32 v14, v8, v6
	v_fmac_f32_e32 v7, v9, v6
	v_div_fixup_f32 v8, v17, v16, 1.0
	v_mul_f32_e32 v6, v8, v14
	v_mul_f32_e32 v7, v8, v7
	ds_write_b64 v3, v[6:7]
	s_waitcnt lgkmcnt(0)
	ds_read_b64 v[8:9], v5
	ds_read_b64 v[14:15], v12
	s_waitcnt lgkmcnt(0)
	v_fma_f32 v14, v6, v8, v14
	v_fmac_f32_e32 v15, v7, v8
	v_fmac_f32_e32 v14, v7, v9
	v_fma_f32 v15, v6, -v9, v15
	ds_write_b64 v12, v[14:15]
.LBB44_69:
	s_or_b64 exec, exec, s[4:5]
	v_cmp_eq_u32_e32 vcc, 1, v1
	s_waitcnt lgkmcnt(0)
	s_and_saveexec_b64 s[4:5], vcc
	s_cbranch_execz .LBB44_77
; %bb.70:
	v_mov_b32_e32 v8, 0
	ds_read2_b64 v[14:17], v8 offset0:67 offset1:97
	s_waitcnt lgkmcnt(0)
	v_sub_f32_e32 v6, v14, v16
	v_sub_f32_e32 v9, v15, v17
	v_cmp_gt_f32_e32 vcc, 0, v6
	v_cndmask_b32_e64 v6, v6, -v6, vcc
	v_cmp_gt_f32_e32 vcc, 0, v9
	v_cndmask_b32_e64 v7, v9, -v9, vcc
	v_cmp_gt_f32_e32 vcc, v6, v7
	s_cbranch_vccnz .LBB44_74
; %bb.71:
	v_cmp_eq_f32_e32 vcc, 0, v9
	s_cbranch_vccnz .LBB44_73
; %bb.72:
	v_div_scale_f32 v8, s[2:3], v7, v7, v6
	v_div_scale_f32 v9, vcc, v6, v7, v6
	s_mov_b32 s2, 0xf800000
	v_rcp_f32_e32 v14, v8
	v_fma_f32 v15, -v8, v14, 1.0
	v_fmac_f32_e32 v14, v15, v14
	v_mul_f32_e32 v15, v9, v14
	v_fma_f32 v16, -v8, v15, v9
	v_fmac_f32_e32 v15, v16, v14
	v_fma_f32 v8, -v8, v15, v9
	v_div_fmas_f32 v8, v8, v14, v15
	v_mov_b32_e32 v14, 0x260
	v_div_fixup_f32 v8, v8, v7, v6
	v_fma_f32 v8, v8, v8, 1.0
	v_mul_f32_e32 v9, 0x4f800000, v8
	v_cmp_gt_f32_e32 vcc, s2, v8
	v_cndmask_b32_e32 v8, v8, v9, vcc
	v_sqrt_f32_e32 v9, v8
	v_add_u32_e32 v15, -1, v9
	v_add_u32_e32 v16, 1, v9
	v_fma_f32 v17, -v15, v9, v8
	v_fma_f32 v18, -v16, v9, v8
	v_cmp_ge_f32_e64 s[2:3], 0, v17
	v_cndmask_b32_e64 v9, v9, v15, s[2:3]
	v_cmp_lt_f32_e64 s[2:3], 0, v18
	v_cndmask_b32_e64 v9, v9, v16, s[2:3]
	v_mul_f32_e32 v15, 0x37800000, v9
	v_cndmask_b32_e32 v9, v9, v15, vcc
	v_cmp_class_f32_e32 vcc, v8, v14
	v_cndmask_b32_e32 v8, v9, v8, vcc
	v_mul_f32_e32 v8, v7, v8
.LBB44_73:
	s_cbranch_execz .LBB44_75
	s_branch .LBB44_76
.LBB44_74:
                                        ; implicit-def: $vgpr8
.LBB44_75:
	v_div_scale_f32 v8, s[2:3], v6, v6, v7
	v_div_scale_f32 v9, vcc, v7, v6, v7
	s_mov_b32 s2, 0xf800000
	v_rcp_f32_e32 v14, v8
	v_fma_f32 v15, -v8, v14, 1.0
	v_fmac_f32_e32 v14, v15, v14
	v_mul_f32_e32 v15, v9, v14
	v_fma_f32 v16, -v8, v15, v9
	v_fmac_f32_e32 v15, v16, v14
	v_fma_f32 v8, -v8, v15, v9
	v_div_fmas_f32 v8, v8, v14, v15
	v_mov_b32_e32 v9, 0x260
	v_div_fixup_f32 v7, v8, v6, v7
	v_fma_f32 v7, v7, v7, 1.0
	v_mul_f32_e32 v8, 0x4f800000, v7
	v_cmp_gt_f32_e32 vcc, s2, v7
	v_cndmask_b32_e32 v7, v7, v8, vcc
	v_sqrt_f32_e32 v8, v7
	v_add_u32_e32 v14, -1, v8
	v_add_u32_e32 v15, 1, v8
	v_fma_f32 v16, -v14, v8, v7
	v_fma_f32 v17, -v15, v8, v7
	v_cmp_ge_f32_e64 s[2:3], 0, v16
	v_cndmask_b32_e64 v8, v8, v14, s[2:3]
	v_cmp_lt_f32_e64 s[2:3], 0, v17
	v_cndmask_b32_e64 v8, v8, v15, s[2:3]
	v_mul_f32_e32 v14, 0x37800000, v8
	v_cndmask_b32_e32 v8, v8, v14, vcc
	v_cmp_class_f32_e32 vcc, v7, v9
	v_cndmask_b32_e32 v7, v8, v7, vcc
	v_mul_f32_e32 v8, v6, v7
.LBB44_76:
	s_mov_b32 s2, 0xf800000
	v_mul_f32_e32 v6, 0x4f800000, v8
	v_cmp_gt_f32_e32 vcc, s2, v8
	v_cndmask_b32_e32 v6, v8, v6, vcc
	v_sqrt_f32_e32 v7, v6
	v_add_u32_e32 v8, -1, v7
	v_fma_f32 v9, -v8, v7, v6
	v_cmp_ge_f32_e64 s[2:3], 0, v9
	v_add_u32_e32 v9, 1, v7
	v_cndmask_b32_e64 v8, v7, v8, s[2:3]
	v_fma_f32 v7, -v9, v7, v6
	v_cmp_lt_f32_e64 s[2:3], 0, v7
	v_cndmask_b32_e64 v7, v8, v9, s[2:3]
	v_mul_f32_e32 v8, 0x37800000, v7
	v_cndmask_b32_e32 v7, v7, v8, vcc
	v_mov_b32_e32 v8, 0x260
	v_cmp_class_f32_e32 vcc, v6, v8
	v_cndmask_b32_e32 v6, v7, v6, vcc
	v_mov_b32_e32 v7, 0
	ds_write_b64 v7, v[6:7] offset:536
.LBB44_77:
	s_or_b64 exec, exec, s[4:5]
	v_mov_b32_e32 v6, 0
	s_waitcnt lgkmcnt(0)
	ds_read_b64 v[6:7], v6 offset:536
	s_waitcnt lgkmcnt(0)
	v_cmp_neq_f32_e32 vcc, 0, v6
	v_cmp_neq_f32_e64 s[2:3], 0, v7
	s_or_b64 vcc, vcc, s[2:3]
	v_cndmask_b32_e32 v6, 1.0, v6, vcc
	s_nor_b64 s[4:5], vcc, s[0:1]
	v_cndmask_b32_e32 v7, 0, v7, vcc
	s_and_saveexec_b64 s[2:3], s[4:5]
	s_cbranch_execz .LBB44_81
; %bb.78:
	v_mbcnt_lo_u32_b32 v6, exec_lo, 0
	v_mbcnt_hi_u32_b32 v6, exec_hi, v6
	v_cmp_eq_u32_e32 vcc, 0, v6
	s_and_saveexec_b64 s[4:5], vcc
	s_cbranch_execz .LBB44_80
; %bb.79:
	v_mov_b32_e32 v6, 0
	v_mov_b32_e32 v7, s19
	global_atomic_smin v6, v7, s[14:15]
.LBB44_80:
	s_or_b64 exec, exec, s[4:5]
	v_mov_b32_e32 v7, 0
	v_mov_b32_e32 v6, 1.0
.LBB44_81:
	s_or_b64 exec, exec, s[2:3]
	v_cmp_lt_u32_e32 vcc, 1, v1
	s_and_saveexec_b64 s[2:3], vcc
	s_cbranch_execz .LBB44_83
; %bb.82:
	v_mul_f32_e32 v16, v7, v7
	v_fmac_f32_e32 v16, v6, v6
	v_div_scale_f32 v8, s[4:5], v16, v16, 1.0
	v_div_scale_f32 v9, vcc, 1.0, v16, 1.0
	v_rcp_f32_e32 v14, v8
	v_fma_f32 v15, -v8, v14, 1.0
	v_fmac_f32_e32 v14, v15, v14
	v_mul_f32_e32 v15, v9, v14
	v_fma_f32 v17, -v8, v15, v9
	v_fmac_f32_e32 v15, v17, v14
	v_fma_f32 v8, -v8, v15, v9
	v_div_fmas_f32 v17, v8, v14, v15
	ds_read_b64 v[8:9], v3 offset:8
	ds_read_b64 v[14:15], v13 offset:8
	s_waitcnt lgkmcnt(0)
	v_sub_f32_e32 v8, v8, v14
	v_sub_f32_e32 v9, v9, v15
	v_mul_f32_e32 v14, v7, v9
	v_mul_f32_e64 v7, v7, -v8
	v_fmac_f32_e32 v14, v8, v6
	v_fmac_f32_e32 v7, v9, v6
	v_div_fixup_f32 v8, v17, v16, 1.0
	v_mul_f32_e32 v6, v8, v14
	v_mul_f32_e32 v7, v8, v7
	ds_write_b64 v3, v[6:7] offset:8
	s_waitcnt lgkmcnt(0)
	ds_read_b64 v[8:9], v5 offset:8
	ds_read_b64 v[14:15], v12
	s_waitcnt lgkmcnt(0)
	v_fma_f32 v14, v6, v8, v14
	v_fmac_f32_e32 v15, v7, v8
	v_fmac_f32_e32 v14, v7, v9
	v_fma_f32 v15, v6, -v9, v15
	ds_write_b64 v12, v[14:15]
.LBB44_83:
	s_or_b64 exec, exec, s[2:3]
	v_cmp_eq_u32_e32 vcc, 2, v1
	s_waitcnt lgkmcnt(0)
	s_and_saveexec_b64 s[4:5], vcc
	s_cbranch_execz .LBB44_91
; %bb.84:
	v_mov_b32_e32 v8, 0
	ds_read2_b64 v[14:17], v8 offset0:74 offset1:104
	s_waitcnt lgkmcnt(0)
	v_sub_f32_e32 v6, v14, v16
	v_sub_f32_e32 v9, v15, v17
	v_cmp_gt_f32_e32 vcc, 0, v6
	v_cndmask_b32_e64 v6, v6, -v6, vcc
	v_cmp_gt_f32_e32 vcc, 0, v9
	v_cndmask_b32_e64 v7, v9, -v9, vcc
	v_cmp_gt_f32_e32 vcc, v6, v7
	s_cbranch_vccnz .LBB44_88
; %bb.85:
	v_cmp_eq_f32_e32 vcc, 0, v9
	s_cbranch_vccnz .LBB44_87
; %bb.86:
	v_div_scale_f32 v8, s[2:3], v7, v7, v6
	v_div_scale_f32 v9, vcc, v6, v7, v6
	s_mov_b32 s2, 0xf800000
	v_rcp_f32_e32 v14, v8
	v_fma_f32 v15, -v8, v14, 1.0
	v_fmac_f32_e32 v14, v15, v14
	v_mul_f32_e32 v15, v9, v14
	v_fma_f32 v16, -v8, v15, v9
	v_fmac_f32_e32 v15, v16, v14
	v_fma_f32 v8, -v8, v15, v9
	v_div_fmas_f32 v8, v8, v14, v15
	v_mov_b32_e32 v14, 0x260
	v_div_fixup_f32 v8, v8, v7, v6
	v_fma_f32 v8, v8, v8, 1.0
	v_mul_f32_e32 v9, 0x4f800000, v8
	v_cmp_gt_f32_e32 vcc, s2, v8
	v_cndmask_b32_e32 v8, v8, v9, vcc
	v_sqrt_f32_e32 v9, v8
	v_add_u32_e32 v15, -1, v9
	v_add_u32_e32 v16, 1, v9
	v_fma_f32 v17, -v15, v9, v8
	v_fma_f32 v18, -v16, v9, v8
	v_cmp_ge_f32_e64 s[2:3], 0, v17
	v_cndmask_b32_e64 v9, v9, v15, s[2:3]
	v_cmp_lt_f32_e64 s[2:3], 0, v18
	v_cndmask_b32_e64 v9, v9, v16, s[2:3]
	v_mul_f32_e32 v15, 0x37800000, v9
	v_cndmask_b32_e32 v9, v9, v15, vcc
	v_cmp_class_f32_e32 vcc, v8, v14
	v_cndmask_b32_e32 v8, v9, v8, vcc
	v_mul_f32_e32 v8, v7, v8
.LBB44_87:
	s_cbranch_execz .LBB44_89
	s_branch .LBB44_90
.LBB44_88:
                                        ; implicit-def: $vgpr8
.LBB44_89:
	v_div_scale_f32 v8, s[2:3], v6, v6, v7
	v_div_scale_f32 v9, vcc, v7, v6, v7
	s_mov_b32 s2, 0xf800000
	v_rcp_f32_e32 v14, v8
	v_fma_f32 v15, -v8, v14, 1.0
	v_fmac_f32_e32 v14, v15, v14
	v_mul_f32_e32 v15, v9, v14
	v_fma_f32 v16, -v8, v15, v9
	v_fmac_f32_e32 v15, v16, v14
	v_fma_f32 v8, -v8, v15, v9
	v_div_fmas_f32 v8, v8, v14, v15
	v_mov_b32_e32 v9, 0x260
	v_div_fixup_f32 v7, v8, v6, v7
	v_fma_f32 v7, v7, v7, 1.0
	v_mul_f32_e32 v8, 0x4f800000, v7
	v_cmp_gt_f32_e32 vcc, s2, v7
	v_cndmask_b32_e32 v7, v7, v8, vcc
	v_sqrt_f32_e32 v8, v7
	v_add_u32_e32 v14, -1, v8
	v_add_u32_e32 v15, 1, v8
	v_fma_f32 v16, -v14, v8, v7
	v_fma_f32 v17, -v15, v8, v7
	v_cmp_ge_f32_e64 s[2:3], 0, v16
	v_cndmask_b32_e64 v8, v8, v14, s[2:3]
	v_cmp_lt_f32_e64 s[2:3], 0, v17
	v_cndmask_b32_e64 v8, v8, v15, s[2:3]
	v_mul_f32_e32 v14, 0x37800000, v8
	v_cndmask_b32_e32 v8, v8, v14, vcc
	v_cmp_class_f32_e32 vcc, v7, v9
	v_cndmask_b32_e32 v7, v8, v7, vcc
	v_mul_f32_e32 v8, v6, v7
.LBB44_90:
	s_mov_b32 s2, 0xf800000
	v_mul_f32_e32 v6, 0x4f800000, v8
	v_cmp_gt_f32_e32 vcc, s2, v8
	v_cndmask_b32_e32 v6, v8, v6, vcc
	v_sqrt_f32_e32 v7, v6
	v_add_u32_e32 v8, -1, v7
	v_fma_f32 v9, -v8, v7, v6
	v_cmp_ge_f32_e64 s[2:3], 0, v9
	v_add_u32_e32 v9, 1, v7
	v_cndmask_b32_e64 v8, v7, v8, s[2:3]
	v_fma_f32 v7, -v9, v7, v6
	v_cmp_lt_f32_e64 s[2:3], 0, v7
	v_cndmask_b32_e64 v7, v8, v9, s[2:3]
	v_mul_f32_e32 v8, 0x37800000, v7
	v_cndmask_b32_e32 v7, v7, v8, vcc
	v_mov_b32_e32 v8, 0x260
	v_cmp_class_f32_e32 vcc, v6, v8
	v_cndmask_b32_e32 v6, v7, v6, vcc
	v_mov_b32_e32 v7, 0
	ds_write_b64 v7, v[6:7] offset:592
.LBB44_91:
	s_or_b64 exec, exec, s[4:5]
	v_mov_b32_e32 v6, 0
	s_waitcnt lgkmcnt(0)
	ds_read_b64 v[6:7], v6 offset:592
	s_waitcnt lgkmcnt(0)
	v_cmp_neq_f32_e32 vcc, 0, v6
	v_cmp_neq_f32_e64 s[2:3], 0, v7
	s_or_b64 vcc, vcc, s[2:3]
	v_cndmask_b32_e32 v6, 1.0, v6, vcc
	s_nor_b64 s[4:5], vcc, s[0:1]
	v_cndmask_b32_e32 v7, 0, v7, vcc
	s_and_saveexec_b64 s[2:3], s[4:5]
	s_cbranch_execz .LBB44_95
; %bb.92:
	v_mbcnt_lo_u32_b32 v6, exec_lo, 0
	v_mbcnt_hi_u32_b32 v6, exec_hi, v6
	v_cmp_eq_u32_e32 vcc, 0, v6
	s_and_saveexec_b64 s[4:5], vcc
	s_cbranch_execz .LBB44_94
; %bb.93:
	v_mov_b32_e32 v6, 0
	v_mov_b32_e32 v7, s19
	global_atomic_smin v6, v7, s[14:15]
.LBB44_94:
	s_or_b64 exec, exec, s[4:5]
	v_mov_b32_e32 v7, 0
	v_mov_b32_e32 v6, 1.0
.LBB44_95:
	s_or_b64 exec, exec, s[2:3]
	v_cmp_lt_u32_e32 vcc, 2, v1
	s_and_saveexec_b64 s[2:3], vcc
	s_cbranch_execz .LBB44_97
; %bb.96:
	v_mul_f32_e32 v16, v7, v7
	v_fmac_f32_e32 v16, v6, v6
	v_div_scale_f32 v8, s[4:5], v16, v16, 1.0
	v_div_scale_f32 v9, vcc, 1.0, v16, 1.0
	v_rcp_f32_e32 v14, v8
	v_fma_f32 v15, -v8, v14, 1.0
	v_fmac_f32_e32 v14, v15, v14
	v_mul_f32_e32 v15, v9, v14
	v_fma_f32 v17, -v8, v15, v9
	v_fmac_f32_e32 v15, v17, v14
	v_fma_f32 v8, -v8, v15, v9
	v_div_fmas_f32 v17, v8, v14, v15
	ds_read_b64 v[8:9], v3 offset:16
	ds_read_b64 v[14:15], v13 offset:16
	s_waitcnt lgkmcnt(0)
	v_sub_f32_e32 v8, v8, v14
	v_sub_f32_e32 v9, v9, v15
	v_mul_f32_e32 v14, v7, v9
	v_mul_f32_e64 v7, v7, -v8
	v_fmac_f32_e32 v14, v8, v6
	v_fmac_f32_e32 v7, v9, v6
	v_div_fixup_f32 v8, v17, v16, 1.0
	v_mul_f32_e32 v6, v8, v14
	v_mul_f32_e32 v7, v8, v7
	ds_write_b64 v3, v[6:7] offset:16
	s_waitcnt lgkmcnt(0)
	ds_read_b64 v[8:9], v5 offset:16
	ds_read_b64 v[14:15], v12
	s_waitcnt lgkmcnt(0)
	v_fma_f32 v14, v6, v8, v14
	v_fmac_f32_e32 v15, v7, v8
	v_fmac_f32_e32 v14, v7, v9
	v_fma_f32 v15, v6, -v9, v15
	ds_write_b64 v12, v[14:15]
.LBB44_97:
	s_or_b64 exec, exec, s[2:3]
	v_cmp_eq_u32_e32 vcc, 3, v1
	s_waitcnt lgkmcnt(0)
	s_and_saveexec_b64 s[4:5], vcc
	s_cbranch_execz .LBB44_105
; %bb.98:
	v_mov_b32_e32 v8, 0
	ds_read2_b64 v[14:17], v8 offset0:81 offset1:111
	s_waitcnt lgkmcnt(0)
	v_sub_f32_e32 v6, v14, v16
	v_sub_f32_e32 v9, v15, v17
	v_cmp_gt_f32_e32 vcc, 0, v6
	v_cndmask_b32_e64 v6, v6, -v6, vcc
	v_cmp_gt_f32_e32 vcc, 0, v9
	v_cndmask_b32_e64 v7, v9, -v9, vcc
	v_cmp_gt_f32_e32 vcc, v6, v7
	s_cbranch_vccnz .LBB44_102
; %bb.99:
	v_cmp_eq_f32_e32 vcc, 0, v9
	s_cbranch_vccnz .LBB44_101
; %bb.100:
	v_div_scale_f32 v8, s[2:3], v7, v7, v6
	v_div_scale_f32 v9, vcc, v6, v7, v6
	s_mov_b32 s2, 0xf800000
	v_rcp_f32_e32 v14, v8
	v_fma_f32 v15, -v8, v14, 1.0
	v_fmac_f32_e32 v14, v15, v14
	v_mul_f32_e32 v15, v9, v14
	v_fma_f32 v16, -v8, v15, v9
	v_fmac_f32_e32 v15, v16, v14
	v_fma_f32 v8, -v8, v15, v9
	v_div_fmas_f32 v8, v8, v14, v15
	v_mov_b32_e32 v14, 0x260
	v_div_fixup_f32 v8, v8, v7, v6
	v_fma_f32 v8, v8, v8, 1.0
	v_mul_f32_e32 v9, 0x4f800000, v8
	v_cmp_gt_f32_e32 vcc, s2, v8
	v_cndmask_b32_e32 v8, v8, v9, vcc
	v_sqrt_f32_e32 v9, v8
	v_add_u32_e32 v15, -1, v9
	v_add_u32_e32 v16, 1, v9
	v_fma_f32 v17, -v15, v9, v8
	v_fma_f32 v18, -v16, v9, v8
	v_cmp_ge_f32_e64 s[2:3], 0, v17
	v_cndmask_b32_e64 v9, v9, v15, s[2:3]
	v_cmp_lt_f32_e64 s[2:3], 0, v18
	v_cndmask_b32_e64 v9, v9, v16, s[2:3]
	v_mul_f32_e32 v15, 0x37800000, v9
	v_cndmask_b32_e32 v9, v9, v15, vcc
	v_cmp_class_f32_e32 vcc, v8, v14
	v_cndmask_b32_e32 v8, v9, v8, vcc
	v_mul_f32_e32 v8, v7, v8
.LBB44_101:
	s_cbranch_execz .LBB44_103
	s_branch .LBB44_104
.LBB44_102:
                                        ; implicit-def: $vgpr8
.LBB44_103:
	v_div_scale_f32 v8, s[2:3], v6, v6, v7
	v_div_scale_f32 v9, vcc, v7, v6, v7
	s_mov_b32 s2, 0xf800000
	v_rcp_f32_e32 v14, v8
	v_fma_f32 v15, -v8, v14, 1.0
	v_fmac_f32_e32 v14, v15, v14
	v_mul_f32_e32 v15, v9, v14
	v_fma_f32 v16, -v8, v15, v9
	v_fmac_f32_e32 v15, v16, v14
	v_fma_f32 v8, -v8, v15, v9
	v_div_fmas_f32 v8, v8, v14, v15
	v_mov_b32_e32 v9, 0x260
	v_div_fixup_f32 v7, v8, v6, v7
	v_fma_f32 v7, v7, v7, 1.0
	v_mul_f32_e32 v8, 0x4f800000, v7
	v_cmp_gt_f32_e32 vcc, s2, v7
	v_cndmask_b32_e32 v7, v7, v8, vcc
	v_sqrt_f32_e32 v8, v7
	v_add_u32_e32 v14, -1, v8
	v_add_u32_e32 v15, 1, v8
	v_fma_f32 v16, -v14, v8, v7
	v_fma_f32 v17, -v15, v8, v7
	v_cmp_ge_f32_e64 s[2:3], 0, v16
	v_cndmask_b32_e64 v8, v8, v14, s[2:3]
	v_cmp_lt_f32_e64 s[2:3], 0, v17
	v_cndmask_b32_e64 v8, v8, v15, s[2:3]
	v_mul_f32_e32 v14, 0x37800000, v8
	v_cndmask_b32_e32 v8, v8, v14, vcc
	v_cmp_class_f32_e32 vcc, v7, v9
	v_cndmask_b32_e32 v7, v8, v7, vcc
	v_mul_f32_e32 v8, v6, v7
.LBB44_104:
	s_mov_b32 s2, 0xf800000
	v_mul_f32_e32 v6, 0x4f800000, v8
	v_cmp_gt_f32_e32 vcc, s2, v8
	v_cndmask_b32_e32 v6, v8, v6, vcc
	v_sqrt_f32_e32 v7, v6
	v_add_u32_e32 v8, -1, v7
	v_fma_f32 v9, -v8, v7, v6
	v_cmp_ge_f32_e64 s[2:3], 0, v9
	v_add_u32_e32 v9, 1, v7
	v_cndmask_b32_e64 v8, v7, v8, s[2:3]
	v_fma_f32 v7, -v9, v7, v6
	v_cmp_lt_f32_e64 s[2:3], 0, v7
	v_cndmask_b32_e64 v7, v8, v9, s[2:3]
	v_mul_f32_e32 v8, 0x37800000, v7
	v_cndmask_b32_e32 v7, v7, v8, vcc
	v_mov_b32_e32 v8, 0x260
	v_cmp_class_f32_e32 vcc, v6, v8
	v_cndmask_b32_e32 v6, v7, v6, vcc
	v_mov_b32_e32 v7, 0
	ds_write_b64 v7, v[6:7] offset:648
.LBB44_105:
	s_or_b64 exec, exec, s[4:5]
	v_mov_b32_e32 v6, 0
	s_waitcnt lgkmcnt(0)
	ds_read_b64 v[6:7], v6 offset:648
	s_waitcnt lgkmcnt(0)
	v_cmp_neq_f32_e32 vcc, 0, v6
	v_cmp_neq_f32_e64 s[2:3], 0, v7
	s_or_b64 vcc, vcc, s[2:3]
	v_cndmask_b32_e32 v6, 1.0, v6, vcc
	s_nor_b64 s[4:5], vcc, s[0:1]
	v_cndmask_b32_e32 v7, 0, v7, vcc
	s_and_saveexec_b64 s[2:3], s[4:5]
	s_cbranch_execz .LBB44_109
; %bb.106:
	v_mbcnt_lo_u32_b32 v6, exec_lo, 0
	v_mbcnt_hi_u32_b32 v6, exec_hi, v6
	v_cmp_eq_u32_e32 vcc, 0, v6
	s_and_saveexec_b64 s[4:5], vcc
	s_cbranch_execz .LBB44_108
; %bb.107:
	v_mov_b32_e32 v6, 0
	v_mov_b32_e32 v7, s19
	global_atomic_smin v6, v7, s[14:15]
.LBB44_108:
	s_or_b64 exec, exec, s[4:5]
	v_mov_b32_e32 v7, 0
	v_mov_b32_e32 v6, 1.0
.LBB44_109:
	s_or_b64 exec, exec, s[2:3]
	v_cmp_lt_u32_e32 vcc, 3, v1
	s_and_saveexec_b64 s[2:3], vcc
	s_cbranch_execz .LBB44_111
; %bb.110:
	v_mul_f32_e32 v16, v7, v7
	v_fmac_f32_e32 v16, v6, v6
	v_div_scale_f32 v8, s[4:5], v16, v16, 1.0
	v_div_scale_f32 v9, vcc, 1.0, v16, 1.0
	v_rcp_f32_e32 v14, v8
	v_fma_f32 v15, -v8, v14, 1.0
	v_fmac_f32_e32 v14, v15, v14
	v_mul_f32_e32 v15, v9, v14
	v_fma_f32 v17, -v8, v15, v9
	v_fmac_f32_e32 v15, v17, v14
	v_fma_f32 v8, -v8, v15, v9
	v_div_fmas_f32 v17, v8, v14, v15
	ds_read_b64 v[8:9], v3 offset:24
	ds_read_b64 v[14:15], v13 offset:24
	s_waitcnt lgkmcnt(0)
	v_sub_f32_e32 v8, v8, v14
	v_sub_f32_e32 v9, v9, v15
	v_mul_f32_e32 v14, v7, v9
	v_mul_f32_e64 v7, v7, -v8
	v_fmac_f32_e32 v14, v8, v6
	v_fmac_f32_e32 v7, v9, v6
	v_div_fixup_f32 v8, v17, v16, 1.0
	v_mul_f32_e32 v6, v8, v14
	v_mul_f32_e32 v7, v8, v7
	ds_write_b64 v3, v[6:7] offset:24
	s_waitcnt lgkmcnt(0)
	ds_read_b64 v[8:9], v5 offset:24
	ds_read_b64 v[14:15], v12
	s_waitcnt lgkmcnt(0)
	v_fma_f32 v14, v6, v8, v14
	v_fmac_f32_e32 v15, v7, v8
	v_fmac_f32_e32 v14, v7, v9
	v_fma_f32 v15, v6, -v9, v15
	ds_write_b64 v12, v[14:15]
.LBB44_111:
	s_or_b64 exec, exec, s[2:3]
	v_cmp_eq_u32_e32 vcc, 4, v1
	s_waitcnt lgkmcnt(0)
	s_and_saveexec_b64 s[4:5], vcc
	s_cbranch_execz .LBB44_119
; %bb.112:
	v_mov_b32_e32 v8, 0
	ds_read2_b64 v[14:17], v8 offset0:88 offset1:118
	s_waitcnt lgkmcnt(0)
	v_sub_f32_e32 v6, v14, v16
	v_sub_f32_e32 v9, v15, v17
	v_cmp_gt_f32_e32 vcc, 0, v6
	v_cndmask_b32_e64 v6, v6, -v6, vcc
	v_cmp_gt_f32_e32 vcc, 0, v9
	v_cndmask_b32_e64 v7, v9, -v9, vcc
	v_cmp_gt_f32_e32 vcc, v6, v7
	s_cbranch_vccnz .LBB44_116
; %bb.113:
	v_cmp_eq_f32_e32 vcc, 0, v9
	s_cbranch_vccnz .LBB44_115
; %bb.114:
	v_div_scale_f32 v8, s[2:3], v7, v7, v6
	v_div_scale_f32 v9, vcc, v6, v7, v6
	s_mov_b32 s2, 0xf800000
	v_rcp_f32_e32 v14, v8
	v_fma_f32 v15, -v8, v14, 1.0
	v_fmac_f32_e32 v14, v15, v14
	v_mul_f32_e32 v15, v9, v14
	v_fma_f32 v16, -v8, v15, v9
	v_fmac_f32_e32 v15, v16, v14
	v_fma_f32 v8, -v8, v15, v9
	v_div_fmas_f32 v8, v8, v14, v15
	v_mov_b32_e32 v14, 0x260
	v_div_fixup_f32 v8, v8, v7, v6
	v_fma_f32 v8, v8, v8, 1.0
	v_mul_f32_e32 v9, 0x4f800000, v8
	v_cmp_gt_f32_e32 vcc, s2, v8
	v_cndmask_b32_e32 v8, v8, v9, vcc
	v_sqrt_f32_e32 v9, v8
	v_add_u32_e32 v15, -1, v9
	v_add_u32_e32 v16, 1, v9
	v_fma_f32 v17, -v15, v9, v8
	v_fma_f32 v18, -v16, v9, v8
	v_cmp_ge_f32_e64 s[2:3], 0, v17
	v_cndmask_b32_e64 v9, v9, v15, s[2:3]
	v_cmp_lt_f32_e64 s[2:3], 0, v18
	v_cndmask_b32_e64 v9, v9, v16, s[2:3]
	v_mul_f32_e32 v15, 0x37800000, v9
	v_cndmask_b32_e32 v9, v9, v15, vcc
	v_cmp_class_f32_e32 vcc, v8, v14
	v_cndmask_b32_e32 v8, v9, v8, vcc
	v_mul_f32_e32 v8, v7, v8
.LBB44_115:
	s_cbranch_execz .LBB44_117
	s_branch .LBB44_118
.LBB44_116:
                                        ; implicit-def: $vgpr8
.LBB44_117:
	v_div_scale_f32 v8, s[2:3], v6, v6, v7
	v_div_scale_f32 v9, vcc, v7, v6, v7
	s_mov_b32 s2, 0xf800000
	v_rcp_f32_e32 v14, v8
	v_fma_f32 v15, -v8, v14, 1.0
	v_fmac_f32_e32 v14, v15, v14
	v_mul_f32_e32 v15, v9, v14
	v_fma_f32 v16, -v8, v15, v9
	v_fmac_f32_e32 v15, v16, v14
	v_fma_f32 v8, -v8, v15, v9
	v_div_fmas_f32 v8, v8, v14, v15
	v_mov_b32_e32 v9, 0x260
	v_div_fixup_f32 v7, v8, v6, v7
	v_fma_f32 v7, v7, v7, 1.0
	v_mul_f32_e32 v8, 0x4f800000, v7
	v_cmp_gt_f32_e32 vcc, s2, v7
	v_cndmask_b32_e32 v7, v7, v8, vcc
	v_sqrt_f32_e32 v8, v7
	v_add_u32_e32 v14, -1, v8
	v_add_u32_e32 v15, 1, v8
	v_fma_f32 v16, -v14, v8, v7
	v_fma_f32 v17, -v15, v8, v7
	v_cmp_ge_f32_e64 s[2:3], 0, v16
	v_cndmask_b32_e64 v8, v8, v14, s[2:3]
	v_cmp_lt_f32_e64 s[2:3], 0, v17
	v_cndmask_b32_e64 v8, v8, v15, s[2:3]
	v_mul_f32_e32 v14, 0x37800000, v8
	v_cndmask_b32_e32 v8, v8, v14, vcc
	v_cmp_class_f32_e32 vcc, v7, v9
	v_cndmask_b32_e32 v7, v8, v7, vcc
	v_mul_f32_e32 v8, v6, v7
.LBB44_118:
	s_mov_b32 s2, 0xf800000
	v_mul_f32_e32 v6, 0x4f800000, v8
	v_cmp_gt_f32_e32 vcc, s2, v8
	v_cndmask_b32_e32 v6, v8, v6, vcc
	v_sqrt_f32_e32 v7, v6
	v_add_u32_e32 v8, -1, v7
	v_fma_f32 v9, -v8, v7, v6
	v_cmp_ge_f32_e64 s[2:3], 0, v9
	v_add_u32_e32 v9, 1, v7
	v_cndmask_b32_e64 v8, v7, v8, s[2:3]
	v_fma_f32 v7, -v9, v7, v6
	v_cmp_lt_f32_e64 s[2:3], 0, v7
	v_cndmask_b32_e64 v7, v8, v9, s[2:3]
	v_mul_f32_e32 v8, 0x37800000, v7
	v_cndmask_b32_e32 v7, v7, v8, vcc
	v_mov_b32_e32 v8, 0x260
	v_cmp_class_f32_e32 vcc, v6, v8
	v_cndmask_b32_e32 v6, v7, v6, vcc
	v_mov_b32_e32 v7, 0
	ds_write_b64 v7, v[6:7] offset:704
.LBB44_119:
	s_or_b64 exec, exec, s[4:5]
	v_mov_b32_e32 v6, 0
	s_waitcnt lgkmcnt(0)
	ds_read_b64 v[6:7], v6 offset:704
	s_waitcnt lgkmcnt(0)
	v_cmp_neq_f32_e32 vcc, 0, v6
	v_cmp_neq_f32_e64 s[2:3], 0, v7
	s_or_b64 vcc, vcc, s[2:3]
	v_cndmask_b32_e32 v6, 1.0, v6, vcc
	s_nor_b64 s[2:3], vcc, s[0:1]
	v_cndmask_b32_e32 v7, 0, v7, vcc
	s_and_saveexec_b64 s[0:1], s[2:3]
	s_cbranch_execz .LBB44_132
; %bb.120:
	v_mbcnt_lo_u32_b32 v6, exec_lo, 0
	v_mbcnt_hi_u32_b32 v6, exec_hi, v6
	v_cmp_eq_u32_e32 vcc, 0, v6
	s_and_saveexec_b64 s[2:3], vcc
	s_cbranch_execz .LBB44_122
; %bb.121:
	v_mov_b32_e32 v6, 0
	v_mov_b32_e32 v7, s19
	global_atomic_smin v6, v7, s[14:15]
.LBB44_122:
	s_or_b64 exec, exec, s[2:3]
	v_mov_b32_e32 v7, 0
	v_mov_b32_e32 v6, 1.0
	s_or_b64 exec, exec, s[0:1]
	v_cmp_lt_u32_e32 vcc, 4, v1
	s_and_saveexec_b64 s[0:1], vcc
	s_cbranch_execnz .LBB44_133
.LBB44_123:
	s_or_b64 exec, exec, s[0:1]
	s_andn2_b64 vcc, exec, s[8:9]
	s_cbranch_vccnz .LBB44_125
.LBB44_124:
	v_mov_b32_e32 v10, v11
.LBB44_125:
	v_add_u32_e32 v5, s18, v10
	v_ashrrev_i32_e32 v6, 31, v5
	v_lshlrev_b64 v[5:6], 3, v[5:6]
	ds_read_b64 v[2:3], v2
	v_mov_b32_e32 v7, s21
	v_add_co_u32_e32 v5, vcc, s20, v5
	v_addc_co_u32_e32 v6, vcc, v7, v6, vcc
	v_cmp_eq_u32_e32 vcc, 0, v4
	s_waitcnt lgkmcnt(0)
	global_store_dwordx2 v[5:6], v[2:3], off
	s_and_saveexec_b64 s[0:1], vcc
	s_cbranch_execz .LBB44_127
; %bb.126:
	s_add_u32 s2, s10, s6
	s_addc_u32 s3, s11, s7
	v_mov_b32_e32 v2, 0
	v_mov_b32_e32 v3, 1
	s_waitcnt vmcnt(0)
	global_store_dword v2, v3, s[2:3]
.LBB44_127:
	s_or_b64 exec, exec, s[0:1]
	s_branch .LBB44_59
.LBB44_128:
	v_or_b32_e32 v0, v0, v1
	v_cmp_eq_u32_e32 vcc, 0, v0
	s_and_saveexec_b64 s[0:1], vcc
	s_cbranch_execz .LBB44_59
; %bb.129:
	v_mbcnt_lo_u32_b32 v0, exec_lo, 0
	v_mbcnt_hi_u32_b32 v0, exec_hi, v0
	v_cmp_eq_u32_e32 vcc, 0, v0
	s_and_saveexec_b64 s[0:1], vcc
	s_cbranch_execz .LBB44_131
; %bb.130:
	s_add_i32 s2, s12, s13
	v_mov_b32_e32 v0, 0
	v_mov_b32_e32 v1, s2
	global_atomic_smin v0, v1, s[14:15]
.LBB44_131:
	s_or_b64 exec, exec, s[0:1]
	s_add_u32 s0, s10, s6
	s_addc_u32 s1, s11, s7
	v_mov_b32_e32 v0, 0
	v_mov_b32_e32 v1, 1
	s_waitcnt vmcnt(0)
	global_store_dword v0, v1, s[0:1]
	s_endpgm
.LBB44_132:
	s_or_b64 exec, exec, s[0:1]
	v_cmp_lt_u32_e32 vcc, 4, v1
	s_and_saveexec_b64 s[0:1], vcc
	s_cbranch_execz .LBB44_123
.LBB44_133:
	v_mul_f32_e32 v15, v7, v7
	v_fmac_f32_e32 v15, v6, v6
	v_div_scale_f32 v8, s[2:3], v15, v15, 1.0
	v_div_scale_f32 v9, vcc, 1.0, v15, 1.0
	v_rcp_f32_e32 v14, v8
	v_fma_f32 v16, -v8, v14, 1.0
	v_fmac_f32_e32 v14, v16, v14
	v_mul_f32_e32 v16, v9, v14
	v_fma_f32 v17, -v8, v16, v9
	v_fmac_f32_e32 v16, v17, v14
	v_fma_f32 v8, -v8, v16, v9
	v_div_fmas_f32 v16, v8, v14, v16
	ds_read_b64 v[8:9], v3 offset:32
	ds_read_b64 v[13:14], v13 offset:32
	s_waitcnt lgkmcnt(0)
	v_sub_f32_e32 v8, v8, v13
	v_sub_f32_e32 v9, v9, v14
	v_mul_f32_e32 v13, v7, v9
	v_mul_f32_e64 v7, v7, -v8
	v_fmac_f32_e32 v13, v8, v6
	v_fmac_f32_e32 v7, v9, v6
	v_div_fixup_f32 v8, v16, v15, 1.0
	v_mul_f32_e32 v6, v8, v13
	v_mul_f32_e32 v7, v8, v7
	ds_write_b64 v3, v[6:7] offset:32
	s_waitcnt lgkmcnt(0)
	ds_read_b64 v[8:9], v5 offset:32
	ds_read_b64 v[13:14], v12
	s_waitcnt lgkmcnt(0)
	v_fma_f32 v5, v6, v8, v13
	v_fmac_f32_e32 v14, v7, v8
	v_fmac_f32_e32 v5, v7, v9
	v_fma_f32 v6, v6, -v9, v14
	ds_write_b64 v12, v[5:6]
	s_or_b64 exec, exec, s[0:1]
	s_andn2_b64 vcc, exec, s[8:9]
	s_waitcnt lgkmcnt(0)
	s_cbranch_vccz .LBB44_124
	s_branch .LBB44_125
	.section	.rodata,"a",@progbits
	.p2align	6, 0x0
	.amdhsa_kernel _ZN9rocsparseL26bsric0_2_8_unrolled_kernelILi25ELi32ELi5E21rocsparse_complex_numIfEEEv20rocsparse_direction_iiPKiS5_PT2_S5_PiS5_S8_21rocsparse_index_base_
		.amdhsa_group_segment_fixed_size 1344
		.amdhsa_private_segment_fixed_size 0
		.amdhsa_kernarg_size 76
		.amdhsa_user_sgpr_count 6
		.amdhsa_user_sgpr_private_segment_buffer 1
		.amdhsa_user_sgpr_dispatch_ptr 0
		.amdhsa_user_sgpr_queue_ptr 0
		.amdhsa_user_sgpr_kernarg_segment_ptr 1
		.amdhsa_user_sgpr_dispatch_id 0
		.amdhsa_user_sgpr_flat_scratch_init 0
		.amdhsa_user_sgpr_private_segment_size 0
		.amdhsa_uses_dynamic_stack 0
		.amdhsa_system_sgpr_private_segment_wavefront_offset 0
		.amdhsa_system_sgpr_workgroup_id_x 1
		.amdhsa_system_sgpr_workgroup_id_y 0
		.amdhsa_system_sgpr_workgroup_id_z 0
		.amdhsa_system_sgpr_workgroup_info 0
		.amdhsa_system_vgpr_workitem_id 1
		.amdhsa_next_free_vgpr 49
		.amdhsa_next_free_sgpr 40
		.amdhsa_reserve_vcc 1
		.amdhsa_reserve_flat_scratch 0
		.amdhsa_float_round_mode_32 0
		.amdhsa_float_round_mode_16_64 0
		.amdhsa_float_denorm_mode_32 3
		.amdhsa_float_denorm_mode_16_64 3
		.amdhsa_dx10_clamp 1
		.amdhsa_ieee_mode 1
		.amdhsa_fp16_overflow 0
		.amdhsa_exception_fp_ieee_invalid_op 0
		.amdhsa_exception_fp_denorm_src 0
		.amdhsa_exception_fp_ieee_div_zero 0
		.amdhsa_exception_fp_ieee_overflow 0
		.amdhsa_exception_fp_ieee_underflow 0
		.amdhsa_exception_fp_ieee_inexact 0
		.amdhsa_exception_int_div_zero 0
	.end_amdhsa_kernel
	.section	.text._ZN9rocsparseL26bsric0_2_8_unrolled_kernelILi25ELi32ELi5E21rocsparse_complex_numIfEEEv20rocsparse_direction_iiPKiS5_PT2_S5_PiS5_S8_21rocsparse_index_base_,"axG",@progbits,_ZN9rocsparseL26bsric0_2_8_unrolled_kernelILi25ELi32ELi5E21rocsparse_complex_numIfEEEv20rocsparse_direction_iiPKiS5_PT2_S5_PiS5_S8_21rocsparse_index_base_,comdat
.Lfunc_end44:
	.size	_ZN9rocsparseL26bsric0_2_8_unrolled_kernelILi25ELi32ELi5E21rocsparse_complex_numIfEEEv20rocsparse_direction_iiPKiS5_PT2_S5_PiS5_S8_21rocsparse_index_base_, .Lfunc_end44-_ZN9rocsparseL26bsric0_2_8_unrolled_kernelILi25ELi32ELi5E21rocsparse_complex_numIfEEEv20rocsparse_direction_iiPKiS5_PT2_S5_PiS5_S8_21rocsparse_index_base_
                                        ; -- End function
	.set _ZN9rocsparseL26bsric0_2_8_unrolled_kernelILi25ELi32ELi5E21rocsparse_complex_numIfEEEv20rocsparse_direction_iiPKiS5_PT2_S5_PiS5_S8_21rocsparse_index_base_.num_vgpr, 49
	.set _ZN9rocsparseL26bsric0_2_8_unrolled_kernelILi25ELi32ELi5E21rocsparse_complex_numIfEEEv20rocsparse_direction_iiPKiS5_PT2_S5_PiS5_S8_21rocsparse_index_base_.num_agpr, 0
	.set _ZN9rocsparseL26bsric0_2_8_unrolled_kernelILi25ELi32ELi5E21rocsparse_complex_numIfEEEv20rocsparse_direction_iiPKiS5_PT2_S5_PiS5_S8_21rocsparse_index_base_.numbered_sgpr, 40
	.set _ZN9rocsparseL26bsric0_2_8_unrolled_kernelILi25ELi32ELi5E21rocsparse_complex_numIfEEEv20rocsparse_direction_iiPKiS5_PT2_S5_PiS5_S8_21rocsparse_index_base_.num_named_barrier, 0
	.set _ZN9rocsparseL26bsric0_2_8_unrolled_kernelILi25ELi32ELi5E21rocsparse_complex_numIfEEEv20rocsparse_direction_iiPKiS5_PT2_S5_PiS5_S8_21rocsparse_index_base_.private_seg_size, 0
	.set _ZN9rocsparseL26bsric0_2_8_unrolled_kernelILi25ELi32ELi5E21rocsparse_complex_numIfEEEv20rocsparse_direction_iiPKiS5_PT2_S5_PiS5_S8_21rocsparse_index_base_.uses_vcc, 1
	.set _ZN9rocsparseL26bsric0_2_8_unrolled_kernelILi25ELi32ELi5E21rocsparse_complex_numIfEEEv20rocsparse_direction_iiPKiS5_PT2_S5_PiS5_S8_21rocsparse_index_base_.uses_flat_scratch, 0
	.set _ZN9rocsparseL26bsric0_2_8_unrolled_kernelILi25ELi32ELi5E21rocsparse_complex_numIfEEEv20rocsparse_direction_iiPKiS5_PT2_S5_PiS5_S8_21rocsparse_index_base_.has_dyn_sized_stack, 0
	.set _ZN9rocsparseL26bsric0_2_8_unrolled_kernelILi25ELi32ELi5E21rocsparse_complex_numIfEEEv20rocsparse_direction_iiPKiS5_PT2_S5_PiS5_S8_21rocsparse_index_base_.has_recursion, 0
	.set _ZN9rocsparseL26bsric0_2_8_unrolled_kernelILi25ELi32ELi5E21rocsparse_complex_numIfEEEv20rocsparse_direction_iiPKiS5_PT2_S5_PiS5_S8_21rocsparse_index_base_.has_indirect_call, 0
	.section	.AMDGPU.csdata,"",@progbits
; Kernel info:
; codeLenInByte = 8784
; TotalNumSgprs: 44
; NumVgprs: 49
; ScratchSize: 0
; MemoryBound: 0
; FloatMode: 240
; IeeeMode: 1
; LDSByteSize: 1344 bytes/workgroup (compile time only)
; SGPRBlocks: 5
; VGPRBlocks: 12
; NumSGPRsForWavesPerEU: 44
; NumVGPRsForWavesPerEU: 49
; Occupancy: 4
; WaveLimiterHint : 1
; COMPUTE_PGM_RSRC2:SCRATCH_EN: 0
; COMPUTE_PGM_RSRC2:USER_SGPR: 6
; COMPUTE_PGM_RSRC2:TRAP_HANDLER: 0
; COMPUTE_PGM_RSRC2:TGID_X_EN: 1
; COMPUTE_PGM_RSRC2:TGID_Y_EN: 0
; COMPUTE_PGM_RSRC2:TGID_Z_EN: 0
; COMPUTE_PGM_RSRC2:TIDIG_COMP_CNT: 1
	.section	.text._ZN9rocsparseL26bsric0_2_8_unrolled_kernelILi36ELi32ELi6E21rocsparse_complex_numIfEEEv20rocsparse_direction_iiPKiS5_PT2_S5_PiS5_S8_21rocsparse_index_base_,"axG",@progbits,_ZN9rocsparseL26bsric0_2_8_unrolled_kernelILi36ELi32ELi6E21rocsparse_complex_numIfEEEv20rocsparse_direction_iiPKiS5_PT2_S5_PiS5_S8_21rocsparse_index_base_,comdat
	.globl	_ZN9rocsparseL26bsric0_2_8_unrolled_kernelILi36ELi32ELi6E21rocsparse_complex_numIfEEEv20rocsparse_direction_iiPKiS5_PT2_S5_PiS5_S8_21rocsparse_index_base_ ; -- Begin function _ZN9rocsparseL26bsric0_2_8_unrolled_kernelILi36ELi32ELi6E21rocsparse_complex_numIfEEEv20rocsparse_direction_iiPKiS5_PT2_S5_PiS5_S8_21rocsparse_index_base_
	.p2align	8
	.type	_ZN9rocsparseL26bsric0_2_8_unrolled_kernelILi36ELi32ELi6E21rocsparse_complex_numIfEEEv20rocsparse_direction_iiPKiS5_PT2_S5_PiS5_S8_21rocsparse_index_base_,@function
_ZN9rocsparseL26bsric0_2_8_unrolled_kernelILi36ELi32ELi6E21rocsparse_complex_numIfEEEv20rocsparse_direction_iiPKiS5_PT2_S5_PiS5_S8_21rocsparse_index_base_: ; @_ZN9rocsparseL26bsric0_2_8_unrolled_kernelILi36ELi32ELi6E21rocsparse_complex_numIfEEEv20rocsparse_direction_iiPKiS5_PT2_S5_PiS5_S8_21rocsparse_index_base_
; %bb.0:
	s_load_dwordx8 s[8:15], s[4:5], 0x28
	s_mov_b32 s7, 0
	s_lshl_b64 s[0:1], s[6:7], 2
	s_waitcnt lgkmcnt(0)
	s_add_u32 s0, s12, s0
	s_addc_u32 s1, s13, s1
	s_load_dword s12, s[0:1], 0x0
	s_waitcnt lgkmcnt(0)
	s_ashr_i32 s13, s12, 31
	s_lshl_b64 s[6:7], s[12:13], 2
	s_add_u32 s0, s8, s6
	s_addc_u32 s1, s9, s7
	s_load_dword s30, s[0:1], 0x0
	s_load_dword s13, s[4:5], 0x48
	s_waitcnt lgkmcnt(0)
	s_cmp_lg_u32 s30, -1
	s_cbranch_scc0 .LBB45_62
; %bb.1:
	s_load_dwordx4 s[16:19], s[4:5], 0x10
	s_load_dwordx2 s[20:21], s[4:5], 0x20
	v_mad_u32_u24 v10, v1, 6, v0
	s_waitcnt lgkmcnt(0)
	s_add_u32 s0, s16, s6
	s_addc_u32 s1, s17, s7
	s_load_dword s0, s[0:1], 0x0
	s_waitcnt lgkmcnt(0)
	s_sub_i32 s31, s0, s13
	v_add_u32_e32 v2, s31, v10
	v_cmp_ge_i32_e32 vcc, s30, v2
	s_and_saveexec_b64 s[0:1], vcc
	s_cbranch_execz .LBB45_4
; %bb.2:
	v_mov_b32_e32 v3, 0x640
	v_lshl_add_u32 v5, v10, 2, v3
	v_ashrrev_i32_e32 v3, 31, v2
	v_lshlrev_b64 v[3:4], 2, v[2:3]
	v_mov_b32_e32 v6, s19
	v_add_co_u32_e32 v3, vcc, s18, v3
	v_addc_co_u32_e32 v4, vcc, v6, v4, vcc
	s_mov_b64 s[2:3], 0
.LBB45_3:                               ; =>This Inner Loop Header: Depth=1
	global_load_dword v6, v[3:4], off
	v_add_co_u32_e32 v3, vcc, 0x90, v3
	v_add_u32_e32 v2, 36, v2
	v_addc_co_u32_e32 v4, vcc, 0, v4, vcc
	v_cmp_lt_i32_e32 vcc, s30, v2
	s_or_b64 s[2:3], vcc, s[2:3]
	s_waitcnt vmcnt(0)
	v_subrev_u32_e32 v6, s13, v6
	ds_write_b32 v5, v6
	v_add_u32_e32 v5, 0x90, v5
	s_andn2_b64 exec, exec, s[2:3]
	s_cbranch_execnz .LBB45_3
.LBB45_4:
	s_or_b64 exec, exec, s[0:1]
	s_load_dword s33, s[4:5], 0x0
	v_mov_b32_e32 v2, 0x3f0
	v_mad_u32_u24 v13, v1, 56, v2
	v_mov_b32_e32 v2, 0
	v_mul_u32_u24_e32 v14, 6, v1
	v_lshl_add_u32 v12, v0, 3, v13
	v_mov_b32_e32 v3, v2
	s_cmp_ge_i32 s31, s30
	v_mad_u32_u24 v11, v0, 6, v1
	ds_write_b64 v12, v[2:3]
	s_waitcnt lgkmcnt(0)
	s_cbranch_scc1 .LBB45_55
; %bb.5:
	s_cmp_lg_u32 s33, 0
	s_cselect_b64 s[4:5], -1, 0
	s_cmp_eq_u32 s33, 0
	v_mov_b32_e32 v4, 0x2a0
	v_mov_b32_e32 v6, 0x150
	v_mad_u32_u24 v3, v0, 6, v1
	v_mad_u32_u24 v16, v1, 56, v4
	v_lshlrev_b32_e32 v5, 3, v0
	v_mad_u32_u24 v19, v1, 56, v6
	v_mad_u32_u24 v21, v0, 56, v4
	v_or_b32_e32 v4, v0, v1
	s_cselect_b64 vcc, -1, 0
	v_mul_u32_u24_e32 v15, 6, v0
	v_add_u32_e32 v17, v16, v5
	v_mad_u32_u24 v18, v1, 56, v5
	v_add_u32_e32 v20, v19, v5
	v_cmp_ne_u32_e64 s[0:1], 0, v4
	v_cndmask_b32_e32 v3, v3, v10, vcc
	s_mov_b32 s22, s31
	s_branch .LBB45_8
.LBB45_6:                               ;   in Loop: Header=BB45_8 Depth=1
	s_or_b64 exec, exec, s[24:25]
	v_mov_b32_e32 v9, 0
	v_mov_b32_e32 v8, 1.0
.LBB45_7:                               ;   in Loop: Header=BB45_8 Depth=1
	s_or_b64 exec, exec, s[2:3]
	v_mul_f32_e32 v44, v9, v9
	v_fmac_f32_e32 v44, v8, v8
	v_div_scale_f32 v45, s[2:3], v44, v44, 1.0
	v_div_scale_f32 v46, vcc, 1.0, v44, 1.0
	ds_read2_b64 v[22:25], v2 offset0:35 offset1:36
	ds_read2_b64 v[26:29], v16 offset1:1
	ds_read_b64 v[38:39], v19 offset:40
	ds_read_b64 v[40:41], v16 offset:32
	ds_read2_b64 v[30:33], v2 offset0:37 offset1:38
	ds_read2_b64 v[34:37], v16 offset0:2 offset1:3
	ds_read_b64 v[42:43], v2 offset:312
	s_add_i32 s22, s22, 1
	s_cmp_ge_i32 s22, s30
	s_cselect_b64 s[2:3], -1, 0
	s_waitcnt lgkmcnt(4)
	v_fmac_f32_e32 v38, v22, v26
	v_fma_f32 v39, v23, v26, v39
	v_fmac_f32_e32 v38, v23, v27
	v_fma_f32 v22, v22, -v27, v39
	v_fmac_f32_e32 v22, v25, v28
	v_fmac_f32_e32 v38, v24, v28
	v_fma_f32 v22, v24, -v29, v22
	v_rcp_f32_e32 v23, v45
	v_fmac_f32_e32 v38, v25, v29
	s_waitcnt lgkmcnt(1)
	v_fmac_f32_e32 v22, v31, v34
	v_fmac_f32_e32 v38, v30, v34
	v_fma_f32 v24, -v45, v23, 1.0
	v_fmac_f32_e32 v23, v24, v23
	v_mul_f32_e32 v24, v46, v23
	v_fma_f32 v26, -v45, v24, v46
	v_fmac_f32_e32 v24, v26, v23
	v_fma_f32 v26, -v45, v24, v46
	v_div_fmas_f32 v23, v26, v23, v24
	v_fma_f32 v22, v30, -v35, v22
	v_fmac_f32_e32 v38, v31, v35
	v_fmac_f32_e32 v22, v33, v36
	;; [unrolled: 1-line block ×3, first 2 shown]
	v_fma_f32 v22, v32, -v37, v22
	v_fmac_f32_e32 v38, v33, v37
	s_waitcnt lgkmcnt(0)
	v_fmac_f32_e32 v22, v43, v40
	v_fmac_f32_e32 v38, v42, v40
	v_fma_f32 v22, v42, -v41, v22
	v_fmac_f32_e32 v38, v43, v41
	v_sub_f32_e32 v24, v6, v38
	v_sub_f32_e32 v7, v7, v22
	v_mul_f32_e32 v6, v9, v7
	v_mul_f32_e64 v9, v9, -v24
	v_fmac_f32_e32 v6, v24, v8
	v_div_fixup_f32 v22, v23, v44, 1.0
	v_fmac_f32_e32 v9, v7, v8
	v_mul_f32_e32 v6, v22, v6
	v_mul_f32_e32 v7, v22, v9
	ds_write_b64 v16, v[6:7] offset:40
	s_waitcnt lgkmcnt(0)
	ds_read_b64 v[8:9], v21 offset:40
	ds_read_b64 v[22:23], v12
	s_waitcnt lgkmcnt(0)
	v_fma_f32 v22, v6, v8, v22
	v_fmac_f32_e32 v23, v7, v8
	v_fmac_f32_e32 v22, v7, v9
	v_fma_f32 v23, v6, -v9, v23
	ds_write_b64 v12, v[22:23]
	s_waitcnt lgkmcnt(0)
	ds_read_b64 v[6:7], v17
	s_waitcnt lgkmcnt(0)
	global_store_dwordx2 v[4:5], v[6:7], off
	s_waitcnt vmcnt(0)
	buffer_wbinvl1_vol
	s_and_b64 vcc, exec, s[2:3]
	s_cbranch_vccnz .LBB45_55
.LBB45_8:                               ; =>This Loop Header: Depth=1
                                        ;     Child Loop BB45_11 Depth 2
                                        ;     Child Loop BB45_22 Depth 2
	;; [unrolled: 1-line block ×3, first 2 shown]
	s_ashr_i32 s23, s22, 31
	s_lshl_b64 s[2:3], s[22:23], 2
	s_add_u32 s2, s18, s2
	s_addc_u32 s3, s19, s3
	s_load_dword s23, s[2:3], 0x0
	s_waitcnt lgkmcnt(0)
	s_sub_i32 s24, s23, s13
	s_ashr_i32 s25, s24, 31
	s_lshl_b64 s[2:3], s[24:25], 2
	s_add_u32 s26, s8, s2
	s_addc_u32 s27, s9, s3
	s_load_dword s25, s[26:27], 0x0
	s_waitcnt lgkmcnt(0)
	s_cmp_eq_u32 s25, -1
	s_cbranch_scc1 .LBB45_54
; %bb.9:                                ;   in Loop: Header=BB45_8 Depth=1
	v_mad_u64_u32 v[4:5], s[26:27], s22, 36, v[3:4]
	v_mov_b32_e32 v6, s21
	s_add_u32 s26, s16, s2
	v_ashrrev_i32_e32 v5, 31, v4
	v_lshlrev_b64 v[4:5], 3, v[4:5]
	s_addc_u32 s27, s17, s3
	v_add_co_u32_e32 v4, vcc, s20, v4
	v_addc_co_u32_e32 v5, vcc, v6, v5, vcc
	global_load_dwordx2 v[6:7], v[4:5], off
	s_load_dword s26, s[26:27], 0x0
	ds_read_b32 v8, v2 offset:1600
	s_mov_b32 s27, 0
	s_waitcnt lgkmcnt(0)
	s_sub_i32 s26, s26, s13
	s_cmp_le_i32 s26, s25
	v_cmp_ge_i32_e32 vcc, s24, v8
	s_cselect_b64 s[28:29], -1, 0
	s_and_b64 s[28:29], s[28:29], vcc
	s_andn2_b64 vcc, exec, s[28:29]
	s_waitcnt vmcnt(0)
	ds_write_b64 v17, v[6:7]
	s_cbranch_vccnz .LBB45_21
; %bb.10:                               ;   in Loop: Header=BB45_8 Depth=1
	s_mov_b32 s34, 0
	s_mov_b32 s35, 0
.LBB45_11:                              ;   Parent Loop BB45_8 Depth=1
                                        ; =>  This Inner Loop Header: Depth=2
	s_ashr_i32 s27, s26, 31
	s_lshl_b64 s[28:29], s[26:27], 2
	s_add_u32 s28, s18, s28
	s_addc_u32 s29, s19, s29
	s_load_dword s27, s[28:29], 0x0
	s_lshl_b32 s28, s35, 2
	v_mov_b32_e32 v6, s28
	ds_read_b32 v6, v6 offset:1600
	s_mov_b64 s[28:29], -1
	s_waitcnt lgkmcnt(0)
	s_sub_i32 s39, s27, s13
                                        ; implicit-def: $sgpr27
                                        ; implicit-def: $sgpr38
                                        ; implicit-def: $sgpr37
	v_cmp_ge_i32_e32 vcc, s39, v6
	v_readfirstlane_b32 s36, v6
	s_cbranch_vccz .LBB45_17
; %bb.12:                               ;   in Loop: Header=BB45_11 Depth=2
	s_cmp_le_i32 s39, s36
                                        ; implicit-def: $sgpr27
                                        ; implicit-def: $sgpr38
                                        ; implicit-def: $sgpr37
	s_cbranch_scc0 .LBB45_14
; %bb.13:                               ;   in Loop: Header=BB45_11 Depth=2
	s_add_i32 s27, s35, s31
	s_mul_i32 s27, s27, 36
	s_lshl_b32 s28, s34, 2
	v_mov_b32_e32 v6, s28
	v_mov_b32_e32 v7, s27
	s_mul_i32 s27, s26, 36
	v_mov_b32_e32 v8, s27
	v_add_u32_e32 v6, 0x400, v6
	ds_write2_b32 v6, v8, v7 offset0:80 offset1:112
	s_add_i32 s37, s35, 1
	s_add_i32 s38, s26, 1
	;; [unrolled: 1-line block ×3, first 2 shown]
	s_mov_b64 s[28:29], 0
.LBB45_14:                              ;   in Loop: Header=BB45_11 Depth=2
	s_andn2_b64 vcc, exec, s[28:29]
	s_cbranch_vccnz .LBB45_16
; %bb.15:                               ;   in Loop: Header=BB45_11 Depth=2
	s_add_i32 s37, s35, 1
	s_mov_b32 s27, s34
	s_mov_b32 s38, s26
.LBB45_16:                              ;   in Loop: Header=BB45_11 Depth=2
	s_mov_b64 s[28:29], 0
.LBB45_17:                              ;   in Loop: Header=BB45_11 Depth=2
	s_andn2_b64 vcc, exec, s[28:29]
	s_cbranch_vccnz .LBB45_19
; %bb.18:                               ;   in Loop: Header=BB45_11 Depth=2
	s_add_i32 s38, s26, 1
	s_mov_b32 s37, s35
	s_mov_b32 s27, s34
.LBB45_19:                              ;   in Loop: Header=BB45_11 Depth=2
	s_cmp_le_i32 s38, s25
	s_cselect_b64 s[28:29], -1, 0
	s_cmp_le_i32 s36, s24
	s_cselect_b64 s[34:35], -1, 0
	s_and_b64 s[28:29], s[28:29], s[34:35]
	s_and_b64 vcc, exec, s[28:29]
	s_cbranch_vccz .LBB45_21
; %bb.20:                               ;   in Loop: Header=BB45_11 Depth=2
	s_mov_b32 s34, s27
	s_mov_b32 s26, s38
	;; [unrolled: 1-line block ×3, first 2 shown]
	s_branch .LBB45_11
.LBB45_21:                              ;   in Loop: Header=BB45_8 Depth=1
	s_add_u32 s2, s10, s2
	s_addc_u32 s3, s11, s3
	s_waitcnt lgkmcnt(0)
.LBB45_22:                              ;   Parent Loop BB45_8 Depth=1
                                        ; =>  This Inner Loop Header: Depth=2
	global_load_dword v6, v2, s[2:3] glc
	s_waitcnt vmcnt(0)
	v_cmp_eq_u32_e32 vcc, 0, v6
	s_cbranch_vccnz .LBB45_22
; %bb.23:                               ;   in Loop: Header=BB45_8 Depth=1
	v_mad_u64_u32 v[6:7], s[2:3], s25, 36, v[3:4]
	v_mov_b32_e32 v8, s21
	buffer_wbinvl1_vol
	v_ashrrev_i32_e32 v7, 31, v6
	v_lshlrev_b64 v[6:7], 3, v[6:7]
	v_mov_b32_e32 v9, 0
	v_add_co_u32_e32 v6, vcc, s20, v6
	v_addc_co_u32_e32 v7, vcc, v8, v7, vcc
	global_load_dwordx2 v[6:7], v[6:7], off
	s_cmp_lt_i32 s27, 2
	v_mov_b32_e32 v8, 0
	s_waitcnt vmcnt(0)
	ds_write_b64 v18, v[6:7]
	s_waitcnt lgkmcnt(0)
	s_cbranch_scc1 .LBB45_31
; %bb.24:                               ;   in Loop: Header=BB45_8 Depth=1
	s_add_i32 s24, s27, -1
	v_mov_b32_e32 v23, 0
	s_movk_i32 s25, 0x540
	v_mov_b32_e32 v22, 0
.LBB45_25:                              ;   Parent Loop BB45_8 Depth=1
                                        ; =>  This Inner Loop Header: Depth=2
	s_waitcnt lgkmcnt(0)
	v_mov_b32_e32 v6, s25
	ds_read2_b32 v[6:7], v6 offset1:32
	s_mov_b64 s[2:3], -1
	s_and_b64 vcc, exec, s[4:5]
                                        ; implicit-def: $vgpr9
	s_cbranch_vccz .LBB45_28
; %bb.26:                               ;   in Loop: Header=BB45_25 Depth=2
	s_waitcnt lgkmcnt(0)
	v_add_u32_e32 v8, v6, v0
	v_ashrrev_i32_e32 v9, 31, v8
	v_lshlrev_b64 v[24:25], 3, v[8:9]
	v_add_u32_e32 v26, v7, v1
	v_ashrrev_i32_e32 v27, 31, v26
	v_mov_b32_e32 v9, s21
	v_add_co_u32_e32 v24, vcc, s20, v24
	v_lshlrev_b64 v[27:28], 3, v[26:27]
	v_add_u32_e32 v29, 6, v8
	v_addc_co_u32_e32 v25, vcc, v9, v25, vcc
	v_ashrrev_i32_e32 v30, 31, v29
	v_add_co_u32_e32 v27, vcc, s20, v27
	v_lshlrev_b64 v[29:30], 3, v[29:30]
	v_add_u32_e32 v31, 6, v26
	v_addc_co_u32_e32 v28, vcc, v9, v28, vcc
	v_ashrrev_i32_e32 v32, 31, v31
	v_add_co_u32_e32 v29, vcc, s20, v29
	v_lshlrev_b64 v[31:32], 3, v[31:32]
	v_addc_co_u32_e32 v30, vcc, v9, v30, vcc
	v_add_co_u32_e32 v31, vcc, s20, v31
	v_addc_co_u32_e32 v32, vcc, v9, v32, vcc
	global_load_dwordx2 v[33:34], v[24:25], off
	global_load_dwordx2 v[35:36], v[27:28], off
	global_load_dwordx2 v[37:38], v[29:30], off
	global_load_dwordx2 v[39:40], v[31:32], off
	v_add_u32_e32 v24, 12, v8
	v_ashrrev_i32_e32 v25, 31, v24
	v_lshlrev_b64 v[24:25], 3, v[24:25]
	v_add_u32_e32 v27, 12, v26
	v_ashrrev_i32_e32 v28, 31, v27
	v_add_co_u32_e32 v24, vcc, s20, v24
	v_lshlrev_b64 v[27:28], 3, v[27:28]
	v_add_u32_e32 v29, 18, v8
	v_addc_co_u32_e32 v25, vcc, v9, v25, vcc
	v_ashrrev_i32_e32 v30, 31, v29
	v_add_co_u32_e32 v27, vcc, s20, v27
	v_lshlrev_b64 v[29:30], 3, v[29:30]
	v_add_u32_e32 v31, 18, v26
	v_addc_co_u32_e32 v28, vcc, v9, v28, vcc
	v_ashrrev_i32_e32 v32, 31, v31
	v_add_co_u32_e32 v29, vcc, s20, v29
	v_lshlrev_b64 v[31:32], 3, v[31:32]
	v_addc_co_u32_e32 v30, vcc, v9, v30, vcc
	v_add_co_u32_e32 v31, vcc, s20, v31
	v_addc_co_u32_e32 v32, vcc, v9, v32, vcc
	global_load_dwordx2 v[41:42], v[24:25], off
	global_load_dwordx2 v[43:44], v[27:28], off
	global_load_dwordx2 v[45:46], v[29:30], off
	global_load_dwordx2 v[47:48], v[31:32], off
	v_add_u32_e32 v24, 24, v8
	v_ashrrev_i32_e32 v25, 31, v24
	v_lshlrev_b64 v[24:25], 3, v[24:25]
	v_add_u32_e32 v27, 24, v26
	v_ashrrev_i32_e32 v28, 31, v27
	v_add_co_u32_e32 v24, vcc, s20, v24
	v_lshlrev_b64 v[27:28], 3, v[27:28]
	v_addc_co_u32_e32 v25, vcc, v9, v25, vcc
	v_add_co_u32_e32 v27, vcc, s20, v27
	v_add_u32_e32 v8, 30, v8
	v_addc_co_u32_e32 v28, vcc, v9, v28, vcc
	v_ashrrev_i32_e32 v9, 31, v8
	v_lshlrev_b64 v[8:9], 3, v[8:9]
	global_load_dwordx2 v[29:30], v[24:25], off
	global_load_dwordx2 v[31:32], v[27:28], off
	v_mov_b32_e32 v24, s21
	v_add_co_u32_e32 v8, vcc, s20, v8
	v_addc_co_u32_e32 v9, vcc, v24, v9, vcc
	v_add_u32_e32 v24, 30, v26
	v_ashrrev_i32_e32 v25, 31, v24
	v_lshlrev_b64 v[24:25], 3, v[24:25]
	v_mov_b32_e32 v26, s21
	v_add_co_u32_e32 v24, vcc, s20, v24
	v_addc_co_u32_e32 v25, vcc, v26, v25, vcc
	global_load_dwordx2 v[26:27], v[8:9], off
	global_load_dwordx2 v[49:50], v[24:25], off
	s_waitcnt vmcnt(10)
	v_fma_f32 v8, v33, v35, v22
	v_fma_f32 v9, v34, v35, v23
	v_fmac_f32_e32 v8, v34, v36
	v_fma_f32 v9, v33, -v36, v9
	s_waitcnt vmcnt(8)
	v_fmac_f32_e32 v8, v37, v39
	v_fmac_f32_e32 v9, v38, v39
	v_fmac_f32_e32 v8, v38, v40
	v_fma_f32 v9, v37, -v40, v9
	s_waitcnt vmcnt(6)
	v_fmac_f32_e32 v8, v41, v43
	v_fmac_f32_e32 v9, v42, v43
	;; [unrolled: 5-line block ×5, first 2 shown]
	v_fmac_f32_e32 v8, v27, v50
	v_fma_f32 v9, v26, -v50, v9
	s_cbranch_execz .LBB45_29
.LBB45_27:                              ;   in Loop: Header=BB45_25 Depth=2
	s_add_i32 s24, s24, -1
	s_add_i32 s25, s25, 4
	s_cmp_eq_u32 s24, 0
	s_cbranch_scc0 .LBB45_30
	s_branch .LBB45_31
.LBB45_28:                              ;   in Loop: Header=BB45_25 Depth=2
	s_andn2_b64 vcc, exec, s[2:3]
	s_cbranch_vccnz .LBB45_27
.LBB45_29:                              ;   in Loop: Header=BB45_25 Depth=2
	s_waitcnt lgkmcnt(0)
	v_add_u32_e32 v8, v6, v15
	v_ashrrev_i32_e32 v9, 31, v8
	v_lshlrev_b64 v[8:9], 3, v[8:9]
	v_mov_b32_e32 v6, s21
	v_add_co_u32_e32 v44, vcc, s20, v8
	v_addc_co_u32_e32 v45, vcc, v6, v9, vcc
	v_add_u32_e32 v6, v7, v14
	v_ashrrev_i32_e32 v7, 31, v6
	v_lshlrev_b64 v[6:7], 3, v[6:7]
	v_mov_b32_e32 v8, s21
	v_add_co_u32_e32 v46, vcc, s20, v6
	v_addc_co_u32_e32 v47, vcc, v8, v7, vcc
	global_load_dwordx4 v[6:9], v[46:47], off
	global_load_dwordx4 v[24:27], v[44:45], off
	global_load_dwordx4 v[28:31], v[44:45], off offset:16
	global_load_dwordx4 v[32:35], v[46:47], off offset:16
	;; [unrolled: 1-line block ×4, first 2 shown]
	s_waitcnt vmcnt(4)
	v_fmac_f32_e32 v22, v24, v6
	v_fmac_f32_e32 v23, v25, v6
	v_fmac_f32_e32 v22, v25, v7
	v_fma_f32 v6, v24, -v7, v23
	v_fmac_f32_e32 v22, v26, v8
	v_fmac_f32_e32 v6, v27, v8
	v_fmac_f32_e32 v22, v27, v9
	v_fma_f32 v6, v26, -v9, v6
	s_waitcnt vmcnt(2)
	v_fmac_f32_e32 v22, v28, v32
	v_fmac_f32_e32 v6, v29, v32
	v_fmac_f32_e32 v22, v29, v33
	v_fma_f32 v6, v28, -v33, v6
	v_fmac_f32_e32 v22, v30, v34
	v_fmac_f32_e32 v6, v31, v34
	v_fmac_f32_e32 v22, v31, v35
	v_fma_f32 v6, v30, -v35, v6
	;; [unrolled: 9-line block ×3, first 2 shown]
	v_mov_b32_e32 v8, v22
	s_add_i32 s24, s24, -1
	s_add_i32 s25, s25, 4
	s_cmp_eq_u32 s24, 0
	s_cbranch_scc1 .LBB45_31
.LBB45_30:                              ;   in Loop: Header=BB45_25 Depth=2
	v_mov_b32_e32 v23, v9
	v_mov_b32_e32 v22, v8
	s_branch .LBB45_25
.LBB45_31:                              ;   in Loop: Header=BB45_8 Depth=1
	ds_write_b64 v20, v[8:9]
	s_waitcnt lgkmcnt(0)
	ds_read_b64 v[8:9], v2
	ds_read_b64 v[6:7], v16
	s_waitcnt lgkmcnt(1)
	v_cmp_neq_f32_e32 vcc, 0, v8
	v_cmp_neq_f32_e64 s[2:3], 0, v9
	s_or_b64 vcc, vcc, s[2:3]
	v_cndmask_b32_e32 v8, 1.0, v8, vcc
	s_nor_b64 s[24:25], vcc, s[0:1]
	v_cndmask_b32_e32 v9, 0, v9, vcc
	s_and_saveexec_b64 s[2:3], s[24:25]
	s_cbranch_execz .LBB45_35
; %bb.32:                               ;   in Loop: Header=BB45_8 Depth=1
	v_mbcnt_lo_u32_b32 v8, exec_lo, 0
	v_mbcnt_hi_u32_b32 v8, exec_hi, v8
	v_cmp_eq_u32_e32 vcc, 0, v8
	s_and_saveexec_b64 s[24:25], vcc
	s_cbranch_execz .LBB45_34
; %bb.33:                               ;   in Loop: Header=BB45_8 Depth=1
	v_mov_b32_e32 v8, s23
	global_atomic_smin v2, v8, s[14:15]
.LBB45_34:                              ;   in Loop: Header=BB45_8 Depth=1
	s_or_b64 exec, exec, s[24:25]
	v_mov_b32_e32 v9, 0
	v_mov_b32_e32 v8, 1.0
.LBB45_35:                              ;   in Loop: Header=BB45_8 Depth=1
	s_or_b64 exec, exec, s[2:3]
	v_mul_f32_e32 v24, v9, v9
	v_fmac_f32_e32 v24, v8, v8
	v_div_scale_f32 v22, s[2:3], v24, v24, 1.0
	v_div_scale_f32 v23, vcc, 1.0, v24, 1.0
	v_rcp_f32_e32 v25, v22
	v_fma_f32 v26, -v22, v25, 1.0
	v_fmac_f32_e32 v25, v26, v25
	v_mul_f32_e32 v26, v23, v25
	v_fma_f32 v27, -v22, v26, v23
	v_fmac_f32_e32 v26, v27, v25
	v_fma_f32 v22, -v22, v26, v23
	v_div_fmas_f32 v25, v22, v25, v26
	ds_read_b64 v[22:23], v19
	s_waitcnt lgkmcnt(0)
	v_sub_f32_e32 v6, v6, v22
	v_sub_f32_e32 v7, v7, v23
	v_mul_f32_e32 v22, v9, v7
	v_mul_f32_e64 v9, v9, -v6
	v_fmac_f32_e32 v22, v6, v8
	v_fmac_f32_e32 v9, v7, v8
	v_div_fixup_f32 v7, v25, v24, 1.0
	v_mul_f32_e32 v6, v7, v22
	v_mul_f32_e32 v7, v7, v9
	ds_write_b64 v16, v[6:7]
	s_waitcnt lgkmcnt(0)
	ds_read_b64 v[8:9], v21
	ds_read_b64 v[22:23], v12
	s_waitcnt lgkmcnt(0)
	v_fma_f32 v22, v6, v8, v22
	v_fmac_f32_e32 v23, v7, v8
	v_fmac_f32_e32 v22, v7, v9
	v_fma_f32 v23, v6, -v9, v23
	ds_write_b64 v12, v[22:23]
	s_waitcnt lgkmcnt(0)
	ds_read_b64 v[8:9], v2 offset:64
	ds_read_b64 v[6:7], v16 offset:8
	s_waitcnt lgkmcnt(1)
	v_cmp_neq_f32_e32 vcc, 0, v8
	v_cmp_neq_f32_e64 s[2:3], 0, v9
	s_or_b64 vcc, vcc, s[2:3]
	v_cndmask_b32_e32 v8, 1.0, v8, vcc
	s_nor_b64 s[24:25], vcc, s[0:1]
	v_cndmask_b32_e32 v9, 0, v9, vcc
	s_and_saveexec_b64 s[2:3], s[24:25]
	s_cbranch_execz .LBB45_39
; %bb.36:                               ;   in Loop: Header=BB45_8 Depth=1
	v_mbcnt_lo_u32_b32 v8, exec_lo, 0
	v_mbcnt_hi_u32_b32 v8, exec_hi, v8
	v_cmp_eq_u32_e32 vcc, 0, v8
	s_and_saveexec_b64 s[24:25], vcc
	s_cbranch_execz .LBB45_38
; %bb.37:                               ;   in Loop: Header=BB45_8 Depth=1
	v_mov_b32_e32 v8, s23
	global_atomic_smin v2, v8, s[14:15]
.LBB45_38:                              ;   in Loop: Header=BB45_8 Depth=1
	s_or_b64 exec, exec, s[24:25]
	v_mov_b32_e32 v9, 0
	v_mov_b32_e32 v8, 1.0
.LBB45_39:                              ;   in Loop: Header=BB45_8 Depth=1
	s_or_b64 exec, exec, s[2:3]
	v_mul_f32_e32 v28, v9, v9
	v_fmac_f32_e32 v28, v8, v8
	v_div_scale_f32 v22, s[2:3], v28, v28, 1.0
	v_div_scale_f32 v23, vcc, 1.0, v28, 1.0
	v_rcp_f32_e32 v24, v22
	v_fma_f32 v25, -v22, v24, 1.0
	v_fmac_f32_e32 v24, v25, v24
	v_mul_f32_e32 v25, v23, v24
	v_fma_f32 v26, -v22, v25, v23
	v_fmac_f32_e32 v25, v26, v24
	v_fma_f32 v22, -v22, v25, v23
	v_div_fmas_f32 v29, v22, v24, v25
	ds_read_b64 v[22:23], v2 offset:56
	ds_read_b64 v[24:25], v16
	ds_read_b64 v[26:27], v19 offset:8
	s_waitcnt lgkmcnt(0)
	v_fma_f32 v27, v23, v24, v27
	v_fmac_f32_e32 v26, v22, v24
	v_fma_f32 v22, v22, -v25, v27
	v_fmac_f32_e32 v26, v23, v25
	v_sub_f32_e32 v6, v6, v26
	v_sub_f32_e32 v7, v7, v22
	v_mul_f32_e32 v22, v9, v7
	v_mul_f32_e64 v9, v9, -v6
	v_fmac_f32_e32 v22, v6, v8
	v_fmac_f32_e32 v9, v7, v8
	v_div_fixup_f32 v7, v29, v28, 1.0
	v_mul_f32_e32 v6, v7, v22
	v_mul_f32_e32 v7, v7, v9
	ds_write_b64 v16, v[6:7] offset:8
	s_waitcnt lgkmcnt(0)
	ds_read_b64 v[8:9], v21 offset:8
	ds_read_b64 v[22:23], v12
	s_waitcnt lgkmcnt(0)
	v_fma_f32 v22, v6, v8, v22
	v_fmac_f32_e32 v23, v7, v8
	v_fmac_f32_e32 v22, v7, v9
	v_fma_f32 v23, v6, -v9, v23
	ds_write_b64 v12, v[22:23]
	s_waitcnt lgkmcnt(0)
	ds_read_b64 v[8:9], v2 offset:128
	ds_read_b64 v[6:7], v16 offset:16
	s_waitcnt lgkmcnt(1)
	v_cmp_neq_f32_e32 vcc, 0, v8
	v_cmp_neq_f32_e64 s[2:3], 0, v9
	s_or_b64 vcc, vcc, s[2:3]
	v_cndmask_b32_e32 v8, 1.0, v8, vcc
	s_nor_b64 s[24:25], vcc, s[0:1]
	v_cndmask_b32_e32 v9, 0, v9, vcc
	s_and_saveexec_b64 s[2:3], s[24:25]
	s_cbranch_execz .LBB45_43
; %bb.40:                               ;   in Loop: Header=BB45_8 Depth=1
	v_mbcnt_lo_u32_b32 v8, exec_lo, 0
	v_mbcnt_hi_u32_b32 v8, exec_hi, v8
	v_cmp_eq_u32_e32 vcc, 0, v8
	s_and_saveexec_b64 s[24:25], vcc
	s_cbranch_execz .LBB45_42
; %bb.41:                               ;   in Loop: Header=BB45_8 Depth=1
	v_mov_b32_e32 v8, s23
	global_atomic_smin v2, v8, s[14:15]
.LBB45_42:                              ;   in Loop: Header=BB45_8 Depth=1
	s_or_b64 exec, exec, s[24:25]
	v_mov_b32_e32 v9, 0
	v_mov_b32_e32 v8, 1.0
.LBB45_43:                              ;   in Loop: Header=BB45_8 Depth=1
	s_or_b64 exec, exec, s[2:3]
	v_mul_f32_e32 v32, v9, v9
	v_fmac_f32_e32 v32, v8, v8
	v_div_scale_f32 v33, s[2:3], v32, v32, 1.0
	v_div_scale_f32 v34, vcc, 1.0, v32, 1.0
	ds_read_b128 v[22:25], v2 offset:112
	ds_read2_b64 v[26:29], v16 offset1:1
	ds_read_b64 v[30:31], v19 offset:16
	s_waitcnt lgkmcnt(0)
	v_fma_f32 v31, v23, v26, v31
	v_fmac_f32_e32 v30, v22, v26
	v_fma_f32 v22, v22, -v27, v31
	v_fmac_f32_e32 v30, v23, v27
	v_fmac_f32_e32 v22, v25, v28
	;; [unrolled: 1-line block ×3, first 2 shown]
	v_fma_f32 v22, v24, -v29, v22
	v_rcp_f32_e32 v35, v33
	v_fmac_f32_e32 v30, v25, v29
	v_sub_f32_e32 v6, v6, v30
	v_sub_f32_e32 v7, v7, v22
	v_fma_f32 v36, -v33, v35, 1.0
	v_fmac_f32_e32 v35, v36, v35
	v_mul_f32_e32 v36, v34, v35
	v_fma_f32 v37, -v33, v36, v34
	v_fmac_f32_e32 v36, v37, v35
	v_fma_f32 v33, -v33, v36, v34
	v_div_fmas_f32 v33, v33, v35, v36
	v_mul_f32_e32 v22, v9, v7
	v_mul_f32_e64 v9, v9, -v6
	v_fmac_f32_e32 v22, v6, v8
	v_fmac_f32_e32 v9, v7, v8
	v_div_fixup_f32 v7, v33, v32, 1.0
	v_mul_f32_e32 v6, v7, v22
	v_mul_f32_e32 v7, v7, v9
	ds_write_b64 v16, v[6:7] offset:16
	s_waitcnt lgkmcnt(0)
	ds_read_b64 v[8:9], v21 offset:16
	ds_read_b64 v[22:23], v12
	s_waitcnt lgkmcnt(0)
	v_fma_f32 v22, v6, v8, v22
	v_fmac_f32_e32 v23, v7, v8
	v_fmac_f32_e32 v22, v7, v9
	v_fma_f32 v23, v6, -v9, v23
	ds_write_b64 v12, v[22:23]
	s_waitcnt lgkmcnt(0)
	ds_read_b64 v[8:9], v2 offset:192
	ds_read_b64 v[6:7], v16 offset:24
	s_waitcnt lgkmcnt(1)
	v_cmp_neq_f32_e32 vcc, 0, v8
	v_cmp_neq_f32_e64 s[2:3], 0, v9
	s_or_b64 vcc, vcc, s[2:3]
	v_cndmask_b32_e32 v8, 1.0, v8, vcc
	s_nor_b64 s[24:25], vcc, s[0:1]
	v_cndmask_b32_e32 v9, 0, v9, vcc
	s_and_saveexec_b64 s[2:3], s[24:25]
	s_cbranch_execz .LBB45_47
; %bb.44:                               ;   in Loop: Header=BB45_8 Depth=1
	v_mbcnt_lo_u32_b32 v8, exec_lo, 0
	v_mbcnt_hi_u32_b32 v8, exec_hi, v8
	v_cmp_eq_u32_e32 vcc, 0, v8
	s_and_saveexec_b64 s[24:25], vcc
	s_cbranch_execz .LBB45_46
; %bb.45:                               ;   in Loop: Header=BB45_8 Depth=1
	v_mov_b32_e32 v8, s23
	global_atomic_smin v2, v8, s[14:15]
.LBB45_46:                              ;   in Loop: Header=BB45_8 Depth=1
	s_or_b64 exec, exec, s[24:25]
	v_mov_b32_e32 v9, 0
	v_mov_b32_e32 v8, 1.0
.LBB45_47:                              ;   in Loop: Header=BB45_8 Depth=1
	s_or_b64 exec, exec, s[2:3]
	v_mul_f32_e32 v36, v9, v9
	v_fmac_f32_e32 v36, v8, v8
	v_div_scale_f32 v37, s[2:3], v36, v36, 1.0
	v_div_scale_f32 v38, vcc, 1.0, v36, 1.0
	ds_read2_b64 v[22:25], v2 offset0:21 offset1:22
	ds_read_b64 v[30:31], v19 offset:24
	ds_read2_b64 v[26:29], v16 offset1:1
	ds_read_b64 v[32:33], v16 offset:16
	ds_read_b64 v[34:35], v2 offset:184
	s_waitcnt lgkmcnt(2)
	v_fma_f32 v31, v23, v26, v31
	v_fmac_f32_e32 v30, v22, v26
	v_fma_f32 v22, v22, -v27, v31
	v_fmac_f32_e32 v30, v23, v27
	v_fmac_f32_e32 v22, v25, v28
	;; [unrolled: 1-line block ×3, first 2 shown]
	v_fma_f32 v22, v24, -v29, v22
	v_fmac_f32_e32 v30, v25, v29
	s_waitcnt lgkmcnt(0)
	v_fmac_f32_e32 v22, v35, v32
	v_rcp_f32_e32 v39, v37
	v_fmac_f32_e32 v30, v34, v32
	v_fma_f32 v22, v34, -v33, v22
	v_fmac_f32_e32 v30, v35, v33
	v_fma_f32 v26, -v37, v39, 1.0
	v_fmac_f32_e32 v39, v26, v39
	v_mul_f32_e32 v26, v38, v39
	v_fma_f32 v31, -v37, v26, v38
	v_fmac_f32_e32 v26, v31, v39
	v_fma_f32 v31, -v37, v26, v38
	v_div_fmas_f32 v26, v31, v39, v26
	v_sub_f32_e32 v6, v6, v30
	v_sub_f32_e32 v7, v7, v22
	v_mul_f32_e32 v22, v9, v7
	v_mul_f32_e64 v9, v9, -v6
	v_fmac_f32_e32 v22, v6, v8
	v_fmac_f32_e32 v9, v7, v8
	v_div_fixup_f32 v7, v26, v36, 1.0
	v_mul_f32_e32 v6, v7, v22
	v_mul_f32_e32 v7, v7, v9
	ds_write_b64 v16, v[6:7] offset:24
	s_waitcnt lgkmcnt(0)
	ds_read_b64 v[8:9], v21 offset:24
	ds_read_b64 v[22:23], v12
	s_waitcnt lgkmcnt(0)
	v_fma_f32 v22, v6, v8, v22
	v_fmac_f32_e32 v23, v7, v8
	v_fmac_f32_e32 v22, v7, v9
	v_fma_f32 v23, v6, -v9, v23
	ds_write_b64 v12, v[22:23]
	s_waitcnt lgkmcnt(0)
	ds_read_b64 v[8:9], v2 offset:256
	ds_read_b64 v[6:7], v16 offset:32
	s_waitcnt lgkmcnt(1)
	v_cmp_neq_f32_e32 vcc, 0, v8
	v_cmp_neq_f32_e64 s[2:3], 0, v9
	s_or_b64 vcc, vcc, s[2:3]
	v_cndmask_b32_e32 v8, 1.0, v8, vcc
	s_nor_b64 s[24:25], vcc, s[0:1]
	v_cndmask_b32_e32 v9, 0, v9, vcc
	s_and_saveexec_b64 s[2:3], s[24:25]
	s_cbranch_execz .LBB45_51
; %bb.48:                               ;   in Loop: Header=BB45_8 Depth=1
	v_mbcnt_lo_u32_b32 v8, exec_lo, 0
	v_mbcnt_hi_u32_b32 v8, exec_hi, v8
	v_cmp_eq_u32_e32 vcc, 0, v8
	s_and_saveexec_b64 s[24:25], vcc
	s_cbranch_execz .LBB45_50
; %bb.49:                               ;   in Loop: Header=BB45_8 Depth=1
	v_mov_b32_e32 v8, s23
	global_atomic_smin v2, v8, s[14:15]
.LBB45_50:                              ;   in Loop: Header=BB45_8 Depth=1
	s_or_b64 exec, exec, s[24:25]
	v_mov_b32_e32 v9, 0
	v_mov_b32_e32 v8, 1.0
.LBB45_51:                              ;   in Loop: Header=BB45_8 Depth=1
	s_or_b64 exec, exec, s[2:3]
	v_mul_f32_e32 v40, v9, v9
	v_fmac_f32_e32 v40, v8, v8
	v_div_scale_f32 v41, s[2:3], v40, v40, 1.0
	v_div_scale_f32 v42, vcc, 1.0, v40, 1.0
	ds_read_b128 v[22:25], v2 offset:224
	ds_read_b64 v[38:39], v19 offset:32
	ds_read2_b64 v[26:29], v16 offset1:1
	ds_read2_b64 v[30:33], v16 offset0:2 offset1:3
	ds_read_b128 v[34:37], v2 offset:240
	s_waitcnt lgkmcnt(2)
	v_fmac_f32_e32 v38, v22, v26
	v_fma_f32 v39, v23, v26, v39
	v_fmac_f32_e32 v38, v23, v27
	v_fma_f32 v22, v22, -v27, v39
	v_fmac_f32_e32 v22, v25, v28
	v_fmac_f32_e32 v38, v24, v28
	v_fma_f32 v22, v24, -v29, v22
	v_rcp_f32_e32 v23, v41
	v_fmac_f32_e32 v38, v25, v29
	s_waitcnt lgkmcnt(0)
	v_fmac_f32_e32 v22, v35, v30
	v_fmac_f32_e32 v38, v34, v30
	v_fma_f32 v24, -v41, v23, 1.0
	v_fmac_f32_e32 v23, v24, v23
	v_mul_f32_e32 v24, v42, v23
	v_fma_f32 v26, -v41, v24, v42
	v_fmac_f32_e32 v24, v26, v23
	v_fma_f32 v26, -v41, v24, v42
	v_div_fmas_f32 v23, v26, v23, v24
	v_fma_f32 v22, v34, -v31, v22
	v_fmac_f32_e32 v38, v35, v31
	v_fmac_f32_e32 v22, v37, v32
	;; [unrolled: 1-line block ×3, first 2 shown]
	v_fma_f32 v22, v36, -v33, v22
	v_fmac_f32_e32 v38, v37, v33
	v_sub_f32_e32 v6, v6, v38
	v_sub_f32_e32 v7, v7, v22
	v_mul_f32_e32 v22, v9, v7
	v_mul_f32_e64 v9, v9, -v6
	v_fmac_f32_e32 v22, v6, v8
	v_fmac_f32_e32 v9, v7, v8
	v_div_fixup_f32 v7, v23, v40, 1.0
	v_mul_f32_e32 v6, v7, v22
	v_mul_f32_e32 v7, v7, v9
	ds_write_b64 v16, v[6:7] offset:32
	s_waitcnt lgkmcnt(0)
	ds_read_b64 v[8:9], v21 offset:32
	ds_read_b64 v[22:23], v12
	s_waitcnt lgkmcnt(0)
	v_fma_f32 v22, v6, v8, v22
	v_fmac_f32_e32 v23, v7, v8
	v_fmac_f32_e32 v22, v7, v9
	v_fma_f32 v23, v6, -v9, v23
	ds_write_b64 v12, v[22:23]
	s_waitcnt lgkmcnt(0)
	ds_read_b64 v[8:9], v2 offset:320
	ds_read_b64 v[6:7], v16 offset:40
	s_waitcnt lgkmcnt(1)
	v_cmp_neq_f32_e32 vcc, 0, v8
	v_cmp_neq_f32_e64 s[2:3], 0, v9
	s_or_b64 vcc, vcc, s[2:3]
	v_cndmask_b32_e32 v8, 1.0, v8, vcc
	s_nor_b64 s[24:25], vcc, s[0:1]
	v_cndmask_b32_e32 v9, 0, v9, vcc
	s_and_saveexec_b64 s[2:3], s[24:25]
	s_cbranch_execz .LBB45_7
; %bb.52:                               ;   in Loop: Header=BB45_8 Depth=1
	v_mbcnt_lo_u32_b32 v8, exec_lo, 0
	v_mbcnt_hi_u32_b32 v8, exec_hi, v8
	v_cmp_eq_u32_e32 vcc, 0, v8
	s_and_saveexec_b64 s[24:25], vcc
	s_cbranch_execz .LBB45_6
; %bb.53:                               ;   in Loop: Header=BB45_8 Depth=1
	v_mov_b32_e32 v8, s23
	global_atomic_smin v2, v8, s[14:15]
	s_branch .LBB45_6
.LBB45_54:                              ;   in Loop: Header=BB45_8 Depth=1
                                        ; implicit-def: $sgpr22
	s_cbranch_execz .LBB45_8
.LBB45_55:
	s_cmp_lg_u32 s33, 0
	s_cselect_b64 s[8:9], -1, 0
	s_cmp_eq_u32 s33, 0
	v_mov_b32_e32 v2, v10
	s_cbranch_scc1 .LBB45_57
; %bb.56:
	v_mad_u32_u24 v2, v0, 6, v1
.LBB45_57:
	s_mul_i32 s18, s30, 36
	v_add_u32_e32 v2, s18, v2
	v_ashrrev_i32_e32 v3, 31, v2
	v_lshlrev_b64 v[2:3], 3, v[2:3]
	v_mov_b32_e32 v4, s21
	v_add_co_u32_e32 v2, vcc, s20, v2
	v_addc_co_u32_e32 v3, vcc, v4, v3, vcc
	global_load_dwordx2 v[4:5], v[2:3], off
	v_mov_b32_e32 v2, 0x2a0
	v_mad_u32_u24 v3, v1, 56, v2
	v_cmp_ne_u32_e64 s[2:3], 0, v1
	v_lshl_add_u32 v2, v0, 3, v3
	v_cmp_eq_u32_e32 vcc, 0, v1
	s_waitcnt vmcnt(0)
	ds_write_b64 v2, v[4:5]
	s_waitcnt lgkmcnt(0)
	s_and_saveexec_b64 s[4:5], vcc
	s_cbranch_execz .LBB45_67
; %bb.58:
	v_mov_b32_e32 v6, 0
	ds_read2_b64 v[14:17], v6 offset0:84 offset1:126
	s_waitcnt lgkmcnt(0)
	v_sub_f32_e32 v4, v14, v16
	v_sub_f32_e32 v7, v15, v17
	v_cmp_gt_f32_e32 vcc, 0, v4
	v_cndmask_b32_e64 v4, v4, -v4, vcc
	v_cmp_gt_f32_e32 vcc, 0, v7
	v_cndmask_b32_e64 v5, v7, -v7, vcc
	v_cmp_ngt_f32_e32 vcc, v4, v5
	s_cbranch_vccz .LBB45_64
; %bb.59:
	v_cmp_eq_f32_e32 vcc, 0, v7
	s_cbranch_vccnz .LBB45_61
; %bb.60:
	v_div_scale_f32 v6, s[0:1], v5, v5, v4
	v_div_scale_f32 v7, vcc, v4, v5, v4
	s_mov_b32 s0, 0xf800000
	v_rcp_f32_e32 v8, v6
	v_fma_f32 v9, -v6, v8, 1.0
	v_fmac_f32_e32 v8, v9, v8
	v_mul_f32_e32 v9, v7, v8
	v_fma_f32 v14, -v6, v9, v7
	v_fmac_f32_e32 v9, v14, v8
	v_fma_f32 v6, -v6, v9, v7
	v_div_fmas_f32 v6, v6, v8, v9
	v_mov_b32_e32 v8, 0x260
	v_div_fixup_f32 v6, v6, v5, v4
	v_fma_f32 v6, v6, v6, 1.0
	v_mul_f32_e32 v7, 0x4f800000, v6
	v_cmp_gt_f32_e32 vcc, s0, v6
	v_cndmask_b32_e32 v6, v6, v7, vcc
	v_sqrt_f32_e32 v7, v6
	v_add_u32_e32 v9, -1, v7
	v_add_u32_e32 v14, 1, v7
	v_fma_f32 v15, -v9, v7, v6
	v_fma_f32 v16, -v14, v7, v6
	v_cmp_ge_f32_e64 s[0:1], 0, v15
	v_cndmask_b32_e64 v7, v7, v9, s[0:1]
	v_cmp_lt_f32_e64 s[0:1], 0, v16
	v_cndmask_b32_e64 v7, v7, v14, s[0:1]
	v_mul_f32_e32 v9, 0x37800000, v7
	v_cndmask_b32_e32 v7, v7, v9, vcc
	v_cmp_class_f32_e32 vcc, v6, v8
	v_cndmask_b32_e32 v6, v7, v6, vcc
	v_mul_f32_e32 v6, v5, v6
.LBB45_61:
	s_cbranch_execz .LBB45_65
	s_branch .LBB45_66
.LBB45_62:
	s_cbranch_execnz .LBB45_146
.LBB45_63:
	s_endpgm
.LBB45_64:
                                        ; implicit-def: $vgpr6
.LBB45_65:
	v_div_scale_f32 v6, s[0:1], v4, v4, v5
	v_div_scale_f32 v7, vcc, v5, v4, v5
	s_mov_b32 s0, 0xf800000
	v_rcp_f32_e32 v8, v6
	v_fma_f32 v9, -v6, v8, 1.0
	v_fmac_f32_e32 v8, v9, v8
	v_mul_f32_e32 v9, v7, v8
	v_fma_f32 v14, -v6, v9, v7
	v_fmac_f32_e32 v9, v14, v8
	v_fma_f32 v6, -v6, v9, v7
	v_div_fmas_f32 v6, v6, v8, v9
	v_mov_b32_e32 v7, 0x260
	v_div_fixup_f32 v5, v6, v4, v5
	v_fma_f32 v5, v5, v5, 1.0
	v_mul_f32_e32 v6, 0x4f800000, v5
	v_cmp_gt_f32_e32 vcc, s0, v5
	v_cndmask_b32_e32 v5, v5, v6, vcc
	v_sqrt_f32_e32 v6, v5
	v_add_u32_e32 v8, -1, v6
	v_add_u32_e32 v9, 1, v6
	v_fma_f32 v14, -v8, v6, v5
	v_fma_f32 v15, -v9, v6, v5
	v_cmp_ge_f32_e64 s[0:1], 0, v14
	v_cndmask_b32_e64 v6, v6, v8, s[0:1]
	v_cmp_lt_f32_e64 s[0:1], 0, v15
	v_cndmask_b32_e64 v6, v6, v9, s[0:1]
	v_mul_f32_e32 v8, 0x37800000, v6
	v_cndmask_b32_e32 v6, v6, v8, vcc
	v_cmp_class_f32_e32 vcc, v5, v7
	v_cndmask_b32_e32 v5, v6, v5, vcc
	v_mul_f32_e32 v6, v4, v5
.LBB45_66:
	s_mov_b32 s0, 0xf800000
	v_mul_f32_e32 v4, 0x4f800000, v6
	v_cmp_gt_f32_e32 vcc, s0, v6
	v_cndmask_b32_e32 v4, v6, v4, vcc
	v_sqrt_f32_e32 v5, v4
	v_add_u32_e32 v6, -1, v5
	v_fma_f32 v7, -v6, v5, v4
	v_cmp_ge_f32_e64 s[0:1], 0, v7
	v_add_u32_e32 v7, 1, v5
	v_cndmask_b32_e64 v6, v5, v6, s[0:1]
	v_fma_f32 v5, -v7, v5, v4
	v_cmp_lt_f32_e64 s[0:1], 0, v5
	v_cndmask_b32_e64 v5, v6, v7, s[0:1]
	v_mul_f32_e32 v6, 0x37800000, v5
	v_cndmask_b32_e32 v5, v5, v6, vcc
	v_mov_b32_e32 v6, 0x260
	v_cmp_class_f32_e32 vcc, v4, v6
	v_cndmask_b32_e32 v4, v5, v4, vcc
	v_mov_b32_e32 v5, 0
	ds_write_b64 v5, v[4:5] offset:672
.LBB45_67:
	s_or_b64 exec, exec, s[4:5]
	v_mov_b32_e32 v4, 0
	s_waitcnt lgkmcnt(0)
	ds_read_b64 v[6:7], v4 offset:672
	v_or_b32_e32 v4, v0, v1
	v_cmp_ne_u32_e64 s[0:1], 0, v4
	s_add_i32 s19, s12, s13
	s_waitcnt lgkmcnt(0)
	v_cmp_neq_f32_e32 vcc, 0, v6
	v_cmp_neq_f32_e64 s[4:5], 0, v7
	s_or_b64 vcc, vcc, s[4:5]
	v_cndmask_b32_e32 v6, 1.0, v6, vcc
	s_nor_b64 s[16:17], vcc, s[0:1]
	v_cndmask_b32_e32 v7, 0, v7, vcc
	s_and_saveexec_b64 s[4:5], s[16:17]
	s_cbranch_execz .LBB45_71
; %bb.68:
	v_mbcnt_lo_u32_b32 v5, exec_lo, 0
	v_mbcnt_hi_u32_b32 v5, exec_hi, v5
	v_cmp_eq_u32_e32 vcc, 0, v5
	s_and_saveexec_b64 s[16:17], vcc
	s_cbranch_execz .LBB45_70
; %bb.69:
	v_mov_b32_e32 v5, 0
	v_mov_b32_e32 v6, s19
	global_atomic_smin v5, v6, s[14:15]
.LBB45_70:
	s_or_b64 exec, exec, s[16:17]
	v_mov_b32_e32 v7, 0
	v_mov_b32_e32 v6, 1.0
.LBB45_71:
	s_or_b64 exec, exec, s[4:5]
	v_mov_b32_e32 v5, 0x2a0
	v_mad_u32_u24 v5, v0, 56, v5
	s_and_saveexec_b64 s[4:5], s[2:3]
	s_cbranch_execz .LBB45_73
; %bb.72:
	v_mul_f32_e32 v16, v7, v7
	v_fmac_f32_e32 v16, v6, v6
	v_div_scale_f32 v8, s[2:3], v16, v16, 1.0
	v_div_scale_f32 v9, vcc, 1.0, v16, 1.0
	v_rcp_f32_e32 v14, v8
	v_fma_f32 v15, -v8, v14, 1.0
	v_fmac_f32_e32 v14, v15, v14
	v_mul_f32_e32 v15, v9, v14
	v_fma_f32 v17, -v8, v15, v9
	v_fmac_f32_e32 v15, v17, v14
	v_fma_f32 v8, -v8, v15, v9
	v_div_fmas_f32 v17, v8, v14, v15
	ds_read_b64 v[8:9], v3
	ds_read_b64 v[14:15], v13
	s_waitcnt lgkmcnt(0)
	v_sub_f32_e32 v8, v8, v14
	v_sub_f32_e32 v9, v9, v15
	v_mul_f32_e32 v14, v7, v9
	v_mul_f32_e64 v7, v7, -v8
	v_fmac_f32_e32 v14, v8, v6
	v_fmac_f32_e32 v7, v9, v6
	v_div_fixup_f32 v8, v17, v16, 1.0
	v_mul_f32_e32 v6, v8, v14
	v_mul_f32_e32 v7, v8, v7
	ds_write_b64 v3, v[6:7]
	s_waitcnt lgkmcnt(0)
	ds_read_b64 v[8:9], v5
	ds_read_b64 v[14:15], v12
	s_waitcnt lgkmcnt(0)
	v_fma_f32 v14, v6, v8, v14
	v_fmac_f32_e32 v15, v7, v8
	v_fmac_f32_e32 v14, v7, v9
	v_fma_f32 v15, v6, -v9, v15
	ds_write_b64 v12, v[14:15]
.LBB45_73:
	s_or_b64 exec, exec, s[4:5]
	v_cmp_eq_u32_e32 vcc, 1, v1
	s_waitcnt lgkmcnt(0)
	s_and_saveexec_b64 s[4:5], vcc
	s_cbranch_execz .LBB45_81
; %bb.74:
	v_mov_b32_e32 v8, 0
	ds_read2_b64 v[14:17], v8 offset0:92 offset1:134
	s_waitcnt lgkmcnt(0)
	v_sub_f32_e32 v6, v14, v16
	v_sub_f32_e32 v9, v15, v17
	v_cmp_gt_f32_e32 vcc, 0, v6
	v_cndmask_b32_e64 v6, v6, -v6, vcc
	v_cmp_gt_f32_e32 vcc, 0, v9
	v_cndmask_b32_e64 v7, v9, -v9, vcc
	v_cmp_gt_f32_e32 vcc, v6, v7
	s_cbranch_vccnz .LBB45_78
; %bb.75:
	v_cmp_eq_f32_e32 vcc, 0, v9
	s_cbranch_vccnz .LBB45_77
; %bb.76:
	v_div_scale_f32 v8, s[2:3], v7, v7, v6
	v_div_scale_f32 v9, vcc, v6, v7, v6
	s_mov_b32 s2, 0xf800000
	v_rcp_f32_e32 v14, v8
	v_fma_f32 v15, -v8, v14, 1.0
	v_fmac_f32_e32 v14, v15, v14
	v_mul_f32_e32 v15, v9, v14
	v_fma_f32 v16, -v8, v15, v9
	v_fmac_f32_e32 v15, v16, v14
	v_fma_f32 v8, -v8, v15, v9
	v_div_fmas_f32 v8, v8, v14, v15
	v_mov_b32_e32 v14, 0x260
	v_div_fixup_f32 v8, v8, v7, v6
	v_fma_f32 v8, v8, v8, 1.0
	v_mul_f32_e32 v9, 0x4f800000, v8
	v_cmp_gt_f32_e32 vcc, s2, v8
	v_cndmask_b32_e32 v8, v8, v9, vcc
	v_sqrt_f32_e32 v9, v8
	v_add_u32_e32 v15, -1, v9
	v_add_u32_e32 v16, 1, v9
	v_fma_f32 v17, -v15, v9, v8
	v_fma_f32 v18, -v16, v9, v8
	v_cmp_ge_f32_e64 s[2:3], 0, v17
	v_cndmask_b32_e64 v9, v9, v15, s[2:3]
	v_cmp_lt_f32_e64 s[2:3], 0, v18
	v_cndmask_b32_e64 v9, v9, v16, s[2:3]
	v_mul_f32_e32 v15, 0x37800000, v9
	v_cndmask_b32_e32 v9, v9, v15, vcc
	v_cmp_class_f32_e32 vcc, v8, v14
	v_cndmask_b32_e32 v8, v9, v8, vcc
	v_mul_f32_e32 v8, v7, v8
.LBB45_77:
	s_cbranch_execz .LBB45_79
	s_branch .LBB45_80
.LBB45_78:
                                        ; implicit-def: $vgpr8
.LBB45_79:
	v_div_scale_f32 v8, s[2:3], v6, v6, v7
	v_div_scale_f32 v9, vcc, v7, v6, v7
	s_mov_b32 s2, 0xf800000
	v_rcp_f32_e32 v14, v8
	v_fma_f32 v15, -v8, v14, 1.0
	v_fmac_f32_e32 v14, v15, v14
	v_mul_f32_e32 v15, v9, v14
	v_fma_f32 v16, -v8, v15, v9
	v_fmac_f32_e32 v15, v16, v14
	v_fma_f32 v8, -v8, v15, v9
	v_div_fmas_f32 v8, v8, v14, v15
	v_mov_b32_e32 v9, 0x260
	v_div_fixup_f32 v7, v8, v6, v7
	v_fma_f32 v7, v7, v7, 1.0
	v_mul_f32_e32 v8, 0x4f800000, v7
	v_cmp_gt_f32_e32 vcc, s2, v7
	v_cndmask_b32_e32 v7, v7, v8, vcc
	v_sqrt_f32_e32 v8, v7
	v_add_u32_e32 v14, -1, v8
	v_add_u32_e32 v15, 1, v8
	v_fma_f32 v16, -v14, v8, v7
	v_fma_f32 v17, -v15, v8, v7
	v_cmp_ge_f32_e64 s[2:3], 0, v16
	v_cndmask_b32_e64 v8, v8, v14, s[2:3]
	v_cmp_lt_f32_e64 s[2:3], 0, v17
	v_cndmask_b32_e64 v8, v8, v15, s[2:3]
	v_mul_f32_e32 v14, 0x37800000, v8
	v_cndmask_b32_e32 v8, v8, v14, vcc
	v_cmp_class_f32_e32 vcc, v7, v9
	v_cndmask_b32_e32 v7, v8, v7, vcc
	v_mul_f32_e32 v8, v6, v7
.LBB45_80:
	s_mov_b32 s2, 0xf800000
	v_mul_f32_e32 v6, 0x4f800000, v8
	v_cmp_gt_f32_e32 vcc, s2, v8
	v_cndmask_b32_e32 v6, v8, v6, vcc
	v_sqrt_f32_e32 v7, v6
	v_add_u32_e32 v8, -1, v7
	v_fma_f32 v9, -v8, v7, v6
	v_cmp_ge_f32_e64 s[2:3], 0, v9
	v_add_u32_e32 v9, 1, v7
	v_cndmask_b32_e64 v8, v7, v8, s[2:3]
	v_fma_f32 v7, -v9, v7, v6
	v_cmp_lt_f32_e64 s[2:3], 0, v7
	v_cndmask_b32_e64 v7, v8, v9, s[2:3]
	v_mul_f32_e32 v8, 0x37800000, v7
	v_cndmask_b32_e32 v7, v7, v8, vcc
	v_mov_b32_e32 v8, 0x260
	v_cmp_class_f32_e32 vcc, v6, v8
	v_cndmask_b32_e32 v6, v7, v6, vcc
	v_mov_b32_e32 v7, 0
	ds_write_b64 v7, v[6:7] offset:736
.LBB45_81:
	s_or_b64 exec, exec, s[4:5]
	v_mov_b32_e32 v6, 0
	s_waitcnt lgkmcnt(0)
	ds_read_b64 v[6:7], v6 offset:736
	s_waitcnt lgkmcnt(0)
	v_cmp_neq_f32_e32 vcc, 0, v6
	v_cmp_neq_f32_e64 s[2:3], 0, v7
	s_or_b64 vcc, vcc, s[2:3]
	v_cndmask_b32_e32 v6, 1.0, v6, vcc
	s_nor_b64 s[4:5], vcc, s[0:1]
	v_cndmask_b32_e32 v7, 0, v7, vcc
	s_and_saveexec_b64 s[2:3], s[4:5]
	s_cbranch_execz .LBB45_85
; %bb.82:
	v_mbcnt_lo_u32_b32 v6, exec_lo, 0
	v_mbcnt_hi_u32_b32 v6, exec_hi, v6
	v_cmp_eq_u32_e32 vcc, 0, v6
	s_and_saveexec_b64 s[4:5], vcc
	s_cbranch_execz .LBB45_84
; %bb.83:
	v_mov_b32_e32 v6, 0
	v_mov_b32_e32 v7, s19
	global_atomic_smin v6, v7, s[14:15]
.LBB45_84:
	s_or_b64 exec, exec, s[4:5]
	v_mov_b32_e32 v7, 0
	v_mov_b32_e32 v6, 1.0
.LBB45_85:
	s_or_b64 exec, exec, s[2:3]
	v_cmp_lt_u32_e32 vcc, 1, v1
	s_and_saveexec_b64 s[2:3], vcc
	s_cbranch_execz .LBB45_87
; %bb.86:
	v_mul_f32_e32 v16, v7, v7
	v_fmac_f32_e32 v16, v6, v6
	v_div_scale_f32 v8, s[4:5], v16, v16, 1.0
	v_div_scale_f32 v9, vcc, 1.0, v16, 1.0
	v_rcp_f32_e32 v14, v8
	v_fma_f32 v15, -v8, v14, 1.0
	v_fmac_f32_e32 v14, v15, v14
	v_mul_f32_e32 v15, v9, v14
	v_fma_f32 v17, -v8, v15, v9
	v_fmac_f32_e32 v15, v17, v14
	v_fma_f32 v8, -v8, v15, v9
	v_div_fmas_f32 v17, v8, v14, v15
	ds_read_b64 v[8:9], v3 offset:8
	ds_read_b64 v[14:15], v13 offset:8
	s_waitcnt lgkmcnt(0)
	v_sub_f32_e32 v8, v8, v14
	v_sub_f32_e32 v9, v9, v15
	v_mul_f32_e32 v14, v7, v9
	v_mul_f32_e64 v7, v7, -v8
	v_fmac_f32_e32 v14, v8, v6
	v_fmac_f32_e32 v7, v9, v6
	v_div_fixup_f32 v8, v17, v16, 1.0
	v_mul_f32_e32 v6, v8, v14
	v_mul_f32_e32 v7, v8, v7
	ds_write_b64 v3, v[6:7] offset:8
	s_waitcnt lgkmcnt(0)
	ds_read_b64 v[8:9], v5 offset:8
	ds_read_b64 v[14:15], v12
	s_waitcnt lgkmcnt(0)
	v_fma_f32 v14, v6, v8, v14
	v_fmac_f32_e32 v15, v7, v8
	v_fmac_f32_e32 v14, v7, v9
	v_fma_f32 v15, v6, -v9, v15
	ds_write_b64 v12, v[14:15]
.LBB45_87:
	s_or_b64 exec, exec, s[2:3]
	v_cmp_eq_u32_e32 vcc, 2, v1
	s_waitcnt lgkmcnt(0)
	s_and_saveexec_b64 s[4:5], vcc
	s_cbranch_execz .LBB45_95
; %bb.88:
	v_mov_b32_e32 v8, 0
	ds_read2_b64 v[14:17], v8 offset0:100 offset1:142
	s_waitcnt lgkmcnt(0)
	v_sub_f32_e32 v6, v14, v16
	v_sub_f32_e32 v9, v15, v17
	v_cmp_gt_f32_e32 vcc, 0, v6
	v_cndmask_b32_e64 v6, v6, -v6, vcc
	v_cmp_gt_f32_e32 vcc, 0, v9
	v_cndmask_b32_e64 v7, v9, -v9, vcc
	v_cmp_gt_f32_e32 vcc, v6, v7
	s_cbranch_vccnz .LBB45_92
; %bb.89:
	v_cmp_eq_f32_e32 vcc, 0, v9
	s_cbranch_vccnz .LBB45_91
; %bb.90:
	v_div_scale_f32 v8, s[2:3], v7, v7, v6
	v_div_scale_f32 v9, vcc, v6, v7, v6
	s_mov_b32 s2, 0xf800000
	v_rcp_f32_e32 v14, v8
	v_fma_f32 v15, -v8, v14, 1.0
	v_fmac_f32_e32 v14, v15, v14
	v_mul_f32_e32 v15, v9, v14
	v_fma_f32 v16, -v8, v15, v9
	v_fmac_f32_e32 v15, v16, v14
	v_fma_f32 v8, -v8, v15, v9
	v_div_fmas_f32 v8, v8, v14, v15
	v_mov_b32_e32 v14, 0x260
	v_div_fixup_f32 v8, v8, v7, v6
	v_fma_f32 v8, v8, v8, 1.0
	v_mul_f32_e32 v9, 0x4f800000, v8
	v_cmp_gt_f32_e32 vcc, s2, v8
	v_cndmask_b32_e32 v8, v8, v9, vcc
	v_sqrt_f32_e32 v9, v8
	v_add_u32_e32 v15, -1, v9
	v_add_u32_e32 v16, 1, v9
	v_fma_f32 v17, -v15, v9, v8
	v_fma_f32 v18, -v16, v9, v8
	v_cmp_ge_f32_e64 s[2:3], 0, v17
	v_cndmask_b32_e64 v9, v9, v15, s[2:3]
	v_cmp_lt_f32_e64 s[2:3], 0, v18
	v_cndmask_b32_e64 v9, v9, v16, s[2:3]
	v_mul_f32_e32 v15, 0x37800000, v9
	v_cndmask_b32_e32 v9, v9, v15, vcc
	v_cmp_class_f32_e32 vcc, v8, v14
	v_cndmask_b32_e32 v8, v9, v8, vcc
	v_mul_f32_e32 v8, v7, v8
.LBB45_91:
	s_cbranch_execz .LBB45_93
	s_branch .LBB45_94
.LBB45_92:
                                        ; implicit-def: $vgpr8
.LBB45_93:
	v_div_scale_f32 v8, s[2:3], v6, v6, v7
	v_div_scale_f32 v9, vcc, v7, v6, v7
	s_mov_b32 s2, 0xf800000
	v_rcp_f32_e32 v14, v8
	v_fma_f32 v15, -v8, v14, 1.0
	v_fmac_f32_e32 v14, v15, v14
	v_mul_f32_e32 v15, v9, v14
	v_fma_f32 v16, -v8, v15, v9
	v_fmac_f32_e32 v15, v16, v14
	v_fma_f32 v8, -v8, v15, v9
	v_div_fmas_f32 v8, v8, v14, v15
	v_mov_b32_e32 v9, 0x260
	v_div_fixup_f32 v7, v8, v6, v7
	v_fma_f32 v7, v7, v7, 1.0
	v_mul_f32_e32 v8, 0x4f800000, v7
	v_cmp_gt_f32_e32 vcc, s2, v7
	v_cndmask_b32_e32 v7, v7, v8, vcc
	v_sqrt_f32_e32 v8, v7
	v_add_u32_e32 v14, -1, v8
	v_add_u32_e32 v15, 1, v8
	v_fma_f32 v16, -v14, v8, v7
	v_fma_f32 v17, -v15, v8, v7
	v_cmp_ge_f32_e64 s[2:3], 0, v16
	v_cndmask_b32_e64 v8, v8, v14, s[2:3]
	v_cmp_lt_f32_e64 s[2:3], 0, v17
	v_cndmask_b32_e64 v8, v8, v15, s[2:3]
	v_mul_f32_e32 v14, 0x37800000, v8
	v_cndmask_b32_e32 v8, v8, v14, vcc
	v_cmp_class_f32_e32 vcc, v7, v9
	v_cndmask_b32_e32 v7, v8, v7, vcc
	v_mul_f32_e32 v8, v6, v7
.LBB45_94:
	s_mov_b32 s2, 0xf800000
	v_mul_f32_e32 v6, 0x4f800000, v8
	v_cmp_gt_f32_e32 vcc, s2, v8
	v_cndmask_b32_e32 v6, v8, v6, vcc
	v_sqrt_f32_e32 v7, v6
	v_add_u32_e32 v8, -1, v7
	v_fma_f32 v9, -v8, v7, v6
	v_cmp_ge_f32_e64 s[2:3], 0, v9
	v_add_u32_e32 v9, 1, v7
	v_cndmask_b32_e64 v8, v7, v8, s[2:3]
	v_fma_f32 v7, -v9, v7, v6
	v_cmp_lt_f32_e64 s[2:3], 0, v7
	v_cndmask_b32_e64 v7, v8, v9, s[2:3]
	v_mul_f32_e32 v8, 0x37800000, v7
	v_cndmask_b32_e32 v7, v7, v8, vcc
	v_mov_b32_e32 v8, 0x260
	v_cmp_class_f32_e32 vcc, v6, v8
	v_cndmask_b32_e32 v6, v7, v6, vcc
	v_mov_b32_e32 v7, 0
	ds_write_b64 v7, v[6:7] offset:800
.LBB45_95:
	s_or_b64 exec, exec, s[4:5]
	v_mov_b32_e32 v6, 0
	s_waitcnt lgkmcnt(0)
	ds_read_b64 v[6:7], v6 offset:800
	s_waitcnt lgkmcnt(0)
	v_cmp_neq_f32_e32 vcc, 0, v6
	v_cmp_neq_f32_e64 s[2:3], 0, v7
	s_or_b64 vcc, vcc, s[2:3]
	v_cndmask_b32_e32 v6, 1.0, v6, vcc
	s_nor_b64 s[4:5], vcc, s[0:1]
	v_cndmask_b32_e32 v7, 0, v7, vcc
	s_and_saveexec_b64 s[2:3], s[4:5]
	s_cbranch_execz .LBB45_99
; %bb.96:
	v_mbcnt_lo_u32_b32 v6, exec_lo, 0
	v_mbcnt_hi_u32_b32 v6, exec_hi, v6
	v_cmp_eq_u32_e32 vcc, 0, v6
	s_and_saveexec_b64 s[4:5], vcc
	s_cbranch_execz .LBB45_98
; %bb.97:
	v_mov_b32_e32 v6, 0
	v_mov_b32_e32 v7, s19
	global_atomic_smin v6, v7, s[14:15]
.LBB45_98:
	s_or_b64 exec, exec, s[4:5]
	v_mov_b32_e32 v7, 0
	v_mov_b32_e32 v6, 1.0
.LBB45_99:
	s_or_b64 exec, exec, s[2:3]
	v_cmp_lt_u32_e32 vcc, 2, v1
	s_and_saveexec_b64 s[2:3], vcc
	s_cbranch_execz .LBB45_101
; %bb.100:
	v_mul_f32_e32 v16, v7, v7
	v_fmac_f32_e32 v16, v6, v6
	v_div_scale_f32 v8, s[4:5], v16, v16, 1.0
	v_div_scale_f32 v9, vcc, 1.0, v16, 1.0
	v_rcp_f32_e32 v14, v8
	v_fma_f32 v15, -v8, v14, 1.0
	v_fmac_f32_e32 v14, v15, v14
	v_mul_f32_e32 v15, v9, v14
	v_fma_f32 v17, -v8, v15, v9
	v_fmac_f32_e32 v15, v17, v14
	v_fma_f32 v8, -v8, v15, v9
	v_div_fmas_f32 v17, v8, v14, v15
	ds_read_b64 v[8:9], v3 offset:16
	ds_read_b64 v[14:15], v13 offset:16
	s_waitcnt lgkmcnt(0)
	v_sub_f32_e32 v8, v8, v14
	v_sub_f32_e32 v9, v9, v15
	v_mul_f32_e32 v14, v7, v9
	v_mul_f32_e64 v7, v7, -v8
	v_fmac_f32_e32 v14, v8, v6
	v_fmac_f32_e32 v7, v9, v6
	v_div_fixup_f32 v8, v17, v16, 1.0
	v_mul_f32_e32 v6, v8, v14
	v_mul_f32_e32 v7, v8, v7
	ds_write_b64 v3, v[6:7] offset:16
	s_waitcnt lgkmcnt(0)
	ds_read_b64 v[8:9], v5 offset:16
	ds_read_b64 v[14:15], v12
	s_waitcnt lgkmcnt(0)
	v_fma_f32 v14, v6, v8, v14
	v_fmac_f32_e32 v15, v7, v8
	v_fmac_f32_e32 v14, v7, v9
	v_fma_f32 v15, v6, -v9, v15
	ds_write_b64 v12, v[14:15]
.LBB45_101:
	s_or_b64 exec, exec, s[2:3]
	v_cmp_eq_u32_e32 vcc, 3, v1
	s_waitcnt lgkmcnt(0)
	s_and_saveexec_b64 s[4:5], vcc
	s_cbranch_execz .LBB45_109
; %bb.102:
	v_mov_b32_e32 v8, 0
	ds_read2_b64 v[14:17], v8 offset0:108 offset1:150
	s_waitcnt lgkmcnt(0)
	v_sub_f32_e32 v6, v14, v16
	v_sub_f32_e32 v9, v15, v17
	v_cmp_gt_f32_e32 vcc, 0, v6
	v_cndmask_b32_e64 v6, v6, -v6, vcc
	v_cmp_gt_f32_e32 vcc, 0, v9
	v_cndmask_b32_e64 v7, v9, -v9, vcc
	v_cmp_gt_f32_e32 vcc, v6, v7
	s_cbranch_vccnz .LBB45_106
; %bb.103:
	v_cmp_eq_f32_e32 vcc, 0, v9
	s_cbranch_vccnz .LBB45_105
; %bb.104:
	v_div_scale_f32 v8, s[2:3], v7, v7, v6
	v_div_scale_f32 v9, vcc, v6, v7, v6
	s_mov_b32 s2, 0xf800000
	v_rcp_f32_e32 v14, v8
	v_fma_f32 v15, -v8, v14, 1.0
	v_fmac_f32_e32 v14, v15, v14
	v_mul_f32_e32 v15, v9, v14
	v_fma_f32 v16, -v8, v15, v9
	v_fmac_f32_e32 v15, v16, v14
	v_fma_f32 v8, -v8, v15, v9
	v_div_fmas_f32 v8, v8, v14, v15
	v_mov_b32_e32 v14, 0x260
	v_div_fixup_f32 v8, v8, v7, v6
	v_fma_f32 v8, v8, v8, 1.0
	v_mul_f32_e32 v9, 0x4f800000, v8
	v_cmp_gt_f32_e32 vcc, s2, v8
	v_cndmask_b32_e32 v8, v8, v9, vcc
	v_sqrt_f32_e32 v9, v8
	v_add_u32_e32 v15, -1, v9
	v_add_u32_e32 v16, 1, v9
	v_fma_f32 v17, -v15, v9, v8
	v_fma_f32 v18, -v16, v9, v8
	v_cmp_ge_f32_e64 s[2:3], 0, v17
	v_cndmask_b32_e64 v9, v9, v15, s[2:3]
	v_cmp_lt_f32_e64 s[2:3], 0, v18
	v_cndmask_b32_e64 v9, v9, v16, s[2:3]
	v_mul_f32_e32 v15, 0x37800000, v9
	v_cndmask_b32_e32 v9, v9, v15, vcc
	v_cmp_class_f32_e32 vcc, v8, v14
	v_cndmask_b32_e32 v8, v9, v8, vcc
	v_mul_f32_e32 v8, v7, v8
.LBB45_105:
	s_cbranch_execz .LBB45_107
	s_branch .LBB45_108
.LBB45_106:
                                        ; implicit-def: $vgpr8
.LBB45_107:
	v_div_scale_f32 v8, s[2:3], v6, v6, v7
	v_div_scale_f32 v9, vcc, v7, v6, v7
	s_mov_b32 s2, 0xf800000
	v_rcp_f32_e32 v14, v8
	v_fma_f32 v15, -v8, v14, 1.0
	v_fmac_f32_e32 v14, v15, v14
	v_mul_f32_e32 v15, v9, v14
	v_fma_f32 v16, -v8, v15, v9
	v_fmac_f32_e32 v15, v16, v14
	v_fma_f32 v8, -v8, v15, v9
	v_div_fmas_f32 v8, v8, v14, v15
	v_mov_b32_e32 v9, 0x260
	v_div_fixup_f32 v7, v8, v6, v7
	v_fma_f32 v7, v7, v7, 1.0
	v_mul_f32_e32 v8, 0x4f800000, v7
	v_cmp_gt_f32_e32 vcc, s2, v7
	v_cndmask_b32_e32 v7, v7, v8, vcc
	v_sqrt_f32_e32 v8, v7
	v_add_u32_e32 v14, -1, v8
	v_add_u32_e32 v15, 1, v8
	v_fma_f32 v16, -v14, v8, v7
	v_fma_f32 v17, -v15, v8, v7
	v_cmp_ge_f32_e64 s[2:3], 0, v16
	v_cndmask_b32_e64 v8, v8, v14, s[2:3]
	v_cmp_lt_f32_e64 s[2:3], 0, v17
	v_cndmask_b32_e64 v8, v8, v15, s[2:3]
	v_mul_f32_e32 v14, 0x37800000, v8
	v_cndmask_b32_e32 v8, v8, v14, vcc
	v_cmp_class_f32_e32 vcc, v7, v9
	v_cndmask_b32_e32 v7, v8, v7, vcc
	v_mul_f32_e32 v8, v6, v7
.LBB45_108:
	s_mov_b32 s2, 0xf800000
	v_mul_f32_e32 v6, 0x4f800000, v8
	v_cmp_gt_f32_e32 vcc, s2, v8
	v_cndmask_b32_e32 v6, v8, v6, vcc
	v_sqrt_f32_e32 v7, v6
	v_add_u32_e32 v8, -1, v7
	v_fma_f32 v9, -v8, v7, v6
	v_cmp_ge_f32_e64 s[2:3], 0, v9
	v_add_u32_e32 v9, 1, v7
	v_cndmask_b32_e64 v8, v7, v8, s[2:3]
	v_fma_f32 v7, -v9, v7, v6
	v_cmp_lt_f32_e64 s[2:3], 0, v7
	v_cndmask_b32_e64 v7, v8, v9, s[2:3]
	v_mul_f32_e32 v8, 0x37800000, v7
	v_cndmask_b32_e32 v7, v7, v8, vcc
	v_mov_b32_e32 v8, 0x260
	v_cmp_class_f32_e32 vcc, v6, v8
	v_cndmask_b32_e32 v6, v7, v6, vcc
	v_mov_b32_e32 v7, 0
	ds_write_b64 v7, v[6:7] offset:864
.LBB45_109:
	s_or_b64 exec, exec, s[4:5]
	v_mov_b32_e32 v6, 0
	s_waitcnt lgkmcnt(0)
	ds_read_b64 v[6:7], v6 offset:864
	s_waitcnt lgkmcnt(0)
	v_cmp_neq_f32_e32 vcc, 0, v6
	v_cmp_neq_f32_e64 s[2:3], 0, v7
	s_or_b64 vcc, vcc, s[2:3]
	v_cndmask_b32_e32 v6, 1.0, v6, vcc
	s_nor_b64 s[4:5], vcc, s[0:1]
	v_cndmask_b32_e32 v7, 0, v7, vcc
	s_and_saveexec_b64 s[2:3], s[4:5]
	s_cbranch_execz .LBB45_113
; %bb.110:
	v_mbcnt_lo_u32_b32 v6, exec_lo, 0
	v_mbcnt_hi_u32_b32 v6, exec_hi, v6
	v_cmp_eq_u32_e32 vcc, 0, v6
	s_and_saveexec_b64 s[4:5], vcc
	s_cbranch_execz .LBB45_112
; %bb.111:
	v_mov_b32_e32 v6, 0
	v_mov_b32_e32 v7, s19
	global_atomic_smin v6, v7, s[14:15]
.LBB45_112:
	s_or_b64 exec, exec, s[4:5]
	v_mov_b32_e32 v7, 0
	v_mov_b32_e32 v6, 1.0
.LBB45_113:
	s_or_b64 exec, exec, s[2:3]
	v_cmp_lt_u32_e32 vcc, 3, v1
	s_and_saveexec_b64 s[2:3], vcc
	s_cbranch_execz .LBB45_115
; %bb.114:
	v_mul_f32_e32 v16, v7, v7
	v_fmac_f32_e32 v16, v6, v6
	v_div_scale_f32 v8, s[4:5], v16, v16, 1.0
	v_div_scale_f32 v9, vcc, 1.0, v16, 1.0
	v_rcp_f32_e32 v14, v8
	v_fma_f32 v15, -v8, v14, 1.0
	v_fmac_f32_e32 v14, v15, v14
	v_mul_f32_e32 v15, v9, v14
	v_fma_f32 v17, -v8, v15, v9
	v_fmac_f32_e32 v15, v17, v14
	v_fma_f32 v8, -v8, v15, v9
	v_div_fmas_f32 v17, v8, v14, v15
	ds_read_b64 v[8:9], v3 offset:24
	ds_read_b64 v[14:15], v13 offset:24
	s_waitcnt lgkmcnt(0)
	v_sub_f32_e32 v8, v8, v14
	v_sub_f32_e32 v9, v9, v15
	v_mul_f32_e32 v14, v7, v9
	v_mul_f32_e64 v7, v7, -v8
	v_fmac_f32_e32 v14, v8, v6
	v_fmac_f32_e32 v7, v9, v6
	v_div_fixup_f32 v8, v17, v16, 1.0
	v_mul_f32_e32 v6, v8, v14
	v_mul_f32_e32 v7, v8, v7
	ds_write_b64 v3, v[6:7] offset:24
	s_waitcnt lgkmcnt(0)
	ds_read_b64 v[8:9], v5 offset:24
	ds_read_b64 v[14:15], v12
	s_waitcnt lgkmcnt(0)
	v_fma_f32 v14, v6, v8, v14
	v_fmac_f32_e32 v15, v7, v8
	v_fmac_f32_e32 v14, v7, v9
	v_fma_f32 v15, v6, -v9, v15
	ds_write_b64 v12, v[14:15]
.LBB45_115:
	s_or_b64 exec, exec, s[2:3]
	v_cmp_eq_u32_e32 vcc, 4, v1
	s_waitcnt lgkmcnt(0)
	s_and_saveexec_b64 s[4:5], vcc
	s_cbranch_execz .LBB45_123
; %bb.116:
	v_mov_b32_e32 v8, 0
	ds_read2_b64 v[14:17], v8 offset0:116 offset1:158
	s_waitcnt lgkmcnt(0)
	v_sub_f32_e32 v6, v14, v16
	v_sub_f32_e32 v9, v15, v17
	v_cmp_gt_f32_e32 vcc, 0, v6
	v_cndmask_b32_e64 v6, v6, -v6, vcc
	v_cmp_gt_f32_e32 vcc, 0, v9
	v_cndmask_b32_e64 v7, v9, -v9, vcc
	v_cmp_gt_f32_e32 vcc, v6, v7
	s_cbranch_vccnz .LBB45_120
; %bb.117:
	v_cmp_eq_f32_e32 vcc, 0, v9
	s_cbranch_vccnz .LBB45_119
; %bb.118:
	v_div_scale_f32 v8, s[2:3], v7, v7, v6
	v_div_scale_f32 v9, vcc, v6, v7, v6
	s_mov_b32 s2, 0xf800000
	v_rcp_f32_e32 v14, v8
	v_fma_f32 v15, -v8, v14, 1.0
	v_fmac_f32_e32 v14, v15, v14
	v_mul_f32_e32 v15, v9, v14
	v_fma_f32 v16, -v8, v15, v9
	v_fmac_f32_e32 v15, v16, v14
	v_fma_f32 v8, -v8, v15, v9
	v_div_fmas_f32 v8, v8, v14, v15
	v_mov_b32_e32 v14, 0x260
	v_div_fixup_f32 v8, v8, v7, v6
	v_fma_f32 v8, v8, v8, 1.0
	v_mul_f32_e32 v9, 0x4f800000, v8
	v_cmp_gt_f32_e32 vcc, s2, v8
	v_cndmask_b32_e32 v8, v8, v9, vcc
	v_sqrt_f32_e32 v9, v8
	v_add_u32_e32 v15, -1, v9
	v_add_u32_e32 v16, 1, v9
	v_fma_f32 v17, -v15, v9, v8
	v_fma_f32 v18, -v16, v9, v8
	v_cmp_ge_f32_e64 s[2:3], 0, v17
	v_cndmask_b32_e64 v9, v9, v15, s[2:3]
	v_cmp_lt_f32_e64 s[2:3], 0, v18
	v_cndmask_b32_e64 v9, v9, v16, s[2:3]
	v_mul_f32_e32 v15, 0x37800000, v9
	v_cndmask_b32_e32 v9, v9, v15, vcc
	v_cmp_class_f32_e32 vcc, v8, v14
	v_cndmask_b32_e32 v8, v9, v8, vcc
	v_mul_f32_e32 v8, v7, v8
.LBB45_119:
	s_cbranch_execz .LBB45_121
	s_branch .LBB45_122
.LBB45_120:
                                        ; implicit-def: $vgpr8
.LBB45_121:
	v_div_scale_f32 v8, s[2:3], v6, v6, v7
	v_div_scale_f32 v9, vcc, v7, v6, v7
	s_mov_b32 s2, 0xf800000
	v_rcp_f32_e32 v14, v8
	v_fma_f32 v15, -v8, v14, 1.0
	v_fmac_f32_e32 v14, v15, v14
	v_mul_f32_e32 v15, v9, v14
	v_fma_f32 v16, -v8, v15, v9
	v_fmac_f32_e32 v15, v16, v14
	v_fma_f32 v8, -v8, v15, v9
	v_div_fmas_f32 v8, v8, v14, v15
	v_mov_b32_e32 v9, 0x260
	v_div_fixup_f32 v7, v8, v6, v7
	v_fma_f32 v7, v7, v7, 1.0
	v_mul_f32_e32 v8, 0x4f800000, v7
	v_cmp_gt_f32_e32 vcc, s2, v7
	v_cndmask_b32_e32 v7, v7, v8, vcc
	v_sqrt_f32_e32 v8, v7
	v_add_u32_e32 v14, -1, v8
	v_add_u32_e32 v15, 1, v8
	v_fma_f32 v16, -v14, v8, v7
	v_fma_f32 v17, -v15, v8, v7
	v_cmp_ge_f32_e64 s[2:3], 0, v16
	v_cndmask_b32_e64 v8, v8, v14, s[2:3]
	v_cmp_lt_f32_e64 s[2:3], 0, v17
	v_cndmask_b32_e64 v8, v8, v15, s[2:3]
	v_mul_f32_e32 v14, 0x37800000, v8
	v_cndmask_b32_e32 v8, v8, v14, vcc
	v_cmp_class_f32_e32 vcc, v7, v9
	v_cndmask_b32_e32 v7, v8, v7, vcc
	v_mul_f32_e32 v8, v6, v7
.LBB45_122:
	s_mov_b32 s2, 0xf800000
	v_mul_f32_e32 v6, 0x4f800000, v8
	v_cmp_gt_f32_e32 vcc, s2, v8
	v_cndmask_b32_e32 v6, v8, v6, vcc
	v_sqrt_f32_e32 v7, v6
	v_add_u32_e32 v8, -1, v7
	v_fma_f32 v9, -v8, v7, v6
	v_cmp_ge_f32_e64 s[2:3], 0, v9
	v_add_u32_e32 v9, 1, v7
	v_cndmask_b32_e64 v8, v7, v8, s[2:3]
	v_fma_f32 v7, -v9, v7, v6
	v_cmp_lt_f32_e64 s[2:3], 0, v7
	v_cndmask_b32_e64 v7, v8, v9, s[2:3]
	v_mul_f32_e32 v8, 0x37800000, v7
	v_cndmask_b32_e32 v7, v7, v8, vcc
	v_mov_b32_e32 v8, 0x260
	v_cmp_class_f32_e32 vcc, v6, v8
	v_cndmask_b32_e32 v6, v7, v6, vcc
	v_mov_b32_e32 v7, 0
	ds_write_b64 v7, v[6:7] offset:928
.LBB45_123:
	s_or_b64 exec, exec, s[4:5]
	v_mov_b32_e32 v6, 0
	s_waitcnt lgkmcnt(0)
	ds_read_b64 v[6:7], v6 offset:928
	s_waitcnt lgkmcnt(0)
	v_cmp_neq_f32_e32 vcc, 0, v6
	v_cmp_neq_f32_e64 s[2:3], 0, v7
	s_or_b64 vcc, vcc, s[2:3]
	v_cndmask_b32_e32 v6, 1.0, v6, vcc
	s_nor_b64 s[4:5], vcc, s[0:1]
	v_cndmask_b32_e32 v7, 0, v7, vcc
	s_and_saveexec_b64 s[2:3], s[4:5]
	s_cbranch_execz .LBB45_127
; %bb.124:
	v_mbcnt_lo_u32_b32 v6, exec_lo, 0
	v_mbcnt_hi_u32_b32 v6, exec_hi, v6
	v_cmp_eq_u32_e32 vcc, 0, v6
	s_and_saveexec_b64 s[4:5], vcc
	s_cbranch_execz .LBB45_126
; %bb.125:
	v_mov_b32_e32 v6, 0
	v_mov_b32_e32 v7, s19
	global_atomic_smin v6, v7, s[14:15]
.LBB45_126:
	s_or_b64 exec, exec, s[4:5]
	v_mov_b32_e32 v7, 0
	v_mov_b32_e32 v6, 1.0
.LBB45_127:
	s_or_b64 exec, exec, s[2:3]
	v_cmp_lt_u32_e32 vcc, 4, v1
	s_and_saveexec_b64 s[2:3], vcc
	s_cbranch_execz .LBB45_129
; %bb.128:
	v_mul_f32_e32 v16, v7, v7
	v_fmac_f32_e32 v16, v6, v6
	v_div_scale_f32 v8, s[4:5], v16, v16, 1.0
	v_div_scale_f32 v9, vcc, 1.0, v16, 1.0
	v_rcp_f32_e32 v14, v8
	v_fma_f32 v15, -v8, v14, 1.0
	v_fmac_f32_e32 v14, v15, v14
	v_mul_f32_e32 v15, v9, v14
	v_fma_f32 v17, -v8, v15, v9
	v_fmac_f32_e32 v15, v17, v14
	v_fma_f32 v8, -v8, v15, v9
	v_div_fmas_f32 v17, v8, v14, v15
	ds_read_b64 v[8:9], v3 offset:32
	ds_read_b64 v[14:15], v13 offset:32
	s_waitcnt lgkmcnt(0)
	v_sub_f32_e32 v8, v8, v14
	v_sub_f32_e32 v9, v9, v15
	v_mul_f32_e32 v14, v7, v9
	v_mul_f32_e64 v7, v7, -v8
	v_fmac_f32_e32 v14, v8, v6
	v_fmac_f32_e32 v7, v9, v6
	v_div_fixup_f32 v8, v17, v16, 1.0
	v_mul_f32_e32 v6, v8, v14
	v_mul_f32_e32 v7, v8, v7
	ds_write_b64 v3, v[6:7] offset:32
	s_waitcnt lgkmcnt(0)
	ds_read_b64 v[8:9], v5 offset:32
	ds_read_b64 v[14:15], v12
	s_waitcnt lgkmcnt(0)
	v_fma_f32 v14, v6, v8, v14
	v_fmac_f32_e32 v15, v7, v8
	v_fmac_f32_e32 v14, v7, v9
	v_fma_f32 v15, v6, -v9, v15
	ds_write_b64 v12, v[14:15]
.LBB45_129:
	s_or_b64 exec, exec, s[2:3]
	v_cmp_eq_u32_e32 vcc, 5, v1
	s_waitcnt lgkmcnt(0)
	s_and_saveexec_b64 s[4:5], vcc
	s_cbranch_execz .LBB45_137
; %bb.130:
	v_mov_b32_e32 v8, 0
	ds_read2_b64 v[14:17], v8 offset0:124 offset1:166
	s_waitcnt lgkmcnt(0)
	v_sub_f32_e32 v6, v14, v16
	v_sub_f32_e32 v9, v15, v17
	v_cmp_gt_f32_e32 vcc, 0, v6
	v_cndmask_b32_e64 v6, v6, -v6, vcc
	v_cmp_gt_f32_e32 vcc, 0, v9
	v_cndmask_b32_e64 v7, v9, -v9, vcc
	v_cmp_gt_f32_e32 vcc, v6, v7
	s_cbranch_vccnz .LBB45_134
; %bb.131:
	v_cmp_eq_f32_e32 vcc, 0, v9
	s_cbranch_vccnz .LBB45_133
; %bb.132:
	v_div_scale_f32 v8, s[2:3], v7, v7, v6
	v_div_scale_f32 v9, vcc, v6, v7, v6
	s_mov_b32 s2, 0xf800000
	v_rcp_f32_e32 v14, v8
	v_fma_f32 v15, -v8, v14, 1.0
	v_fmac_f32_e32 v14, v15, v14
	v_mul_f32_e32 v15, v9, v14
	v_fma_f32 v16, -v8, v15, v9
	v_fmac_f32_e32 v15, v16, v14
	v_fma_f32 v8, -v8, v15, v9
	v_div_fmas_f32 v8, v8, v14, v15
	v_mov_b32_e32 v14, 0x260
	v_div_fixup_f32 v8, v8, v7, v6
	v_fma_f32 v8, v8, v8, 1.0
	v_mul_f32_e32 v9, 0x4f800000, v8
	v_cmp_gt_f32_e32 vcc, s2, v8
	v_cndmask_b32_e32 v8, v8, v9, vcc
	v_sqrt_f32_e32 v9, v8
	v_add_u32_e32 v15, -1, v9
	v_add_u32_e32 v16, 1, v9
	v_fma_f32 v17, -v15, v9, v8
	v_fma_f32 v18, -v16, v9, v8
	v_cmp_ge_f32_e64 s[2:3], 0, v17
	v_cndmask_b32_e64 v9, v9, v15, s[2:3]
	v_cmp_lt_f32_e64 s[2:3], 0, v18
	v_cndmask_b32_e64 v9, v9, v16, s[2:3]
	v_mul_f32_e32 v15, 0x37800000, v9
	v_cndmask_b32_e32 v9, v9, v15, vcc
	v_cmp_class_f32_e32 vcc, v8, v14
	v_cndmask_b32_e32 v8, v9, v8, vcc
	v_mul_f32_e32 v8, v7, v8
.LBB45_133:
	s_cbranch_execz .LBB45_135
	s_branch .LBB45_136
.LBB45_134:
                                        ; implicit-def: $vgpr8
.LBB45_135:
	v_div_scale_f32 v8, s[2:3], v6, v6, v7
	v_div_scale_f32 v9, vcc, v7, v6, v7
	s_mov_b32 s2, 0xf800000
	v_rcp_f32_e32 v14, v8
	v_fma_f32 v15, -v8, v14, 1.0
	v_fmac_f32_e32 v14, v15, v14
	v_mul_f32_e32 v15, v9, v14
	v_fma_f32 v16, -v8, v15, v9
	v_fmac_f32_e32 v15, v16, v14
	v_fma_f32 v8, -v8, v15, v9
	v_div_fmas_f32 v8, v8, v14, v15
	v_mov_b32_e32 v9, 0x260
	v_div_fixup_f32 v7, v8, v6, v7
	v_fma_f32 v7, v7, v7, 1.0
	v_mul_f32_e32 v8, 0x4f800000, v7
	v_cmp_gt_f32_e32 vcc, s2, v7
	v_cndmask_b32_e32 v7, v7, v8, vcc
	v_sqrt_f32_e32 v8, v7
	v_add_u32_e32 v14, -1, v8
	v_add_u32_e32 v15, 1, v8
	v_fma_f32 v16, -v14, v8, v7
	v_fma_f32 v17, -v15, v8, v7
	v_cmp_ge_f32_e64 s[2:3], 0, v16
	v_cndmask_b32_e64 v8, v8, v14, s[2:3]
	v_cmp_lt_f32_e64 s[2:3], 0, v17
	v_cndmask_b32_e64 v8, v8, v15, s[2:3]
	v_mul_f32_e32 v14, 0x37800000, v8
	v_cndmask_b32_e32 v8, v8, v14, vcc
	v_cmp_class_f32_e32 vcc, v7, v9
	v_cndmask_b32_e32 v7, v8, v7, vcc
	v_mul_f32_e32 v8, v6, v7
.LBB45_136:
	s_mov_b32 s2, 0xf800000
	v_mul_f32_e32 v6, 0x4f800000, v8
	v_cmp_gt_f32_e32 vcc, s2, v8
	v_cndmask_b32_e32 v6, v8, v6, vcc
	v_sqrt_f32_e32 v7, v6
	v_add_u32_e32 v8, -1, v7
	v_fma_f32 v9, -v8, v7, v6
	v_cmp_ge_f32_e64 s[2:3], 0, v9
	v_add_u32_e32 v9, 1, v7
	v_cndmask_b32_e64 v8, v7, v8, s[2:3]
	v_fma_f32 v7, -v9, v7, v6
	v_cmp_lt_f32_e64 s[2:3], 0, v7
	v_cndmask_b32_e64 v7, v8, v9, s[2:3]
	v_mul_f32_e32 v8, 0x37800000, v7
	v_cndmask_b32_e32 v7, v7, v8, vcc
	v_mov_b32_e32 v8, 0x260
	v_cmp_class_f32_e32 vcc, v6, v8
	v_cndmask_b32_e32 v6, v7, v6, vcc
	v_mov_b32_e32 v7, 0
	ds_write_b64 v7, v[6:7] offset:992
.LBB45_137:
	s_or_b64 exec, exec, s[4:5]
	v_mov_b32_e32 v6, 0
	s_waitcnt lgkmcnt(0)
	ds_read_b64 v[6:7], v6 offset:992
	s_waitcnt lgkmcnt(0)
	v_cmp_neq_f32_e32 vcc, 0, v6
	v_cmp_neq_f32_e64 s[2:3], 0, v7
	s_or_b64 vcc, vcc, s[2:3]
	v_cndmask_b32_e32 v6, 1.0, v6, vcc
	s_nor_b64 s[2:3], vcc, s[0:1]
	v_cndmask_b32_e32 v7, 0, v7, vcc
	s_and_saveexec_b64 s[0:1], s[2:3]
	s_cbranch_execz .LBB45_150
; %bb.138:
	v_mbcnt_lo_u32_b32 v6, exec_lo, 0
	v_mbcnt_hi_u32_b32 v6, exec_hi, v6
	v_cmp_eq_u32_e32 vcc, 0, v6
	s_and_saveexec_b64 s[2:3], vcc
	s_cbranch_execz .LBB45_140
; %bb.139:
	v_mov_b32_e32 v6, 0
	v_mov_b32_e32 v7, s19
	global_atomic_smin v6, v7, s[14:15]
.LBB45_140:
	s_or_b64 exec, exec, s[2:3]
	v_mov_b32_e32 v7, 0
	v_mov_b32_e32 v6, 1.0
	s_or_b64 exec, exec, s[0:1]
	v_cmp_lt_u32_e32 vcc, 5, v1
	s_and_saveexec_b64 s[0:1], vcc
	s_cbranch_execnz .LBB45_151
.LBB45_141:
	s_or_b64 exec, exec, s[0:1]
	s_andn2_b64 vcc, exec, s[8:9]
	s_cbranch_vccnz .LBB45_143
.LBB45_142:
	v_mov_b32_e32 v10, v11
.LBB45_143:
	v_add_u32_e32 v5, s18, v10
	v_ashrrev_i32_e32 v6, 31, v5
	v_lshlrev_b64 v[5:6], 3, v[5:6]
	ds_read_b64 v[2:3], v2
	v_mov_b32_e32 v7, s21
	v_add_co_u32_e32 v5, vcc, s20, v5
	v_addc_co_u32_e32 v6, vcc, v7, v6, vcc
	v_cmp_eq_u32_e32 vcc, 0, v4
	s_waitcnt lgkmcnt(0)
	global_store_dwordx2 v[5:6], v[2:3], off
	s_and_saveexec_b64 s[0:1], vcc
	s_cbranch_execz .LBB45_145
; %bb.144:
	s_add_u32 s2, s10, s6
	s_addc_u32 s3, s11, s7
	v_mov_b32_e32 v2, 0
	v_mov_b32_e32 v3, 1
	s_waitcnt vmcnt(0)
	global_store_dword v2, v3, s[2:3]
.LBB45_145:
	s_or_b64 exec, exec, s[0:1]
	s_branch .LBB45_63
.LBB45_146:
	v_or_b32_e32 v0, v0, v1
	v_cmp_eq_u32_e32 vcc, 0, v0
	s_and_saveexec_b64 s[0:1], vcc
	s_cbranch_execz .LBB45_63
; %bb.147:
	v_mbcnt_lo_u32_b32 v0, exec_lo, 0
	v_mbcnt_hi_u32_b32 v0, exec_hi, v0
	v_cmp_eq_u32_e32 vcc, 0, v0
	s_and_saveexec_b64 s[0:1], vcc
	s_cbranch_execz .LBB45_149
; %bb.148:
	s_add_i32 s2, s12, s13
	v_mov_b32_e32 v0, 0
	v_mov_b32_e32 v1, s2
	global_atomic_smin v0, v1, s[14:15]
.LBB45_149:
	s_or_b64 exec, exec, s[0:1]
	s_add_u32 s0, s10, s6
	s_addc_u32 s1, s11, s7
	v_mov_b32_e32 v0, 0
	v_mov_b32_e32 v1, 1
	s_waitcnt vmcnt(0)
	global_store_dword v0, v1, s[0:1]
	s_endpgm
.LBB45_150:
	s_or_b64 exec, exec, s[0:1]
	v_cmp_lt_u32_e32 vcc, 5, v1
	s_and_saveexec_b64 s[0:1], vcc
	s_cbranch_execz .LBB45_141
.LBB45_151:
	v_mul_f32_e32 v15, v7, v7
	v_fmac_f32_e32 v15, v6, v6
	v_div_scale_f32 v8, s[2:3], v15, v15, 1.0
	v_div_scale_f32 v9, vcc, 1.0, v15, 1.0
	v_rcp_f32_e32 v14, v8
	v_fma_f32 v16, -v8, v14, 1.0
	v_fmac_f32_e32 v14, v16, v14
	v_mul_f32_e32 v16, v9, v14
	v_fma_f32 v17, -v8, v16, v9
	v_fmac_f32_e32 v16, v17, v14
	v_fma_f32 v8, -v8, v16, v9
	v_div_fmas_f32 v16, v8, v14, v16
	ds_read_b64 v[8:9], v3 offset:40
	ds_read_b64 v[13:14], v13 offset:40
	s_waitcnt lgkmcnt(0)
	v_sub_f32_e32 v8, v8, v13
	v_sub_f32_e32 v9, v9, v14
	v_mul_f32_e32 v13, v7, v9
	v_mul_f32_e64 v7, v7, -v8
	v_fmac_f32_e32 v13, v8, v6
	v_fmac_f32_e32 v7, v9, v6
	v_div_fixup_f32 v8, v16, v15, 1.0
	v_mul_f32_e32 v6, v8, v13
	v_mul_f32_e32 v7, v8, v7
	ds_write_b64 v3, v[6:7] offset:40
	s_waitcnt lgkmcnt(0)
	ds_read_b64 v[8:9], v5 offset:40
	ds_read_b64 v[13:14], v12
	s_waitcnt lgkmcnt(0)
	v_fma_f32 v5, v6, v8, v13
	v_fmac_f32_e32 v14, v7, v8
	v_fmac_f32_e32 v5, v7, v9
	v_fma_f32 v6, v6, -v9, v14
	ds_write_b64 v12, v[5:6]
	s_or_b64 exec, exec, s[0:1]
	s_andn2_b64 vcc, exec, s[8:9]
	s_waitcnt lgkmcnt(0)
	s_cbranch_vccz .LBB45_142
	s_branch .LBB45_143
	.section	.rodata,"a",@progbits
	.p2align	6, 0x0
	.amdhsa_kernel _ZN9rocsparseL26bsric0_2_8_unrolled_kernelILi36ELi32ELi6E21rocsparse_complex_numIfEEEv20rocsparse_direction_iiPKiS5_PT2_S5_PiS5_S8_21rocsparse_index_base_
		.amdhsa_group_segment_fixed_size 1728
		.amdhsa_private_segment_fixed_size 0
		.amdhsa_kernarg_size 76
		.amdhsa_user_sgpr_count 6
		.amdhsa_user_sgpr_private_segment_buffer 1
		.amdhsa_user_sgpr_dispatch_ptr 0
		.amdhsa_user_sgpr_queue_ptr 0
		.amdhsa_user_sgpr_kernarg_segment_ptr 1
		.amdhsa_user_sgpr_dispatch_id 0
		.amdhsa_user_sgpr_flat_scratch_init 0
		.amdhsa_user_sgpr_private_segment_size 0
		.amdhsa_uses_dynamic_stack 0
		.amdhsa_system_sgpr_private_segment_wavefront_offset 0
		.amdhsa_system_sgpr_workgroup_id_x 1
		.amdhsa_system_sgpr_workgroup_id_y 0
		.amdhsa_system_sgpr_workgroup_id_z 0
		.amdhsa_system_sgpr_workgroup_info 0
		.amdhsa_system_vgpr_workitem_id 1
		.amdhsa_next_free_vgpr 51
		.amdhsa_next_free_sgpr 40
		.amdhsa_reserve_vcc 1
		.amdhsa_reserve_flat_scratch 0
		.amdhsa_float_round_mode_32 0
		.amdhsa_float_round_mode_16_64 0
		.amdhsa_float_denorm_mode_32 3
		.amdhsa_float_denorm_mode_16_64 3
		.amdhsa_dx10_clamp 1
		.amdhsa_ieee_mode 1
		.amdhsa_fp16_overflow 0
		.amdhsa_exception_fp_ieee_invalid_op 0
		.amdhsa_exception_fp_denorm_src 0
		.amdhsa_exception_fp_ieee_div_zero 0
		.amdhsa_exception_fp_ieee_overflow 0
		.amdhsa_exception_fp_ieee_underflow 0
		.amdhsa_exception_fp_ieee_inexact 0
		.amdhsa_exception_int_div_zero 0
	.end_amdhsa_kernel
	.section	.text._ZN9rocsparseL26bsric0_2_8_unrolled_kernelILi36ELi32ELi6E21rocsparse_complex_numIfEEEv20rocsparse_direction_iiPKiS5_PT2_S5_PiS5_S8_21rocsparse_index_base_,"axG",@progbits,_ZN9rocsparseL26bsric0_2_8_unrolled_kernelILi36ELi32ELi6E21rocsparse_complex_numIfEEEv20rocsparse_direction_iiPKiS5_PT2_S5_PiS5_S8_21rocsparse_index_base_,comdat
.Lfunc_end45:
	.size	_ZN9rocsparseL26bsric0_2_8_unrolled_kernelILi36ELi32ELi6E21rocsparse_complex_numIfEEEv20rocsparse_direction_iiPKiS5_PT2_S5_PiS5_S8_21rocsparse_index_base_, .Lfunc_end45-_ZN9rocsparseL26bsric0_2_8_unrolled_kernelILi36ELi32ELi6E21rocsparse_complex_numIfEEEv20rocsparse_direction_iiPKiS5_PT2_S5_PiS5_S8_21rocsparse_index_base_
                                        ; -- End function
	.set _ZN9rocsparseL26bsric0_2_8_unrolled_kernelILi36ELi32ELi6E21rocsparse_complex_numIfEEEv20rocsparse_direction_iiPKiS5_PT2_S5_PiS5_S8_21rocsparse_index_base_.num_vgpr, 51
	.set _ZN9rocsparseL26bsric0_2_8_unrolled_kernelILi36ELi32ELi6E21rocsparse_complex_numIfEEEv20rocsparse_direction_iiPKiS5_PT2_S5_PiS5_S8_21rocsparse_index_base_.num_agpr, 0
	.set _ZN9rocsparseL26bsric0_2_8_unrolled_kernelILi36ELi32ELi6E21rocsparse_complex_numIfEEEv20rocsparse_direction_iiPKiS5_PT2_S5_PiS5_S8_21rocsparse_index_base_.numbered_sgpr, 40
	.set _ZN9rocsparseL26bsric0_2_8_unrolled_kernelILi36ELi32ELi6E21rocsparse_complex_numIfEEEv20rocsparse_direction_iiPKiS5_PT2_S5_PiS5_S8_21rocsparse_index_base_.num_named_barrier, 0
	.set _ZN9rocsparseL26bsric0_2_8_unrolled_kernelILi36ELi32ELi6E21rocsparse_complex_numIfEEEv20rocsparse_direction_iiPKiS5_PT2_S5_PiS5_S8_21rocsparse_index_base_.private_seg_size, 0
	.set _ZN9rocsparseL26bsric0_2_8_unrolled_kernelILi36ELi32ELi6E21rocsparse_complex_numIfEEEv20rocsparse_direction_iiPKiS5_PT2_S5_PiS5_S8_21rocsparse_index_base_.uses_vcc, 1
	.set _ZN9rocsparseL26bsric0_2_8_unrolled_kernelILi36ELi32ELi6E21rocsparse_complex_numIfEEEv20rocsparse_direction_iiPKiS5_PT2_S5_PiS5_S8_21rocsparse_index_base_.uses_flat_scratch, 0
	.set _ZN9rocsparseL26bsric0_2_8_unrolled_kernelILi36ELi32ELi6E21rocsparse_complex_numIfEEEv20rocsparse_direction_iiPKiS5_PT2_S5_PiS5_S8_21rocsparse_index_base_.has_dyn_sized_stack, 0
	.set _ZN9rocsparseL26bsric0_2_8_unrolled_kernelILi36ELi32ELi6E21rocsparse_complex_numIfEEEv20rocsparse_direction_iiPKiS5_PT2_S5_PiS5_S8_21rocsparse_index_base_.has_recursion, 0
	.set _ZN9rocsparseL26bsric0_2_8_unrolled_kernelILi36ELi32ELi6E21rocsparse_complex_numIfEEEv20rocsparse_direction_iiPKiS5_PT2_S5_PiS5_S8_21rocsparse_index_base_.has_indirect_call, 0
	.section	.AMDGPU.csdata,"",@progbits
; Kernel info:
; codeLenInByte = 10300
; TotalNumSgprs: 44
; NumVgprs: 51
; ScratchSize: 0
; MemoryBound: 0
; FloatMode: 240
; IeeeMode: 1
; LDSByteSize: 1728 bytes/workgroup (compile time only)
; SGPRBlocks: 5
; VGPRBlocks: 12
; NumSGPRsForWavesPerEU: 44
; NumVGPRsForWavesPerEU: 51
; Occupancy: 4
; WaveLimiterHint : 1
; COMPUTE_PGM_RSRC2:SCRATCH_EN: 0
; COMPUTE_PGM_RSRC2:USER_SGPR: 6
; COMPUTE_PGM_RSRC2:TRAP_HANDLER: 0
; COMPUTE_PGM_RSRC2:TGID_X_EN: 1
; COMPUTE_PGM_RSRC2:TGID_Y_EN: 0
; COMPUTE_PGM_RSRC2:TGID_Z_EN: 0
; COMPUTE_PGM_RSRC2:TIDIG_COMP_CNT: 1
	.section	.text._ZN9rocsparseL26bsric0_2_8_unrolled_kernelILi49ELi32ELi7E21rocsparse_complex_numIfEEEv20rocsparse_direction_iiPKiS5_PT2_S5_PiS5_S8_21rocsparse_index_base_,"axG",@progbits,_ZN9rocsparseL26bsric0_2_8_unrolled_kernelILi49ELi32ELi7E21rocsparse_complex_numIfEEEv20rocsparse_direction_iiPKiS5_PT2_S5_PiS5_S8_21rocsparse_index_base_,comdat
	.globl	_ZN9rocsparseL26bsric0_2_8_unrolled_kernelILi49ELi32ELi7E21rocsparse_complex_numIfEEEv20rocsparse_direction_iiPKiS5_PT2_S5_PiS5_S8_21rocsparse_index_base_ ; -- Begin function _ZN9rocsparseL26bsric0_2_8_unrolled_kernelILi49ELi32ELi7E21rocsparse_complex_numIfEEEv20rocsparse_direction_iiPKiS5_PT2_S5_PiS5_S8_21rocsparse_index_base_
	.p2align	8
	.type	_ZN9rocsparseL26bsric0_2_8_unrolled_kernelILi49ELi32ELi7E21rocsparse_complex_numIfEEEv20rocsparse_direction_iiPKiS5_PT2_S5_PiS5_S8_21rocsparse_index_base_,@function
_ZN9rocsparseL26bsric0_2_8_unrolled_kernelILi49ELi32ELi7E21rocsparse_complex_numIfEEEv20rocsparse_direction_iiPKiS5_PT2_S5_PiS5_S8_21rocsparse_index_base_: ; @_ZN9rocsparseL26bsric0_2_8_unrolled_kernelILi49ELi32ELi7E21rocsparse_complex_numIfEEEv20rocsparse_direction_iiPKiS5_PT2_S5_PiS5_S8_21rocsparse_index_base_
; %bb.0:
	s_load_dwordx8 s[8:15], s[4:5], 0x28
	s_mov_b32 s7, 0
	s_lshl_b64 s[0:1], s[6:7], 2
	s_waitcnt lgkmcnt(0)
	s_add_u32 s0, s12, s0
	s_addc_u32 s1, s13, s1
	s_load_dword s12, s[0:1], 0x0
	s_waitcnt lgkmcnt(0)
	s_ashr_i32 s13, s12, 31
	s_lshl_b64 s[6:7], s[12:13], 2
	s_add_u32 s0, s8, s6
	s_addc_u32 s1, s9, s7
	s_load_dword s30, s[0:1], 0x0
	s_load_dword s13, s[4:5], 0x48
	s_waitcnt lgkmcnt(0)
	s_cmp_lg_u32 s30, -1
	s_cbranch_scc0 .LBB46_66
; %bb.1:
	s_load_dwordx4 s[16:19], s[4:5], 0x10
	s_load_dwordx2 s[20:21], s[4:5], 0x20
	v_mad_u32_u24 v10, v1, 7, v0
	s_waitcnt lgkmcnt(0)
	s_add_u32 s0, s16, s6
	s_addc_u32 s1, s17, s7
	s_load_dword s0, s[0:1], 0x0
	s_waitcnt lgkmcnt(0)
	s_sub_i32 s31, s0, s13
	v_add_u32_e32 v2, s31, v10
	v_cmp_ge_i32_e32 vcc, s30, v2
	s_and_saveexec_b64 s[0:1], vcc
	s_cbranch_execz .LBB46_4
; %bb.2:
	v_mov_b32_e32 v3, 0x800
	v_lshl_add_u32 v5, v10, 2, v3
	v_ashrrev_i32_e32 v3, 31, v2
	v_lshlrev_b64 v[3:4], 2, v[2:3]
	v_mov_b32_e32 v6, s19
	v_add_co_u32_e32 v3, vcc, s18, v3
	v_addc_co_u32_e32 v4, vcc, v6, v4, vcc
	s_mov_b64 s[2:3], 0
.LBB46_3:                               ; =>This Inner Loop Header: Depth=1
	global_load_dword v6, v[3:4], off
	v_add_co_u32_e32 v3, vcc, 0xc4, v3
	v_add_u32_e32 v2, 49, v2
	v_addc_co_u32_e32 v4, vcc, 0, v4, vcc
	v_cmp_lt_i32_e32 vcc, s30, v2
	s_or_b64 s[2:3], vcc, s[2:3]
	s_waitcnt vmcnt(0)
	v_subrev_u32_e32 v6, s13, v6
	ds_write_b32 v5, v6
	v_add_u32_e32 v5, 0xc4, v5
	s_andn2_b64 exec, exec, s[2:3]
	s_cbranch_execnz .LBB46_3
.LBB46_4:
	s_or_b64 exec, exec, s[0:1]
	s_load_dword s33, s[4:5], 0x0
	v_mov_b32_e32 v2, 0x540
	v_lshl_add_u32 v13, v1, 6, v2
	v_mov_b32_e32 v2, 0
	v_mul_u32_u24_e32 v14, 7, v1
	v_lshl_add_u32 v12, v0, 3, v13
	v_mov_b32_e32 v3, v2
	s_cmp_ge_i32 s31, s30
	v_mad_u32_u24 v11, v0, 7, v1
	ds_write_b64 v12, v[2:3]
	s_waitcnt lgkmcnt(0)
	s_cbranch_scc1 .LBB46_59
; %bb.5:
	s_cmp_lg_u32 s33, 0
	v_lshlrev_b32_e32 v4, 6, v1
	v_lshlrev_b32_e32 v5, 3, v0
	s_cselect_b64 s[4:5], -1, 0
	s_cmp_eq_u32 s33, 0
	v_add_u32_e32 v16, 0x380, v4
	v_add_u32_e32 v18, v4, v5
	;; [unrolled: 1-line block ×3, first 2 shown]
	v_mov_b32_e32 v4, 0x380
	v_mad_u32_u24 v3, v0, 7, v1
	v_lshl_add_u32 v21, v0, 6, v4
	v_or_b32_e32 v4, v0, v1
	s_cselect_b64 vcc, -1, 0
	v_mul_u32_u24_e32 v15, 7, v0
	v_add_u32_e32 v17, v16, v5
	v_add_u32_e32 v20, v19, v5
	v_cmp_ne_u32_e64 s[0:1], 0, v4
	v_cndmask_b32_e32 v3, v3, v10, vcc
	s_mov_b32 s22, s31
	s_branch .LBB46_8
.LBB46_6:                               ;   in Loop: Header=BB46_8 Depth=1
	s_or_b64 exec, exec, s[24:25]
	v_mov_b32_e32 v9, 0
	v_mov_b32_e32 v8, 1.0
.LBB46_7:                               ;   in Loop: Header=BB46_8 Depth=1
	s_or_b64 exec, exec, s[2:3]
	v_mul_f32_e32 v48, v9, v9
	v_fmac_f32_e32 v48, v8, v8
	v_div_scale_f32 v49, s[2:3], v48, v48, 1.0
	v_div_scale_f32 v50, vcc, 1.0, v48, 1.0
	ds_read_b128 v[22:25], v2 offset:384
	ds_read_b128 v[26:29], v2 offset:400
	ds_read_b128 v[30:33], v16
	ds_read_b128 v[34:37], v16 offset:32
	ds_read_b64 v[46:47], v19 offset:48
	ds_read_b128 v[38:41], v2 offset:416
	ds_read_b128 v[42:45], v16 offset:16
	s_add_i32 s22, s22, 1
	s_cmp_ge_i32 s22, s30
	s_waitcnt lgkmcnt(2)
	v_fma_f32 v47, v23, v30, v47
	v_fmac_f32_e32 v46, v22, v30
	v_fma_f32 v47, v22, -v31, v47
	v_fmac_f32_e32 v46, v23, v31
	v_fmac_f32_e32 v47, v25, v32
	;; [unrolled: 1-line block ×3, first 2 shown]
	v_fma_f32 v47, v24, -v33, v47
	v_rcp_f32_e32 v51, v49
	v_fmac_f32_e32 v46, v25, v33
	s_waitcnt lgkmcnt(0)
	v_fmac_f32_e32 v47, v27, v42
	v_fmac_f32_e32 v46, v26, v42
	v_fma_f32 v52, -v49, v51, 1.0
	v_fmac_f32_e32 v51, v52, v51
	v_mul_f32_e32 v52, v50, v51
	v_fma_f32 v53, -v49, v52, v50
	v_fmac_f32_e32 v52, v53, v51
	v_fma_f32 v49, -v49, v52, v50
	v_div_fmas_f32 v49, v49, v51, v52
	v_fma_f32 v47, v26, -v43, v47
	v_fmac_f32_e32 v46, v27, v43
	v_fmac_f32_e32 v47, v29, v44
	v_fmac_f32_e32 v46, v28, v44
	v_fma_f32 v47, v28, -v45, v47
	v_fmac_f32_e32 v46, v29, v45
	v_fmac_f32_e32 v47, v39, v34
	v_fmac_f32_e32 v46, v38, v34
	;; [unrolled: 4-line block ×3, first 2 shown]
	v_fma_f32 v47, v40, -v37, v47
	v_fmac_f32_e32 v46, v41, v37
	v_sub_f32_e32 v22, v6, v46
	v_sub_f32_e32 v7, v7, v47
	v_mul_f32_e32 v6, v9, v7
	v_mul_f32_e64 v9, v9, -v22
	v_div_fixup_f32 v23, v49, v48, 1.0
	v_fmac_f32_e32 v6, v22, v8
	v_fmac_f32_e32 v9, v7, v8
	v_mul_f32_e32 v6, v23, v6
	v_mul_f32_e32 v7, v23, v9
	ds_write_b64 v16, v[6:7] offset:48
	s_waitcnt lgkmcnt(0)
	ds_read_b64 v[8:9], v21 offset:48
	ds_read_b64 v[22:23], v12
	s_cselect_b64 s[2:3], -1, 0
	s_waitcnt lgkmcnt(0)
	v_fma_f32 v22, v6, v8, v22
	v_fmac_f32_e32 v23, v7, v8
	v_fmac_f32_e32 v22, v7, v9
	v_fma_f32 v23, v6, -v9, v23
	ds_write_b64 v12, v[22:23]
	s_waitcnt lgkmcnt(0)
	ds_read_b64 v[6:7], v17
	s_waitcnt lgkmcnt(0)
	global_store_dwordx2 v[4:5], v[6:7], off
	s_waitcnt vmcnt(0)
	buffer_wbinvl1_vol
	s_and_b64 vcc, exec, s[2:3]
	s_cbranch_vccnz .LBB46_59
.LBB46_8:                               ; =>This Loop Header: Depth=1
                                        ;     Child Loop BB46_11 Depth 2
                                        ;     Child Loop BB46_22 Depth 2
	;; [unrolled: 1-line block ×3, first 2 shown]
	s_ashr_i32 s23, s22, 31
	s_lshl_b64 s[2:3], s[22:23], 2
	s_add_u32 s2, s18, s2
	s_addc_u32 s3, s19, s3
	s_load_dword s23, s[2:3], 0x0
	s_waitcnt lgkmcnt(0)
	s_sub_i32 s24, s23, s13
	s_ashr_i32 s25, s24, 31
	s_lshl_b64 s[2:3], s[24:25], 2
	s_add_u32 s26, s8, s2
	s_addc_u32 s27, s9, s3
	s_load_dword s25, s[26:27], 0x0
	s_waitcnt lgkmcnt(0)
	s_cmp_eq_u32 s25, -1
	s_cbranch_scc1 .LBB46_58
; %bb.9:                                ;   in Loop: Header=BB46_8 Depth=1
	v_mad_u64_u32 v[4:5], s[26:27], s22, 49, v[3:4]
	v_mov_b32_e32 v6, s21
	s_add_u32 s26, s16, s2
	v_ashrrev_i32_e32 v5, 31, v4
	v_lshlrev_b64 v[4:5], 3, v[4:5]
	s_addc_u32 s27, s17, s3
	v_add_co_u32_e32 v4, vcc, s20, v4
	v_addc_co_u32_e32 v5, vcc, v6, v5, vcc
	global_load_dwordx2 v[6:7], v[4:5], off
	s_load_dword s26, s[26:27], 0x0
	ds_read_b32 v8, v2 offset:2048
	s_mov_b32 s27, 0
	s_waitcnt lgkmcnt(0)
	s_sub_i32 s26, s26, s13
	s_cmp_le_i32 s26, s25
	v_cmp_ge_i32_e32 vcc, s24, v8
	s_cselect_b64 s[28:29], -1, 0
	s_and_b64 s[28:29], s[28:29], vcc
	s_andn2_b64 vcc, exec, s[28:29]
	s_waitcnt vmcnt(0)
	ds_write_b64 v17, v[6:7]
	s_cbranch_vccnz .LBB46_21
; %bb.10:                               ;   in Loop: Header=BB46_8 Depth=1
	s_mov_b32 s34, 0
	s_mov_b32 s35, 0
.LBB46_11:                              ;   Parent Loop BB46_8 Depth=1
                                        ; =>  This Inner Loop Header: Depth=2
	s_ashr_i32 s27, s26, 31
	s_lshl_b64 s[28:29], s[26:27], 2
	s_add_u32 s28, s18, s28
	s_addc_u32 s29, s19, s29
	s_load_dword s27, s[28:29], 0x0
	s_lshl_b32 s28, s35, 2
	v_mov_b32_e32 v6, s28
	ds_read_b32 v6, v6 offset:2048
	s_mov_b64 s[28:29], -1
	s_waitcnt lgkmcnt(0)
	s_sub_i32 s39, s27, s13
                                        ; implicit-def: $sgpr27
                                        ; implicit-def: $sgpr38
                                        ; implicit-def: $sgpr37
	v_cmp_ge_i32_e32 vcc, s39, v6
	v_readfirstlane_b32 s36, v6
	s_cbranch_vccz .LBB46_17
; %bb.12:                               ;   in Loop: Header=BB46_11 Depth=2
	s_cmp_le_i32 s39, s36
                                        ; implicit-def: $sgpr27
                                        ; implicit-def: $sgpr38
                                        ; implicit-def: $sgpr37
	s_cbranch_scc0 .LBB46_14
; %bb.13:                               ;   in Loop: Header=BB46_11 Depth=2
	s_add_i32 s27, s35, s31
	s_mul_i32 s27, s27, 49
	s_lshl_b32 s28, s34, 2
	v_mov_b32_e32 v6, s28
	v_mov_b32_e32 v7, s27
	s_mul_i32 s27, s26, 49
	v_mov_b32_e32 v8, s27
	v_add_u32_e32 v6, 0x400, v6
	ds_write2_b32 v6, v8, v7 offset0:192 offset1:224
	s_add_i32 s37, s35, 1
	s_add_i32 s38, s26, 1
	;; [unrolled: 1-line block ×3, first 2 shown]
	s_mov_b64 s[28:29], 0
.LBB46_14:                              ;   in Loop: Header=BB46_11 Depth=2
	s_andn2_b64 vcc, exec, s[28:29]
	s_cbranch_vccnz .LBB46_16
; %bb.15:                               ;   in Loop: Header=BB46_11 Depth=2
	s_add_i32 s37, s35, 1
	s_mov_b32 s27, s34
	s_mov_b32 s38, s26
.LBB46_16:                              ;   in Loop: Header=BB46_11 Depth=2
	s_mov_b64 s[28:29], 0
.LBB46_17:                              ;   in Loop: Header=BB46_11 Depth=2
	s_andn2_b64 vcc, exec, s[28:29]
	s_cbranch_vccnz .LBB46_19
; %bb.18:                               ;   in Loop: Header=BB46_11 Depth=2
	s_add_i32 s38, s26, 1
	s_mov_b32 s37, s35
	s_mov_b32 s27, s34
.LBB46_19:                              ;   in Loop: Header=BB46_11 Depth=2
	s_cmp_le_i32 s38, s25
	s_cselect_b64 s[28:29], -1, 0
	s_cmp_le_i32 s36, s24
	s_cselect_b64 s[34:35], -1, 0
	s_and_b64 s[28:29], s[28:29], s[34:35]
	s_and_b64 vcc, exec, s[28:29]
	s_cbranch_vccz .LBB46_21
; %bb.20:                               ;   in Loop: Header=BB46_11 Depth=2
	s_mov_b32 s34, s27
	s_mov_b32 s26, s38
	;; [unrolled: 1-line block ×3, first 2 shown]
	s_branch .LBB46_11
.LBB46_21:                              ;   in Loop: Header=BB46_8 Depth=1
	s_add_u32 s2, s10, s2
	s_addc_u32 s3, s11, s3
	s_waitcnt lgkmcnt(0)
.LBB46_22:                              ;   Parent Loop BB46_8 Depth=1
                                        ; =>  This Inner Loop Header: Depth=2
	global_load_dword v6, v2, s[2:3] glc
	s_waitcnt vmcnt(0)
	v_cmp_eq_u32_e32 vcc, 0, v6
	s_cbranch_vccnz .LBB46_22
; %bb.23:                               ;   in Loop: Header=BB46_8 Depth=1
	v_mad_u64_u32 v[6:7], s[2:3], s25, 49, v[3:4]
	v_mov_b32_e32 v8, s21
	buffer_wbinvl1_vol
	v_ashrrev_i32_e32 v7, 31, v6
	v_lshlrev_b64 v[6:7], 3, v[6:7]
	v_mov_b32_e32 v9, 0
	v_add_co_u32_e32 v6, vcc, s20, v6
	v_addc_co_u32_e32 v7, vcc, v8, v7, vcc
	global_load_dwordx2 v[6:7], v[6:7], off
	s_cmp_lt_i32 s27, 2
	v_mov_b32_e32 v8, 0
	s_waitcnt vmcnt(0)
	ds_write_b64 v18, v[6:7]
	s_waitcnt lgkmcnt(0)
	s_cbranch_scc1 .LBB46_31
; %bb.24:                               ;   in Loop: Header=BB46_8 Depth=1
	s_add_i32 s24, s27, -1
	v_mov_b32_e32 v23, 0
	s_movk_i32 s25, 0x700
	v_mov_b32_e32 v22, 0
.LBB46_25:                              ;   Parent Loop BB46_8 Depth=1
                                        ; =>  This Inner Loop Header: Depth=2
	s_waitcnt lgkmcnt(0)
	v_mov_b32_e32 v6, s25
	ds_read2_b32 v[6:7], v6 offset1:32
	s_mov_b64 s[2:3], -1
	s_and_b64 vcc, exec, s[4:5]
                                        ; implicit-def: $vgpr9
	s_cbranch_vccz .LBB46_28
; %bb.26:                               ;   in Loop: Header=BB46_25 Depth=2
	s_waitcnt lgkmcnt(0)
	v_add_u32_e32 v8, v6, v0
	v_ashrrev_i32_e32 v9, 31, v8
	v_lshlrev_b64 v[24:25], 3, v[8:9]
	v_add_u32_e32 v26, v7, v1
	v_ashrrev_i32_e32 v27, 31, v26
	v_mov_b32_e32 v9, s21
	v_add_co_u32_e32 v24, vcc, s20, v24
	v_lshlrev_b64 v[27:28], 3, v[26:27]
	v_add_u32_e32 v29, 7, v8
	v_addc_co_u32_e32 v25, vcc, v9, v25, vcc
	v_ashrrev_i32_e32 v30, 31, v29
	v_add_co_u32_e32 v27, vcc, s20, v27
	v_lshlrev_b64 v[29:30], 3, v[29:30]
	v_add_u32_e32 v31, 7, v26
	v_addc_co_u32_e32 v28, vcc, v9, v28, vcc
	v_ashrrev_i32_e32 v32, 31, v31
	v_add_co_u32_e32 v29, vcc, s20, v29
	v_lshlrev_b64 v[31:32], 3, v[31:32]
	v_addc_co_u32_e32 v30, vcc, v9, v30, vcc
	v_add_co_u32_e32 v31, vcc, s20, v31
	v_addc_co_u32_e32 v32, vcc, v9, v32, vcc
	global_load_dwordx2 v[33:34], v[24:25], off
	global_load_dwordx2 v[35:36], v[27:28], off
	;; [unrolled: 1-line block ×4, first 2 shown]
	v_add_u32_e32 v24, 14, v8
	v_ashrrev_i32_e32 v25, 31, v24
	v_lshlrev_b64 v[24:25], 3, v[24:25]
	v_add_u32_e32 v27, 14, v26
	v_ashrrev_i32_e32 v28, 31, v27
	v_add_co_u32_e32 v24, vcc, s20, v24
	v_lshlrev_b64 v[27:28], 3, v[27:28]
	v_add_u32_e32 v29, 21, v8
	v_addc_co_u32_e32 v25, vcc, v9, v25, vcc
	v_ashrrev_i32_e32 v30, 31, v29
	v_add_co_u32_e32 v27, vcc, s20, v27
	v_lshlrev_b64 v[29:30], 3, v[29:30]
	v_add_u32_e32 v31, 21, v26
	v_addc_co_u32_e32 v28, vcc, v9, v28, vcc
	v_ashrrev_i32_e32 v32, 31, v31
	v_add_co_u32_e32 v29, vcc, s20, v29
	v_lshlrev_b64 v[31:32], 3, v[31:32]
	v_addc_co_u32_e32 v30, vcc, v9, v30, vcc
	v_add_co_u32_e32 v31, vcc, s20, v31
	v_addc_co_u32_e32 v32, vcc, v9, v32, vcc
	global_load_dwordx2 v[41:42], v[24:25], off
	global_load_dwordx2 v[43:44], v[27:28], off
	;; [unrolled: 1-line block ×4, first 2 shown]
	v_add_u32_e32 v24, 28, v8
	v_ashrrev_i32_e32 v25, 31, v24
	v_lshlrev_b64 v[24:25], 3, v[24:25]
	v_add_u32_e32 v27, 28, v26
	v_ashrrev_i32_e32 v28, 31, v27
	v_add_co_u32_e32 v24, vcc, s20, v24
	v_lshlrev_b64 v[27:28], 3, v[27:28]
	v_add_u32_e32 v29, 35, v8
	v_addc_co_u32_e32 v25, vcc, v9, v25, vcc
	v_ashrrev_i32_e32 v30, 31, v29
	v_add_co_u32_e32 v27, vcc, s20, v27
	v_lshlrev_b64 v[29:30], 3, v[29:30]
	v_add_u32_e32 v31, 35, v26
	v_addc_co_u32_e32 v28, vcc, v9, v28, vcc
	v_ashrrev_i32_e32 v32, 31, v31
	v_add_co_u32_e32 v29, vcc, s20, v29
	v_lshlrev_b64 v[31:32], 3, v[31:32]
	v_addc_co_u32_e32 v30, vcc, v9, v30, vcc
	v_add_co_u32_e32 v31, vcc, s20, v31
	v_add_u32_e32 v8, 42, v8
	v_addc_co_u32_e32 v32, vcc, v9, v32, vcc
	v_ashrrev_i32_e32 v9, 31, v8
	v_lshlrev_b64 v[8:9], 3, v[8:9]
	global_load_dwordx2 v[49:50], v[24:25], off
	global_load_dwordx2 v[51:52], v[27:28], off
	;; [unrolled: 1-line block ×4, first 2 shown]
	v_mov_b32_e32 v24, s21
	v_add_co_u32_e32 v8, vcc, s20, v8
	v_addc_co_u32_e32 v9, vcc, v24, v9, vcc
	v_add_u32_e32 v24, 42, v26
	v_ashrrev_i32_e32 v25, 31, v24
	v_lshlrev_b64 v[24:25], 3, v[24:25]
	v_mov_b32_e32 v26, s21
	v_add_co_u32_e32 v24, vcc, s20, v24
	v_addc_co_u32_e32 v25, vcc, v26, v25, vcc
	global_load_dwordx2 v[26:27], v[8:9], off
	global_load_dwordx2 v[28:29], v[24:25], off
	s_waitcnt vmcnt(12)
	v_fma_f32 v8, v33, v35, v22
	v_fma_f32 v9, v34, v35, v23
	v_fmac_f32_e32 v8, v34, v36
	v_fma_f32 v9, v33, -v36, v9
	s_waitcnt vmcnt(10)
	v_fmac_f32_e32 v8, v37, v39
	v_fmac_f32_e32 v9, v38, v39
	v_fmac_f32_e32 v8, v38, v40
	v_fma_f32 v9, v37, -v40, v9
	s_waitcnt vmcnt(8)
	v_fmac_f32_e32 v8, v41, v43
	v_fmac_f32_e32 v9, v42, v43
	v_fmac_f32_e32 v8, v42, v44
	v_fma_f32 v9, v41, -v44, v9
	s_waitcnt vmcnt(6)
	v_fmac_f32_e32 v8, v45, v47
	v_fmac_f32_e32 v9, v46, v47
	v_fmac_f32_e32 v8, v46, v48
	v_fma_f32 v9, v45, -v48, v9
	s_waitcnt vmcnt(4)
	v_fmac_f32_e32 v8, v49, v51
	v_fmac_f32_e32 v9, v50, v51
	v_fmac_f32_e32 v8, v50, v52
	v_fma_f32 v9, v49, -v52, v9
	s_waitcnt vmcnt(2)
	v_fmac_f32_e32 v8, v53, v55
	v_fmac_f32_e32 v9, v54, v55
	v_fmac_f32_e32 v8, v54, v56
	v_fma_f32 v9, v53, -v56, v9
	s_waitcnt vmcnt(0)
	v_fmac_f32_e32 v8, v26, v28
	v_fmac_f32_e32 v9, v27, v28
	v_fmac_f32_e32 v8, v27, v29
	v_fma_f32 v9, v26, -v29, v9
	s_cbranch_execz .LBB46_29
.LBB46_27:                              ;   in Loop: Header=BB46_25 Depth=2
	s_add_i32 s24, s24, -1
	s_add_i32 s25, s25, 4
	s_cmp_eq_u32 s24, 0
	s_cbranch_scc0 .LBB46_30
	s_branch .LBB46_31
.LBB46_28:                              ;   in Loop: Header=BB46_25 Depth=2
	s_andn2_b64 vcc, exec, s[2:3]
	s_cbranch_vccnz .LBB46_27
.LBB46_29:                              ;   in Loop: Header=BB46_25 Depth=2
	s_waitcnt lgkmcnt(0)
	v_add_u32_e32 v8, v6, v15
	v_ashrrev_i32_e32 v9, 31, v8
	v_lshlrev_b64 v[8:9], 3, v[8:9]
	v_mov_b32_e32 v6, s21
	v_add_co_u32_e32 v44, vcc, s20, v8
	v_addc_co_u32_e32 v45, vcc, v6, v9, vcc
	v_add_u32_e32 v6, v7, v14
	v_ashrrev_i32_e32 v7, 31, v6
	v_lshlrev_b64 v[6:7], 3, v[6:7]
	v_mov_b32_e32 v8, s21
	v_add_co_u32_e32 v46, vcc, s20, v6
	v_addc_co_u32_e32 v47, vcc, v8, v7, vcc
	global_load_dwordx4 v[6:9], v[46:47], off
	global_load_dwordx4 v[24:27], v[44:45], off
	global_load_dwordx4 v[28:31], v[44:45], off offset:16
	global_load_dwordx4 v[32:35], v[46:47], off offset:16
	;; [unrolled: 1-line block ×4, first 2 shown]
	global_load_dwordx2 v[48:49], v[44:45], off offset:48
	global_load_dwordx2 v[50:51], v[46:47], off offset:48
	s_waitcnt vmcnt(6)
	v_fmac_f32_e32 v22, v24, v6
	v_fmac_f32_e32 v23, v25, v6
	v_fmac_f32_e32 v22, v25, v7
	v_fma_f32 v6, v24, -v7, v23
	v_fmac_f32_e32 v22, v26, v8
	v_fmac_f32_e32 v6, v27, v8
	v_fmac_f32_e32 v22, v27, v9
	v_fma_f32 v6, v26, -v9, v6
	s_waitcnt vmcnt(4)
	v_fmac_f32_e32 v22, v28, v32
	v_fmac_f32_e32 v6, v29, v32
	v_fmac_f32_e32 v22, v29, v33
	v_fma_f32 v6, v28, -v33, v6
	v_fmac_f32_e32 v22, v30, v34
	v_fmac_f32_e32 v6, v31, v34
	v_fmac_f32_e32 v22, v31, v35
	v_fma_f32 v6, v30, -v35, v6
	;; [unrolled: 9-line block ×3, first 2 shown]
	s_waitcnt vmcnt(0)
	v_fmac_f32_e32 v22, v48, v50
	v_fmac_f32_e32 v6, v49, v50
	;; [unrolled: 1-line block ×3, first 2 shown]
	v_fma_f32 v9, v48, -v51, v6
	v_mov_b32_e32 v8, v22
	s_add_i32 s24, s24, -1
	s_add_i32 s25, s25, 4
	s_cmp_eq_u32 s24, 0
	s_cbranch_scc1 .LBB46_31
.LBB46_30:                              ;   in Loop: Header=BB46_25 Depth=2
	v_mov_b32_e32 v23, v9
	v_mov_b32_e32 v22, v8
	s_branch .LBB46_25
.LBB46_31:                              ;   in Loop: Header=BB46_8 Depth=1
	ds_write_b64 v20, v[8:9]
	s_waitcnt lgkmcnt(0)
	ds_read_b64 v[8:9], v2
	ds_read_b64 v[6:7], v16
	s_waitcnt lgkmcnt(1)
	v_cmp_neq_f32_e32 vcc, 0, v8
	v_cmp_neq_f32_e64 s[2:3], 0, v9
	s_or_b64 vcc, vcc, s[2:3]
	v_cndmask_b32_e32 v8, 1.0, v8, vcc
	s_nor_b64 s[24:25], vcc, s[0:1]
	v_cndmask_b32_e32 v9, 0, v9, vcc
	s_and_saveexec_b64 s[2:3], s[24:25]
	s_cbranch_execz .LBB46_35
; %bb.32:                               ;   in Loop: Header=BB46_8 Depth=1
	v_mbcnt_lo_u32_b32 v8, exec_lo, 0
	v_mbcnt_hi_u32_b32 v8, exec_hi, v8
	v_cmp_eq_u32_e32 vcc, 0, v8
	s_and_saveexec_b64 s[24:25], vcc
	s_cbranch_execz .LBB46_34
; %bb.33:                               ;   in Loop: Header=BB46_8 Depth=1
	v_mov_b32_e32 v8, s23
	global_atomic_smin v2, v8, s[14:15]
.LBB46_34:                              ;   in Loop: Header=BB46_8 Depth=1
	s_or_b64 exec, exec, s[24:25]
	v_mov_b32_e32 v9, 0
	v_mov_b32_e32 v8, 1.0
.LBB46_35:                              ;   in Loop: Header=BB46_8 Depth=1
	s_or_b64 exec, exec, s[2:3]
	v_mul_f32_e32 v24, v9, v9
	v_fmac_f32_e32 v24, v8, v8
	v_div_scale_f32 v22, s[2:3], v24, v24, 1.0
	v_div_scale_f32 v23, vcc, 1.0, v24, 1.0
	v_rcp_f32_e32 v25, v22
	v_fma_f32 v26, -v22, v25, 1.0
	v_fmac_f32_e32 v25, v26, v25
	v_mul_f32_e32 v26, v23, v25
	v_fma_f32 v27, -v22, v26, v23
	v_fmac_f32_e32 v26, v27, v25
	v_fma_f32 v22, -v22, v26, v23
	v_div_fmas_f32 v25, v22, v25, v26
	ds_read_b64 v[22:23], v19
	s_waitcnt lgkmcnt(0)
	v_sub_f32_e32 v6, v6, v22
	v_sub_f32_e32 v7, v7, v23
	v_mul_f32_e32 v22, v9, v7
	v_mul_f32_e64 v9, v9, -v6
	v_fmac_f32_e32 v22, v6, v8
	v_fmac_f32_e32 v9, v7, v8
	v_div_fixup_f32 v7, v25, v24, 1.0
	v_mul_f32_e32 v6, v7, v22
	v_mul_f32_e32 v7, v7, v9
	ds_write_b64 v16, v[6:7]
	s_waitcnt lgkmcnt(0)
	ds_read_b64 v[8:9], v21
	ds_read_b64 v[22:23], v12
	s_waitcnt lgkmcnt(0)
	v_fma_f32 v22, v6, v8, v22
	v_fmac_f32_e32 v23, v7, v8
	v_fmac_f32_e32 v22, v7, v9
	v_fma_f32 v23, v6, -v9, v23
	ds_write_b64 v12, v[22:23]
	s_waitcnt lgkmcnt(0)
	ds_read_b64 v[8:9], v2 offset:72
	ds_read_b64 v[6:7], v16 offset:8
	s_waitcnt lgkmcnt(1)
	v_cmp_neq_f32_e32 vcc, 0, v8
	v_cmp_neq_f32_e64 s[2:3], 0, v9
	s_or_b64 vcc, vcc, s[2:3]
	v_cndmask_b32_e32 v8, 1.0, v8, vcc
	s_nor_b64 s[24:25], vcc, s[0:1]
	v_cndmask_b32_e32 v9, 0, v9, vcc
	s_and_saveexec_b64 s[2:3], s[24:25]
	s_cbranch_execz .LBB46_39
; %bb.36:                               ;   in Loop: Header=BB46_8 Depth=1
	v_mbcnt_lo_u32_b32 v8, exec_lo, 0
	v_mbcnt_hi_u32_b32 v8, exec_hi, v8
	v_cmp_eq_u32_e32 vcc, 0, v8
	s_and_saveexec_b64 s[24:25], vcc
	s_cbranch_execz .LBB46_38
; %bb.37:                               ;   in Loop: Header=BB46_8 Depth=1
	v_mov_b32_e32 v8, s23
	global_atomic_smin v2, v8, s[14:15]
.LBB46_38:                              ;   in Loop: Header=BB46_8 Depth=1
	s_or_b64 exec, exec, s[24:25]
	v_mov_b32_e32 v9, 0
	v_mov_b32_e32 v8, 1.0
.LBB46_39:                              ;   in Loop: Header=BB46_8 Depth=1
	s_or_b64 exec, exec, s[2:3]
	v_mul_f32_e32 v28, v9, v9
	v_fmac_f32_e32 v28, v8, v8
	v_div_scale_f32 v22, s[2:3], v28, v28, 1.0
	v_div_scale_f32 v23, vcc, 1.0, v28, 1.0
	v_rcp_f32_e32 v24, v22
	v_fma_f32 v25, -v22, v24, 1.0
	v_fmac_f32_e32 v24, v25, v24
	v_mul_f32_e32 v25, v23, v24
	v_fma_f32 v26, -v22, v25, v23
	v_fmac_f32_e32 v25, v26, v24
	v_fma_f32 v22, -v22, v25, v23
	v_div_fmas_f32 v29, v22, v24, v25
	ds_read_b64 v[22:23], v2 offset:64
	ds_read_b64 v[24:25], v16
	ds_read_b64 v[26:27], v19 offset:8
	s_waitcnt lgkmcnt(0)
	v_fma_f32 v27, v23, v24, v27
	v_fmac_f32_e32 v26, v22, v24
	v_fma_f32 v22, v22, -v25, v27
	v_fmac_f32_e32 v26, v23, v25
	v_sub_f32_e32 v6, v6, v26
	v_sub_f32_e32 v7, v7, v22
	v_mul_f32_e32 v22, v9, v7
	v_mul_f32_e64 v9, v9, -v6
	v_fmac_f32_e32 v22, v6, v8
	v_fmac_f32_e32 v9, v7, v8
	v_div_fixup_f32 v7, v29, v28, 1.0
	v_mul_f32_e32 v6, v7, v22
	v_mul_f32_e32 v7, v7, v9
	ds_write_b64 v16, v[6:7] offset:8
	s_waitcnt lgkmcnt(0)
	ds_read_b64 v[8:9], v21 offset:8
	ds_read_b64 v[22:23], v12
	s_waitcnt lgkmcnt(0)
	v_fma_f32 v22, v6, v8, v22
	v_fmac_f32_e32 v23, v7, v8
	v_fmac_f32_e32 v22, v7, v9
	v_fma_f32 v23, v6, -v9, v23
	ds_write_b64 v12, v[22:23]
	s_waitcnt lgkmcnt(0)
	ds_read_b64 v[8:9], v2 offset:144
	ds_read_b64 v[6:7], v16 offset:16
	s_waitcnt lgkmcnt(1)
	v_cmp_neq_f32_e32 vcc, 0, v8
	v_cmp_neq_f32_e64 s[2:3], 0, v9
	s_or_b64 vcc, vcc, s[2:3]
	v_cndmask_b32_e32 v8, 1.0, v8, vcc
	s_nor_b64 s[24:25], vcc, s[0:1]
	v_cndmask_b32_e32 v9, 0, v9, vcc
	s_and_saveexec_b64 s[2:3], s[24:25]
	s_cbranch_execz .LBB46_43
; %bb.40:                               ;   in Loop: Header=BB46_8 Depth=1
	v_mbcnt_lo_u32_b32 v8, exec_lo, 0
	v_mbcnt_hi_u32_b32 v8, exec_hi, v8
	v_cmp_eq_u32_e32 vcc, 0, v8
	s_and_saveexec_b64 s[24:25], vcc
	s_cbranch_execz .LBB46_42
; %bb.41:                               ;   in Loop: Header=BB46_8 Depth=1
	v_mov_b32_e32 v8, s23
	global_atomic_smin v2, v8, s[14:15]
.LBB46_42:                              ;   in Loop: Header=BB46_8 Depth=1
	s_or_b64 exec, exec, s[24:25]
	v_mov_b32_e32 v9, 0
	v_mov_b32_e32 v8, 1.0
.LBB46_43:                              ;   in Loop: Header=BB46_8 Depth=1
	s_or_b64 exec, exec, s[2:3]
	v_mul_f32_e32 v32, v9, v9
	v_fmac_f32_e32 v32, v8, v8
	v_div_scale_f32 v33, s[2:3], v32, v32, 1.0
	v_div_scale_f32 v34, vcc, 1.0, v32, 1.0
	ds_read_b128 v[22:25], v2 offset:128
	ds_read_b128 v[26:29], v16
	ds_read_b64 v[30:31], v19 offset:16
	s_waitcnt lgkmcnt(0)
	v_fma_f32 v31, v23, v26, v31
	v_fmac_f32_e32 v30, v22, v26
	v_fma_f32 v22, v22, -v27, v31
	v_fmac_f32_e32 v30, v23, v27
	v_fmac_f32_e32 v22, v25, v28
	;; [unrolled: 1-line block ×3, first 2 shown]
	v_fma_f32 v22, v24, -v29, v22
	v_rcp_f32_e32 v35, v33
	v_fmac_f32_e32 v30, v25, v29
	v_sub_f32_e32 v6, v6, v30
	v_sub_f32_e32 v7, v7, v22
	v_fma_f32 v36, -v33, v35, 1.0
	v_fmac_f32_e32 v35, v36, v35
	v_mul_f32_e32 v36, v34, v35
	v_fma_f32 v37, -v33, v36, v34
	v_fmac_f32_e32 v36, v37, v35
	v_fma_f32 v33, -v33, v36, v34
	v_div_fmas_f32 v33, v33, v35, v36
	v_mul_f32_e32 v22, v9, v7
	v_mul_f32_e64 v9, v9, -v6
	v_fmac_f32_e32 v22, v6, v8
	v_fmac_f32_e32 v9, v7, v8
	v_div_fixup_f32 v7, v33, v32, 1.0
	v_mul_f32_e32 v6, v7, v22
	v_mul_f32_e32 v7, v7, v9
	ds_write_b64 v16, v[6:7] offset:16
	s_waitcnt lgkmcnt(0)
	ds_read_b64 v[8:9], v21 offset:16
	ds_read_b64 v[22:23], v12
	s_waitcnt lgkmcnt(0)
	v_fma_f32 v22, v6, v8, v22
	v_fmac_f32_e32 v23, v7, v8
	v_fmac_f32_e32 v22, v7, v9
	v_fma_f32 v23, v6, -v9, v23
	ds_write_b64 v12, v[22:23]
	s_waitcnt lgkmcnt(0)
	ds_read_b64 v[8:9], v2 offset:216
	ds_read_b64 v[6:7], v16 offset:24
	s_waitcnt lgkmcnt(1)
	v_cmp_neq_f32_e32 vcc, 0, v8
	v_cmp_neq_f32_e64 s[2:3], 0, v9
	s_or_b64 vcc, vcc, s[2:3]
	v_cndmask_b32_e32 v8, 1.0, v8, vcc
	s_nor_b64 s[24:25], vcc, s[0:1]
	v_cndmask_b32_e32 v9, 0, v9, vcc
	s_and_saveexec_b64 s[2:3], s[24:25]
	s_cbranch_execz .LBB46_47
; %bb.44:                               ;   in Loop: Header=BB46_8 Depth=1
	v_mbcnt_lo_u32_b32 v8, exec_lo, 0
	v_mbcnt_hi_u32_b32 v8, exec_hi, v8
	v_cmp_eq_u32_e32 vcc, 0, v8
	s_and_saveexec_b64 s[24:25], vcc
	s_cbranch_execz .LBB46_46
; %bb.45:                               ;   in Loop: Header=BB46_8 Depth=1
	v_mov_b32_e32 v8, s23
	global_atomic_smin v2, v8, s[14:15]
.LBB46_46:                              ;   in Loop: Header=BB46_8 Depth=1
	s_or_b64 exec, exec, s[24:25]
	v_mov_b32_e32 v9, 0
	v_mov_b32_e32 v8, 1.0
.LBB46_47:                              ;   in Loop: Header=BB46_8 Depth=1
	s_or_b64 exec, exec, s[2:3]
	v_mul_f32_e32 v36, v9, v9
	v_fmac_f32_e32 v36, v8, v8
	v_div_scale_f32 v37, s[2:3], v36, v36, 1.0
	v_div_scale_f32 v38, vcc, 1.0, v36, 1.0
	ds_read_b128 v[22:25], v16
	ds_read_b128 v[26:29], v2 offset:192
	ds_read_b64 v[30:31], v19 offset:24
	ds_read_b64 v[32:33], v2 offset:208
	;; [unrolled: 1-line block ×3, first 2 shown]
	s_waitcnt lgkmcnt(2)
	v_fma_f32 v31, v27, v22, v31
	v_fmac_f32_e32 v30, v26, v22
	v_fma_f32 v22, v26, -v23, v31
	v_fmac_f32_e32 v30, v27, v23
	v_fmac_f32_e32 v22, v29, v24
	;; [unrolled: 1-line block ×3, first 2 shown]
	v_fma_f32 v22, v28, -v25, v22
	v_fmac_f32_e32 v30, v29, v25
	s_waitcnt lgkmcnt(0)
	v_fmac_f32_e32 v22, v33, v34
	v_rcp_f32_e32 v39, v37
	v_fmac_f32_e32 v30, v32, v34
	v_fma_f32 v22, v32, -v35, v22
	v_fmac_f32_e32 v30, v33, v35
	v_fma_f32 v26, -v37, v39, 1.0
	v_fmac_f32_e32 v39, v26, v39
	v_mul_f32_e32 v26, v38, v39
	v_fma_f32 v31, -v37, v26, v38
	v_fmac_f32_e32 v26, v31, v39
	v_fma_f32 v31, -v37, v26, v38
	v_div_fmas_f32 v26, v31, v39, v26
	v_sub_f32_e32 v6, v6, v30
	v_sub_f32_e32 v7, v7, v22
	v_mul_f32_e32 v22, v9, v7
	v_mul_f32_e64 v9, v9, -v6
	v_fmac_f32_e32 v22, v6, v8
	v_fmac_f32_e32 v9, v7, v8
	v_div_fixup_f32 v7, v26, v36, 1.0
	v_mul_f32_e32 v6, v7, v22
	v_mul_f32_e32 v7, v7, v9
	ds_write_b64 v16, v[6:7] offset:24
	s_waitcnt lgkmcnt(0)
	ds_read_b64 v[8:9], v21 offset:24
	ds_read_b64 v[22:23], v12
	s_waitcnt lgkmcnt(0)
	v_fma_f32 v22, v6, v8, v22
	v_fmac_f32_e32 v23, v7, v8
	v_fmac_f32_e32 v22, v7, v9
	v_fma_f32 v23, v6, -v9, v23
	ds_write_b64 v12, v[22:23]
	s_waitcnt lgkmcnt(0)
	ds_read_b64 v[8:9], v2 offset:288
	ds_read_b64 v[6:7], v16 offset:32
	s_waitcnt lgkmcnt(1)
	v_cmp_neq_f32_e32 vcc, 0, v8
	v_cmp_neq_f32_e64 s[2:3], 0, v9
	s_or_b64 vcc, vcc, s[2:3]
	v_cndmask_b32_e32 v8, 1.0, v8, vcc
	s_nor_b64 s[24:25], vcc, s[0:1]
	v_cndmask_b32_e32 v9, 0, v9, vcc
	s_and_saveexec_b64 s[2:3], s[24:25]
	s_cbranch_execz .LBB46_51
; %bb.48:                               ;   in Loop: Header=BB46_8 Depth=1
	v_mbcnt_lo_u32_b32 v8, exec_lo, 0
	v_mbcnt_hi_u32_b32 v8, exec_hi, v8
	v_cmp_eq_u32_e32 vcc, 0, v8
	s_and_saveexec_b64 s[24:25], vcc
	s_cbranch_execz .LBB46_50
; %bb.49:                               ;   in Loop: Header=BB46_8 Depth=1
	v_mov_b32_e32 v8, s23
	global_atomic_smin v2, v8, s[14:15]
.LBB46_50:                              ;   in Loop: Header=BB46_8 Depth=1
	s_or_b64 exec, exec, s[24:25]
	v_mov_b32_e32 v9, 0
	v_mov_b32_e32 v8, 1.0
.LBB46_51:                              ;   in Loop: Header=BB46_8 Depth=1
	s_or_b64 exec, exec, s[2:3]
	v_mul_f32_e32 v40, v9, v9
	v_fmac_f32_e32 v40, v8, v8
	v_div_scale_f32 v41, s[2:3], v40, v40, 1.0
	v_div_scale_f32 v42, vcc, 1.0, v40, 1.0
	ds_read_b128 v[22:25], v16
	ds_read_b128 v[26:29], v2 offset:256
	ds_read_b64 v[38:39], v19 offset:32
	ds_read_b128 v[30:33], v2 offset:272
	ds_read_b128 v[34:37], v16 offset:16
	s_waitcnt lgkmcnt(2)
	v_fma_f32 v39, v27, v22, v39
	v_fmac_f32_e32 v38, v26, v22
	v_fma_f32 v22, v26, -v23, v39
	v_fmac_f32_e32 v38, v27, v23
	v_fmac_f32_e32 v22, v29, v24
	;; [unrolled: 1-line block ×3, first 2 shown]
	v_fma_f32 v22, v28, -v25, v22
	v_rcp_f32_e32 v23, v41
	v_fmac_f32_e32 v38, v29, v25
	s_waitcnt lgkmcnt(0)
	v_fmac_f32_e32 v22, v31, v34
	v_fmac_f32_e32 v38, v30, v34
	v_fma_f32 v24, -v41, v23, 1.0
	v_fmac_f32_e32 v23, v24, v23
	v_mul_f32_e32 v24, v42, v23
	v_fma_f32 v26, -v41, v24, v42
	v_fmac_f32_e32 v24, v26, v23
	v_fma_f32 v26, -v41, v24, v42
	v_div_fmas_f32 v23, v26, v23, v24
	v_fma_f32 v22, v30, -v35, v22
	v_fmac_f32_e32 v38, v31, v35
	v_fmac_f32_e32 v22, v33, v36
	;; [unrolled: 1-line block ×3, first 2 shown]
	v_fma_f32 v22, v32, -v37, v22
	v_fmac_f32_e32 v38, v33, v37
	v_sub_f32_e32 v6, v6, v38
	v_sub_f32_e32 v7, v7, v22
	v_mul_f32_e32 v22, v9, v7
	v_mul_f32_e64 v9, v9, -v6
	v_fmac_f32_e32 v22, v6, v8
	v_fmac_f32_e32 v9, v7, v8
	v_div_fixup_f32 v7, v23, v40, 1.0
	v_mul_f32_e32 v6, v7, v22
	v_mul_f32_e32 v7, v7, v9
	ds_write_b64 v16, v[6:7] offset:32
	s_waitcnt lgkmcnt(0)
	ds_read_b64 v[8:9], v21 offset:32
	ds_read_b64 v[22:23], v12
	s_waitcnt lgkmcnt(0)
	v_fma_f32 v22, v6, v8, v22
	v_fmac_f32_e32 v23, v7, v8
	v_fmac_f32_e32 v22, v7, v9
	v_fma_f32 v23, v6, -v9, v23
	ds_write_b64 v12, v[22:23]
	s_waitcnt lgkmcnt(0)
	ds_read_b64 v[8:9], v2 offset:360
	ds_read_b64 v[6:7], v16 offset:40
	s_waitcnt lgkmcnt(1)
	v_cmp_neq_f32_e32 vcc, 0, v8
	v_cmp_neq_f32_e64 s[2:3], 0, v9
	s_or_b64 vcc, vcc, s[2:3]
	v_cndmask_b32_e32 v8, 1.0, v8, vcc
	s_nor_b64 s[24:25], vcc, s[0:1]
	v_cndmask_b32_e32 v9, 0, v9, vcc
	s_and_saveexec_b64 s[2:3], s[24:25]
	s_cbranch_execz .LBB46_55
; %bb.52:                               ;   in Loop: Header=BB46_8 Depth=1
	v_mbcnt_lo_u32_b32 v8, exec_lo, 0
	v_mbcnt_hi_u32_b32 v8, exec_hi, v8
	v_cmp_eq_u32_e32 vcc, 0, v8
	s_and_saveexec_b64 s[24:25], vcc
	s_cbranch_execz .LBB46_54
; %bb.53:                               ;   in Loop: Header=BB46_8 Depth=1
	v_mov_b32_e32 v8, s23
	global_atomic_smin v2, v8, s[14:15]
.LBB46_54:                              ;   in Loop: Header=BB46_8 Depth=1
	s_or_b64 exec, exec, s[24:25]
	v_mov_b32_e32 v9, 0
	v_mov_b32_e32 v8, 1.0
.LBB46_55:                              ;   in Loop: Header=BB46_8 Depth=1
	s_or_b64 exec, exec, s[2:3]
	v_mul_f32_e32 v44, v9, v9
	v_fmac_f32_e32 v44, v8, v8
	v_div_scale_f32 v45, s[2:3], v44, v44, 1.0
	v_div_scale_f32 v46, vcc, 1.0, v44, 1.0
	ds_read_b128 v[22:25], v2 offset:320
	ds_read_b128 v[26:29], v16
	ds_read_b64 v[38:39], v19 offset:40
	ds_read_b64 v[40:41], v16 offset:32
	ds_read_b128 v[30:33], v2 offset:336
	ds_read_b64 v[42:43], v2 offset:352
	ds_read_b128 v[34:37], v16 offset:16
	s_waitcnt lgkmcnt(4)
	v_fmac_f32_e32 v38, v22, v26
	v_fma_f32 v39, v23, v26, v39
	v_fmac_f32_e32 v38, v23, v27
	v_fma_f32 v22, v22, -v27, v39
	v_fmac_f32_e32 v22, v25, v28
	v_fmac_f32_e32 v38, v24, v28
	v_fma_f32 v22, v24, -v29, v22
	v_rcp_f32_e32 v23, v45
	v_fmac_f32_e32 v38, v25, v29
	s_waitcnt lgkmcnt(0)
	v_fmac_f32_e32 v22, v31, v34
	v_fmac_f32_e32 v38, v30, v34
	v_fma_f32 v24, -v45, v23, 1.0
	v_fmac_f32_e32 v23, v24, v23
	v_mul_f32_e32 v24, v46, v23
	v_fma_f32 v26, -v45, v24, v46
	v_fmac_f32_e32 v24, v26, v23
	v_fma_f32 v26, -v45, v24, v46
	v_div_fmas_f32 v23, v26, v23, v24
	v_fma_f32 v22, v30, -v35, v22
	v_fmac_f32_e32 v38, v31, v35
	v_fmac_f32_e32 v22, v33, v36
	;; [unrolled: 1-line block ×3, first 2 shown]
	v_fma_f32 v22, v32, -v37, v22
	v_fmac_f32_e32 v38, v33, v37
	v_fmac_f32_e32 v22, v43, v40
	;; [unrolled: 1-line block ×3, first 2 shown]
	v_fma_f32 v22, v42, -v41, v22
	v_fmac_f32_e32 v38, v43, v41
	v_sub_f32_e32 v24, v6, v38
	v_sub_f32_e32 v7, v7, v22
	v_mul_f32_e32 v6, v9, v7
	v_mul_f32_e64 v9, v9, -v24
	v_fmac_f32_e32 v6, v24, v8
	v_div_fixup_f32 v22, v23, v44, 1.0
	v_fmac_f32_e32 v9, v7, v8
	v_mul_f32_e32 v6, v22, v6
	v_mul_f32_e32 v7, v22, v9
	ds_write_b64 v16, v[6:7] offset:40
	s_waitcnt lgkmcnt(0)
	ds_read_b64 v[8:9], v21 offset:40
	ds_read_b64 v[22:23], v12
	s_waitcnt lgkmcnt(0)
	v_fma_f32 v22, v6, v8, v22
	v_fmac_f32_e32 v23, v7, v8
	v_fmac_f32_e32 v22, v7, v9
	v_fma_f32 v23, v6, -v9, v23
	ds_write_b64 v12, v[22:23]
	s_waitcnt lgkmcnt(0)
	ds_read_b64 v[8:9], v2 offset:432
	ds_read_b64 v[6:7], v16 offset:48
	s_waitcnt lgkmcnt(1)
	v_cmp_neq_f32_e32 vcc, 0, v8
	v_cmp_neq_f32_e64 s[2:3], 0, v9
	s_or_b64 vcc, vcc, s[2:3]
	v_cndmask_b32_e32 v8, 1.0, v8, vcc
	s_nor_b64 s[24:25], vcc, s[0:1]
	v_cndmask_b32_e32 v9, 0, v9, vcc
	s_and_saveexec_b64 s[2:3], s[24:25]
	s_cbranch_execz .LBB46_7
; %bb.56:                               ;   in Loop: Header=BB46_8 Depth=1
	v_mbcnt_lo_u32_b32 v8, exec_lo, 0
	v_mbcnt_hi_u32_b32 v8, exec_hi, v8
	v_cmp_eq_u32_e32 vcc, 0, v8
	s_and_saveexec_b64 s[24:25], vcc
	s_cbranch_execz .LBB46_6
; %bb.57:                               ;   in Loop: Header=BB46_8 Depth=1
	v_mov_b32_e32 v8, s23
	global_atomic_smin v2, v8, s[14:15]
	s_branch .LBB46_6
.LBB46_58:                              ;   in Loop: Header=BB46_8 Depth=1
                                        ; implicit-def: $sgpr22
	s_cbranch_execz .LBB46_8
.LBB46_59:
	s_cmp_lg_u32 s33, 0
	s_cselect_b64 s[8:9], -1, 0
	s_cmp_eq_u32 s33, 0
	v_mov_b32_e32 v2, v10
	s_cbranch_scc1 .LBB46_61
; %bb.60:
	v_mad_u32_u24 v2, v0, 7, v1
.LBB46_61:
	s_mul_i32 s18, s30, 49
	v_add_u32_e32 v2, s18, v2
	v_ashrrev_i32_e32 v3, 31, v2
	v_lshlrev_b64 v[2:3], 3, v[2:3]
	v_mov_b32_e32 v4, s21
	v_add_co_u32_e32 v2, vcc, s20, v2
	v_addc_co_u32_e32 v3, vcc, v4, v3, vcc
	global_load_dwordx2 v[4:5], v[2:3], off
	v_mov_b32_e32 v2, 0x380
	v_lshl_add_u32 v3, v1, 6, v2
	v_cmp_ne_u32_e64 s[2:3], 0, v1
	v_lshl_add_u32 v2, v0, 3, v3
	v_cmp_eq_u32_e32 vcc, 0, v1
	s_waitcnt vmcnt(0)
	ds_write_b64 v2, v[4:5]
	s_waitcnt lgkmcnt(0)
	s_and_saveexec_b64 s[4:5], vcc
	s_cbranch_execz .LBB46_71
; %bb.62:
	v_mov_b32_e32 v6, 0
	ds_read2_b64 v[14:17], v6 offset0:112 offset1:168
	s_waitcnt lgkmcnt(0)
	v_sub_f32_e32 v4, v14, v16
	v_sub_f32_e32 v7, v15, v17
	v_cmp_gt_f32_e32 vcc, 0, v4
	v_cndmask_b32_e64 v4, v4, -v4, vcc
	v_cmp_gt_f32_e32 vcc, 0, v7
	v_cndmask_b32_e64 v5, v7, -v7, vcc
	v_cmp_ngt_f32_e32 vcc, v4, v5
	s_cbranch_vccz .LBB46_68
; %bb.63:
	v_cmp_eq_f32_e32 vcc, 0, v7
	s_cbranch_vccnz .LBB46_65
; %bb.64:
	v_div_scale_f32 v6, s[0:1], v5, v5, v4
	v_div_scale_f32 v7, vcc, v4, v5, v4
	s_mov_b32 s0, 0xf800000
	v_rcp_f32_e32 v8, v6
	v_fma_f32 v9, -v6, v8, 1.0
	v_fmac_f32_e32 v8, v9, v8
	v_mul_f32_e32 v9, v7, v8
	v_fma_f32 v14, -v6, v9, v7
	v_fmac_f32_e32 v9, v14, v8
	v_fma_f32 v6, -v6, v9, v7
	v_div_fmas_f32 v6, v6, v8, v9
	v_mov_b32_e32 v8, 0x260
	v_div_fixup_f32 v6, v6, v5, v4
	v_fma_f32 v6, v6, v6, 1.0
	v_mul_f32_e32 v7, 0x4f800000, v6
	v_cmp_gt_f32_e32 vcc, s0, v6
	v_cndmask_b32_e32 v6, v6, v7, vcc
	v_sqrt_f32_e32 v7, v6
	v_add_u32_e32 v9, -1, v7
	v_add_u32_e32 v14, 1, v7
	v_fma_f32 v15, -v9, v7, v6
	v_fma_f32 v16, -v14, v7, v6
	v_cmp_ge_f32_e64 s[0:1], 0, v15
	v_cndmask_b32_e64 v7, v7, v9, s[0:1]
	v_cmp_lt_f32_e64 s[0:1], 0, v16
	v_cndmask_b32_e64 v7, v7, v14, s[0:1]
	v_mul_f32_e32 v9, 0x37800000, v7
	v_cndmask_b32_e32 v7, v7, v9, vcc
	v_cmp_class_f32_e32 vcc, v6, v8
	v_cndmask_b32_e32 v6, v7, v6, vcc
	v_mul_f32_e32 v6, v5, v6
.LBB46_65:
	s_cbranch_execz .LBB46_69
	s_branch .LBB46_70
.LBB46_66:
	s_cbranch_execnz .LBB46_164
.LBB46_67:
	s_endpgm
.LBB46_68:
                                        ; implicit-def: $vgpr6
.LBB46_69:
	v_div_scale_f32 v6, s[0:1], v4, v4, v5
	v_div_scale_f32 v7, vcc, v5, v4, v5
	s_mov_b32 s0, 0xf800000
	v_rcp_f32_e32 v8, v6
	v_fma_f32 v9, -v6, v8, 1.0
	v_fmac_f32_e32 v8, v9, v8
	v_mul_f32_e32 v9, v7, v8
	v_fma_f32 v14, -v6, v9, v7
	v_fmac_f32_e32 v9, v14, v8
	v_fma_f32 v6, -v6, v9, v7
	v_div_fmas_f32 v6, v6, v8, v9
	v_mov_b32_e32 v7, 0x260
	v_div_fixup_f32 v5, v6, v4, v5
	v_fma_f32 v5, v5, v5, 1.0
	v_mul_f32_e32 v6, 0x4f800000, v5
	v_cmp_gt_f32_e32 vcc, s0, v5
	v_cndmask_b32_e32 v5, v5, v6, vcc
	v_sqrt_f32_e32 v6, v5
	v_add_u32_e32 v8, -1, v6
	v_add_u32_e32 v9, 1, v6
	v_fma_f32 v14, -v8, v6, v5
	v_fma_f32 v15, -v9, v6, v5
	v_cmp_ge_f32_e64 s[0:1], 0, v14
	v_cndmask_b32_e64 v6, v6, v8, s[0:1]
	v_cmp_lt_f32_e64 s[0:1], 0, v15
	v_cndmask_b32_e64 v6, v6, v9, s[0:1]
	v_mul_f32_e32 v8, 0x37800000, v6
	v_cndmask_b32_e32 v6, v6, v8, vcc
	v_cmp_class_f32_e32 vcc, v5, v7
	v_cndmask_b32_e32 v5, v6, v5, vcc
	v_mul_f32_e32 v6, v4, v5
.LBB46_70:
	s_mov_b32 s0, 0xf800000
	v_mul_f32_e32 v4, 0x4f800000, v6
	v_cmp_gt_f32_e32 vcc, s0, v6
	v_cndmask_b32_e32 v4, v6, v4, vcc
	v_sqrt_f32_e32 v5, v4
	v_add_u32_e32 v6, -1, v5
	v_fma_f32 v7, -v6, v5, v4
	v_cmp_ge_f32_e64 s[0:1], 0, v7
	v_add_u32_e32 v7, 1, v5
	v_cndmask_b32_e64 v6, v5, v6, s[0:1]
	v_fma_f32 v5, -v7, v5, v4
	v_cmp_lt_f32_e64 s[0:1], 0, v5
	v_cndmask_b32_e64 v5, v6, v7, s[0:1]
	v_mul_f32_e32 v6, 0x37800000, v5
	v_cndmask_b32_e32 v5, v5, v6, vcc
	v_mov_b32_e32 v6, 0x260
	v_cmp_class_f32_e32 vcc, v4, v6
	v_cndmask_b32_e32 v4, v5, v4, vcc
	v_mov_b32_e32 v5, 0
	ds_write_b64 v5, v[4:5] offset:896
.LBB46_71:
	s_or_b64 exec, exec, s[4:5]
	v_mov_b32_e32 v4, 0
	s_waitcnt lgkmcnt(0)
	ds_read_b64 v[6:7], v4 offset:896
	v_or_b32_e32 v4, v0, v1
	v_cmp_ne_u32_e64 s[0:1], 0, v4
	s_add_i32 s19, s12, s13
	s_waitcnt lgkmcnt(0)
	v_cmp_neq_f32_e32 vcc, 0, v6
	v_cmp_neq_f32_e64 s[4:5], 0, v7
	s_or_b64 vcc, vcc, s[4:5]
	v_cndmask_b32_e32 v6, 1.0, v6, vcc
	s_nor_b64 s[16:17], vcc, s[0:1]
	v_cndmask_b32_e32 v7, 0, v7, vcc
	s_and_saveexec_b64 s[4:5], s[16:17]
	s_cbranch_execz .LBB46_75
; %bb.72:
	v_mbcnt_lo_u32_b32 v5, exec_lo, 0
	v_mbcnt_hi_u32_b32 v5, exec_hi, v5
	v_cmp_eq_u32_e32 vcc, 0, v5
	s_and_saveexec_b64 s[16:17], vcc
	s_cbranch_execz .LBB46_74
; %bb.73:
	v_mov_b32_e32 v5, 0
	v_mov_b32_e32 v6, s19
	global_atomic_smin v5, v6, s[14:15]
.LBB46_74:
	s_or_b64 exec, exec, s[16:17]
	v_mov_b32_e32 v7, 0
	v_mov_b32_e32 v6, 1.0
.LBB46_75:
	s_or_b64 exec, exec, s[4:5]
	v_mov_b32_e32 v5, 0x380
	v_lshl_add_u32 v5, v0, 6, v5
	s_and_saveexec_b64 s[4:5], s[2:3]
	s_cbranch_execz .LBB46_77
; %bb.76:
	v_mul_f32_e32 v16, v7, v7
	v_fmac_f32_e32 v16, v6, v6
	v_div_scale_f32 v8, s[2:3], v16, v16, 1.0
	v_div_scale_f32 v9, vcc, 1.0, v16, 1.0
	v_rcp_f32_e32 v14, v8
	v_fma_f32 v15, -v8, v14, 1.0
	v_fmac_f32_e32 v14, v15, v14
	v_mul_f32_e32 v15, v9, v14
	v_fma_f32 v17, -v8, v15, v9
	v_fmac_f32_e32 v15, v17, v14
	v_fma_f32 v8, -v8, v15, v9
	v_div_fmas_f32 v17, v8, v14, v15
	ds_read_b64 v[8:9], v3
	ds_read_b64 v[14:15], v13
	s_waitcnt lgkmcnt(0)
	v_sub_f32_e32 v8, v8, v14
	v_sub_f32_e32 v9, v9, v15
	v_mul_f32_e32 v14, v7, v9
	v_mul_f32_e64 v7, v7, -v8
	v_fmac_f32_e32 v14, v8, v6
	v_fmac_f32_e32 v7, v9, v6
	v_div_fixup_f32 v8, v17, v16, 1.0
	v_mul_f32_e32 v6, v8, v14
	v_mul_f32_e32 v7, v8, v7
	ds_write_b64 v3, v[6:7]
	s_waitcnt lgkmcnt(0)
	ds_read_b64 v[8:9], v5
	ds_read_b64 v[14:15], v12
	s_waitcnt lgkmcnt(0)
	v_fma_f32 v14, v6, v8, v14
	v_fmac_f32_e32 v15, v7, v8
	v_fmac_f32_e32 v14, v7, v9
	v_fma_f32 v15, v6, -v9, v15
	ds_write_b64 v12, v[14:15]
.LBB46_77:
	s_or_b64 exec, exec, s[4:5]
	v_cmp_eq_u32_e32 vcc, 1, v1
	s_waitcnt lgkmcnt(0)
	s_and_saveexec_b64 s[4:5], vcc
	s_cbranch_execz .LBB46_85
; %bb.78:
	v_mov_b32_e32 v8, 0
	ds_read2_b64 v[14:17], v8 offset0:121 offset1:177
	s_waitcnt lgkmcnt(0)
	v_sub_f32_e32 v6, v14, v16
	v_sub_f32_e32 v9, v15, v17
	v_cmp_gt_f32_e32 vcc, 0, v6
	v_cndmask_b32_e64 v6, v6, -v6, vcc
	v_cmp_gt_f32_e32 vcc, 0, v9
	v_cndmask_b32_e64 v7, v9, -v9, vcc
	v_cmp_gt_f32_e32 vcc, v6, v7
	s_cbranch_vccnz .LBB46_82
; %bb.79:
	v_cmp_eq_f32_e32 vcc, 0, v9
	s_cbranch_vccnz .LBB46_81
; %bb.80:
	v_div_scale_f32 v8, s[2:3], v7, v7, v6
	v_div_scale_f32 v9, vcc, v6, v7, v6
	s_mov_b32 s2, 0xf800000
	v_rcp_f32_e32 v14, v8
	v_fma_f32 v15, -v8, v14, 1.0
	v_fmac_f32_e32 v14, v15, v14
	v_mul_f32_e32 v15, v9, v14
	v_fma_f32 v16, -v8, v15, v9
	v_fmac_f32_e32 v15, v16, v14
	v_fma_f32 v8, -v8, v15, v9
	v_div_fmas_f32 v8, v8, v14, v15
	v_mov_b32_e32 v14, 0x260
	v_div_fixup_f32 v8, v8, v7, v6
	v_fma_f32 v8, v8, v8, 1.0
	v_mul_f32_e32 v9, 0x4f800000, v8
	v_cmp_gt_f32_e32 vcc, s2, v8
	v_cndmask_b32_e32 v8, v8, v9, vcc
	v_sqrt_f32_e32 v9, v8
	v_add_u32_e32 v15, -1, v9
	v_add_u32_e32 v16, 1, v9
	v_fma_f32 v17, -v15, v9, v8
	v_fma_f32 v18, -v16, v9, v8
	v_cmp_ge_f32_e64 s[2:3], 0, v17
	v_cndmask_b32_e64 v9, v9, v15, s[2:3]
	v_cmp_lt_f32_e64 s[2:3], 0, v18
	v_cndmask_b32_e64 v9, v9, v16, s[2:3]
	v_mul_f32_e32 v15, 0x37800000, v9
	v_cndmask_b32_e32 v9, v9, v15, vcc
	v_cmp_class_f32_e32 vcc, v8, v14
	v_cndmask_b32_e32 v8, v9, v8, vcc
	v_mul_f32_e32 v8, v7, v8
.LBB46_81:
	s_cbranch_execz .LBB46_83
	s_branch .LBB46_84
.LBB46_82:
                                        ; implicit-def: $vgpr8
.LBB46_83:
	v_div_scale_f32 v8, s[2:3], v6, v6, v7
	v_div_scale_f32 v9, vcc, v7, v6, v7
	s_mov_b32 s2, 0xf800000
	v_rcp_f32_e32 v14, v8
	v_fma_f32 v15, -v8, v14, 1.0
	v_fmac_f32_e32 v14, v15, v14
	v_mul_f32_e32 v15, v9, v14
	v_fma_f32 v16, -v8, v15, v9
	v_fmac_f32_e32 v15, v16, v14
	v_fma_f32 v8, -v8, v15, v9
	v_div_fmas_f32 v8, v8, v14, v15
	v_mov_b32_e32 v9, 0x260
	v_div_fixup_f32 v7, v8, v6, v7
	v_fma_f32 v7, v7, v7, 1.0
	v_mul_f32_e32 v8, 0x4f800000, v7
	v_cmp_gt_f32_e32 vcc, s2, v7
	v_cndmask_b32_e32 v7, v7, v8, vcc
	v_sqrt_f32_e32 v8, v7
	v_add_u32_e32 v14, -1, v8
	v_add_u32_e32 v15, 1, v8
	v_fma_f32 v16, -v14, v8, v7
	v_fma_f32 v17, -v15, v8, v7
	v_cmp_ge_f32_e64 s[2:3], 0, v16
	v_cndmask_b32_e64 v8, v8, v14, s[2:3]
	v_cmp_lt_f32_e64 s[2:3], 0, v17
	v_cndmask_b32_e64 v8, v8, v15, s[2:3]
	v_mul_f32_e32 v14, 0x37800000, v8
	v_cndmask_b32_e32 v8, v8, v14, vcc
	v_cmp_class_f32_e32 vcc, v7, v9
	v_cndmask_b32_e32 v7, v8, v7, vcc
	v_mul_f32_e32 v8, v6, v7
.LBB46_84:
	s_mov_b32 s2, 0xf800000
	v_mul_f32_e32 v6, 0x4f800000, v8
	v_cmp_gt_f32_e32 vcc, s2, v8
	v_cndmask_b32_e32 v6, v8, v6, vcc
	v_sqrt_f32_e32 v7, v6
	v_add_u32_e32 v8, -1, v7
	v_fma_f32 v9, -v8, v7, v6
	v_cmp_ge_f32_e64 s[2:3], 0, v9
	v_add_u32_e32 v9, 1, v7
	v_cndmask_b32_e64 v8, v7, v8, s[2:3]
	v_fma_f32 v7, -v9, v7, v6
	v_cmp_lt_f32_e64 s[2:3], 0, v7
	v_cndmask_b32_e64 v7, v8, v9, s[2:3]
	v_mul_f32_e32 v8, 0x37800000, v7
	v_cndmask_b32_e32 v7, v7, v8, vcc
	v_mov_b32_e32 v8, 0x260
	v_cmp_class_f32_e32 vcc, v6, v8
	v_cndmask_b32_e32 v6, v7, v6, vcc
	v_mov_b32_e32 v7, 0
	ds_write_b64 v7, v[6:7] offset:968
.LBB46_85:
	s_or_b64 exec, exec, s[4:5]
	v_mov_b32_e32 v6, 0
	s_waitcnt lgkmcnt(0)
	ds_read_b64 v[6:7], v6 offset:968
	s_waitcnt lgkmcnt(0)
	v_cmp_neq_f32_e32 vcc, 0, v6
	v_cmp_neq_f32_e64 s[2:3], 0, v7
	s_or_b64 vcc, vcc, s[2:3]
	v_cndmask_b32_e32 v6, 1.0, v6, vcc
	s_nor_b64 s[4:5], vcc, s[0:1]
	v_cndmask_b32_e32 v7, 0, v7, vcc
	s_and_saveexec_b64 s[2:3], s[4:5]
	s_cbranch_execz .LBB46_89
; %bb.86:
	v_mbcnt_lo_u32_b32 v6, exec_lo, 0
	v_mbcnt_hi_u32_b32 v6, exec_hi, v6
	v_cmp_eq_u32_e32 vcc, 0, v6
	s_and_saveexec_b64 s[4:5], vcc
	s_cbranch_execz .LBB46_88
; %bb.87:
	v_mov_b32_e32 v6, 0
	v_mov_b32_e32 v7, s19
	global_atomic_smin v6, v7, s[14:15]
.LBB46_88:
	s_or_b64 exec, exec, s[4:5]
	v_mov_b32_e32 v7, 0
	v_mov_b32_e32 v6, 1.0
.LBB46_89:
	s_or_b64 exec, exec, s[2:3]
	v_cmp_lt_u32_e32 vcc, 1, v1
	s_and_saveexec_b64 s[2:3], vcc
	s_cbranch_execz .LBB46_91
; %bb.90:
	v_mul_f32_e32 v16, v7, v7
	v_fmac_f32_e32 v16, v6, v6
	v_div_scale_f32 v8, s[4:5], v16, v16, 1.0
	v_div_scale_f32 v9, vcc, 1.0, v16, 1.0
	v_rcp_f32_e32 v14, v8
	v_fma_f32 v15, -v8, v14, 1.0
	v_fmac_f32_e32 v14, v15, v14
	v_mul_f32_e32 v15, v9, v14
	v_fma_f32 v17, -v8, v15, v9
	v_fmac_f32_e32 v15, v17, v14
	v_fma_f32 v8, -v8, v15, v9
	v_div_fmas_f32 v17, v8, v14, v15
	ds_read_b64 v[8:9], v3 offset:8
	ds_read_b64 v[14:15], v13 offset:8
	s_waitcnt lgkmcnt(0)
	v_sub_f32_e32 v8, v8, v14
	v_sub_f32_e32 v9, v9, v15
	v_mul_f32_e32 v14, v7, v9
	v_mul_f32_e64 v7, v7, -v8
	v_fmac_f32_e32 v14, v8, v6
	v_fmac_f32_e32 v7, v9, v6
	v_div_fixup_f32 v8, v17, v16, 1.0
	v_mul_f32_e32 v6, v8, v14
	v_mul_f32_e32 v7, v8, v7
	ds_write_b64 v3, v[6:7] offset:8
	s_waitcnt lgkmcnt(0)
	ds_read_b64 v[8:9], v5 offset:8
	ds_read_b64 v[14:15], v12
	s_waitcnt lgkmcnt(0)
	v_fma_f32 v14, v6, v8, v14
	v_fmac_f32_e32 v15, v7, v8
	v_fmac_f32_e32 v14, v7, v9
	v_fma_f32 v15, v6, -v9, v15
	ds_write_b64 v12, v[14:15]
.LBB46_91:
	s_or_b64 exec, exec, s[2:3]
	v_cmp_eq_u32_e32 vcc, 2, v1
	s_waitcnt lgkmcnt(0)
	s_and_saveexec_b64 s[4:5], vcc
	s_cbranch_execz .LBB46_99
; %bb.92:
	v_mov_b32_e32 v8, 0
	ds_read2_b64 v[14:17], v8 offset0:130 offset1:186
	s_waitcnt lgkmcnt(0)
	v_sub_f32_e32 v6, v14, v16
	v_sub_f32_e32 v9, v15, v17
	v_cmp_gt_f32_e32 vcc, 0, v6
	v_cndmask_b32_e64 v6, v6, -v6, vcc
	v_cmp_gt_f32_e32 vcc, 0, v9
	v_cndmask_b32_e64 v7, v9, -v9, vcc
	v_cmp_gt_f32_e32 vcc, v6, v7
	s_cbranch_vccnz .LBB46_96
; %bb.93:
	v_cmp_eq_f32_e32 vcc, 0, v9
	s_cbranch_vccnz .LBB46_95
; %bb.94:
	v_div_scale_f32 v8, s[2:3], v7, v7, v6
	v_div_scale_f32 v9, vcc, v6, v7, v6
	s_mov_b32 s2, 0xf800000
	v_rcp_f32_e32 v14, v8
	v_fma_f32 v15, -v8, v14, 1.0
	v_fmac_f32_e32 v14, v15, v14
	v_mul_f32_e32 v15, v9, v14
	v_fma_f32 v16, -v8, v15, v9
	v_fmac_f32_e32 v15, v16, v14
	v_fma_f32 v8, -v8, v15, v9
	v_div_fmas_f32 v8, v8, v14, v15
	v_mov_b32_e32 v14, 0x260
	v_div_fixup_f32 v8, v8, v7, v6
	v_fma_f32 v8, v8, v8, 1.0
	v_mul_f32_e32 v9, 0x4f800000, v8
	v_cmp_gt_f32_e32 vcc, s2, v8
	v_cndmask_b32_e32 v8, v8, v9, vcc
	v_sqrt_f32_e32 v9, v8
	v_add_u32_e32 v15, -1, v9
	v_add_u32_e32 v16, 1, v9
	v_fma_f32 v17, -v15, v9, v8
	v_fma_f32 v18, -v16, v9, v8
	v_cmp_ge_f32_e64 s[2:3], 0, v17
	v_cndmask_b32_e64 v9, v9, v15, s[2:3]
	v_cmp_lt_f32_e64 s[2:3], 0, v18
	v_cndmask_b32_e64 v9, v9, v16, s[2:3]
	v_mul_f32_e32 v15, 0x37800000, v9
	v_cndmask_b32_e32 v9, v9, v15, vcc
	v_cmp_class_f32_e32 vcc, v8, v14
	v_cndmask_b32_e32 v8, v9, v8, vcc
	v_mul_f32_e32 v8, v7, v8
.LBB46_95:
	s_cbranch_execz .LBB46_97
	s_branch .LBB46_98
.LBB46_96:
                                        ; implicit-def: $vgpr8
.LBB46_97:
	v_div_scale_f32 v8, s[2:3], v6, v6, v7
	v_div_scale_f32 v9, vcc, v7, v6, v7
	s_mov_b32 s2, 0xf800000
	v_rcp_f32_e32 v14, v8
	v_fma_f32 v15, -v8, v14, 1.0
	v_fmac_f32_e32 v14, v15, v14
	v_mul_f32_e32 v15, v9, v14
	v_fma_f32 v16, -v8, v15, v9
	v_fmac_f32_e32 v15, v16, v14
	v_fma_f32 v8, -v8, v15, v9
	v_div_fmas_f32 v8, v8, v14, v15
	v_mov_b32_e32 v9, 0x260
	v_div_fixup_f32 v7, v8, v6, v7
	v_fma_f32 v7, v7, v7, 1.0
	v_mul_f32_e32 v8, 0x4f800000, v7
	v_cmp_gt_f32_e32 vcc, s2, v7
	v_cndmask_b32_e32 v7, v7, v8, vcc
	v_sqrt_f32_e32 v8, v7
	v_add_u32_e32 v14, -1, v8
	v_add_u32_e32 v15, 1, v8
	v_fma_f32 v16, -v14, v8, v7
	v_fma_f32 v17, -v15, v8, v7
	v_cmp_ge_f32_e64 s[2:3], 0, v16
	v_cndmask_b32_e64 v8, v8, v14, s[2:3]
	v_cmp_lt_f32_e64 s[2:3], 0, v17
	v_cndmask_b32_e64 v8, v8, v15, s[2:3]
	v_mul_f32_e32 v14, 0x37800000, v8
	v_cndmask_b32_e32 v8, v8, v14, vcc
	v_cmp_class_f32_e32 vcc, v7, v9
	v_cndmask_b32_e32 v7, v8, v7, vcc
	v_mul_f32_e32 v8, v6, v7
.LBB46_98:
	s_mov_b32 s2, 0xf800000
	v_mul_f32_e32 v6, 0x4f800000, v8
	v_cmp_gt_f32_e32 vcc, s2, v8
	v_cndmask_b32_e32 v6, v8, v6, vcc
	v_sqrt_f32_e32 v7, v6
	v_add_u32_e32 v8, -1, v7
	v_fma_f32 v9, -v8, v7, v6
	v_cmp_ge_f32_e64 s[2:3], 0, v9
	v_add_u32_e32 v9, 1, v7
	v_cndmask_b32_e64 v8, v7, v8, s[2:3]
	v_fma_f32 v7, -v9, v7, v6
	v_cmp_lt_f32_e64 s[2:3], 0, v7
	v_cndmask_b32_e64 v7, v8, v9, s[2:3]
	v_mul_f32_e32 v8, 0x37800000, v7
	v_cndmask_b32_e32 v7, v7, v8, vcc
	v_mov_b32_e32 v8, 0x260
	v_cmp_class_f32_e32 vcc, v6, v8
	v_cndmask_b32_e32 v6, v7, v6, vcc
	v_mov_b32_e32 v7, 0
	ds_write_b64 v7, v[6:7] offset:1040
.LBB46_99:
	s_or_b64 exec, exec, s[4:5]
	v_mov_b32_e32 v6, 0
	s_waitcnt lgkmcnt(0)
	ds_read_b64 v[6:7], v6 offset:1040
	s_waitcnt lgkmcnt(0)
	v_cmp_neq_f32_e32 vcc, 0, v6
	v_cmp_neq_f32_e64 s[2:3], 0, v7
	s_or_b64 vcc, vcc, s[2:3]
	v_cndmask_b32_e32 v6, 1.0, v6, vcc
	s_nor_b64 s[4:5], vcc, s[0:1]
	v_cndmask_b32_e32 v7, 0, v7, vcc
	s_and_saveexec_b64 s[2:3], s[4:5]
	s_cbranch_execz .LBB46_103
; %bb.100:
	v_mbcnt_lo_u32_b32 v6, exec_lo, 0
	v_mbcnt_hi_u32_b32 v6, exec_hi, v6
	v_cmp_eq_u32_e32 vcc, 0, v6
	s_and_saveexec_b64 s[4:5], vcc
	s_cbranch_execz .LBB46_102
; %bb.101:
	v_mov_b32_e32 v6, 0
	v_mov_b32_e32 v7, s19
	global_atomic_smin v6, v7, s[14:15]
.LBB46_102:
	s_or_b64 exec, exec, s[4:5]
	v_mov_b32_e32 v7, 0
	v_mov_b32_e32 v6, 1.0
.LBB46_103:
	s_or_b64 exec, exec, s[2:3]
	v_cmp_lt_u32_e32 vcc, 2, v1
	s_and_saveexec_b64 s[2:3], vcc
	s_cbranch_execz .LBB46_105
; %bb.104:
	v_mul_f32_e32 v16, v7, v7
	v_fmac_f32_e32 v16, v6, v6
	v_div_scale_f32 v8, s[4:5], v16, v16, 1.0
	v_div_scale_f32 v9, vcc, 1.0, v16, 1.0
	v_rcp_f32_e32 v14, v8
	v_fma_f32 v15, -v8, v14, 1.0
	v_fmac_f32_e32 v14, v15, v14
	v_mul_f32_e32 v15, v9, v14
	v_fma_f32 v17, -v8, v15, v9
	v_fmac_f32_e32 v15, v17, v14
	v_fma_f32 v8, -v8, v15, v9
	v_div_fmas_f32 v17, v8, v14, v15
	ds_read_b64 v[8:9], v3 offset:16
	ds_read_b64 v[14:15], v13 offset:16
	s_waitcnt lgkmcnt(0)
	v_sub_f32_e32 v8, v8, v14
	v_sub_f32_e32 v9, v9, v15
	v_mul_f32_e32 v14, v7, v9
	v_mul_f32_e64 v7, v7, -v8
	v_fmac_f32_e32 v14, v8, v6
	v_fmac_f32_e32 v7, v9, v6
	v_div_fixup_f32 v8, v17, v16, 1.0
	v_mul_f32_e32 v6, v8, v14
	v_mul_f32_e32 v7, v8, v7
	ds_write_b64 v3, v[6:7] offset:16
	s_waitcnt lgkmcnt(0)
	ds_read_b64 v[8:9], v5 offset:16
	ds_read_b64 v[14:15], v12
	s_waitcnt lgkmcnt(0)
	v_fma_f32 v14, v6, v8, v14
	v_fmac_f32_e32 v15, v7, v8
	v_fmac_f32_e32 v14, v7, v9
	v_fma_f32 v15, v6, -v9, v15
	ds_write_b64 v12, v[14:15]
.LBB46_105:
	s_or_b64 exec, exec, s[2:3]
	v_cmp_eq_u32_e32 vcc, 3, v1
	s_waitcnt lgkmcnt(0)
	s_and_saveexec_b64 s[4:5], vcc
	s_cbranch_execz .LBB46_113
; %bb.106:
	v_mov_b32_e32 v8, 0
	ds_read2_b64 v[14:17], v8 offset0:139 offset1:195
	s_waitcnt lgkmcnt(0)
	v_sub_f32_e32 v6, v14, v16
	v_sub_f32_e32 v9, v15, v17
	v_cmp_gt_f32_e32 vcc, 0, v6
	v_cndmask_b32_e64 v6, v6, -v6, vcc
	v_cmp_gt_f32_e32 vcc, 0, v9
	v_cndmask_b32_e64 v7, v9, -v9, vcc
	v_cmp_gt_f32_e32 vcc, v6, v7
	s_cbranch_vccnz .LBB46_110
; %bb.107:
	v_cmp_eq_f32_e32 vcc, 0, v9
	s_cbranch_vccnz .LBB46_109
; %bb.108:
	v_div_scale_f32 v8, s[2:3], v7, v7, v6
	v_div_scale_f32 v9, vcc, v6, v7, v6
	s_mov_b32 s2, 0xf800000
	v_rcp_f32_e32 v14, v8
	v_fma_f32 v15, -v8, v14, 1.0
	v_fmac_f32_e32 v14, v15, v14
	v_mul_f32_e32 v15, v9, v14
	v_fma_f32 v16, -v8, v15, v9
	v_fmac_f32_e32 v15, v16, v14
	v_fma_f32 v8, -v8, v15, v9
	v_div_fmas_f32 v8, v8, v14, v15
	v_mov_b32_e32 v14, 0x260
	v_div_fixup_f32 v8, v8, v7, v6
	v_fma_f32 v8, v8, v8, 1.0
	v_mul_f32_e32 v9, 0x4f800000, v8
	v_cmp_gt_f32_e32 vcc, s2, v8
	v_cndmask_b32_e32 v8, v8, v9, vcc
	v_sqrt_f32_e32 v9, v8
	v_add_u32_e32 v15, -1, v9
	v_add_u32_e32 v16, 1, v9
	v_fma_f32 v17, -v15, v9, v8
	v_fma_f32 v18, -v16, v9, v8
	v_cmp_ge_f32_e64 s[2:3], 0, v17
	v_cndmask_b32_e64 v9, v9, v15, s[2:3]
	v_cmp_lt_f32_e64 s[2:3], 0, v18
	v_cndmask_b32_e64 v9, v9, v16, s[2:3]
	v_mul_f32_e32 v15, 0x37800000, v9
	v_cndmask_b32_e32 v9, v9, v15, vcc
	v_cmp_class_f32_e32 vcc, v8, v14
	v_cndmask_b32_e32 v8, v9, v8, vcc
	v_mul_f32_e32 v8, v7, v8
.LBB46_109:
	s_cbranch_execz .LBB46_111
	s_branch .LBB46_112
.LBB46_110:
                                        ; implicit-def: $vgpr8
.LBB46_111:
	v_div_scale_f32 v8, s[2:3], v6, v6, v7
	v_div_scale_f32 v9, vcc, v7, v6, v7
	s_mov_b32 s2, 0xf800000
	v_rcp_f32_e32 v14, v8
	v_fma_f32 v15, -v8, v14, 1.0
	v_fmac_f32_e32 v14, v15, v14
	v_mul_f32_e32 v15, v9, v14
	v_fma_f32 v16, -v8, v15, v9
	v_fmac_f32_e32 v15, v16, v14
	v_fma_f32 v8, -v8, v15, v9
	v_div_fmas_f32 v8, v8, v14, v15
	v_mov_b32_e32 v9, 0x260
	v_div_fixup_f32 v7, v8, v6, v7
	v_fma_f32 v7, v7, v7, 1.0
	v_mul_f32_e32 v8, 0x4f800000, v7
	v_cmp_gt_f32_e32 vcc, s2, v7
	v_cndmask_b32_e32 v7, v7, v8, vcc
	v_sqrt_f32_e32 v8, v7
	v_add_u32_e32 v14, -1, v8
	v_add_u32_e32 v15, 1, v8
	v_fma_f32 v16, -v14, v8, v7
	v_fma_f32 v17, -v15, v8, v7
	v_cmp_ge_f32_e64 s[2:3], 0, v16
	v_cndmask_b32_e64 v8, v8, v14, s[2:3]
	v_cmp_lt_f32_e64 s[2:3], 0, v17
	v_cndmask_b32_e64 v8, v8, v15, s[2:3]
	v_mul_f32_e32 v14, 0x37800000, v8
	v_cndmask_b32_e32 v8, v8, v14, vcc
	v_cmp_class_f32_e32 vcc, v7, v9
	v_cndmask_b32_e32 v7, v8, v7, vcc
	v_mul_f32_e32 v8, v6, v7
.LBB46_112:
	s_mov_b32 s2, 0xf800000
	v_mul_f32_e32 v6, 0x4f800000, v8
	v_cmp_gt_f32_e32 vcc, s2, v8
	v_cndmask_b32_e32 v6, v8, v6, vcc
	v_sqrt_f32_e32 v7, v6
	v_add_u32_e32 v8, -1, v7
	v_fma_f32 v9, -v8, v7, v6
	v_cmp_ge_f32_e64 s[2:3], 0, v9
	v_add_u32_e32 v9, 1, v7
	v_cndmask_b32_e64 v8, v7, v8, s[2:3]
	v_fma_f32 v7, -v9, v7, v6
	v_cmp_lt_f32_e64 s[2:3], 0, v7
	v_cndmask_b32_e64 v7, v8, v9, s[2:3]
	v_mul_f32_e32 v8, 0x37800000, v7
	v_cndmask_b32_e32 v7, v7, v8, vcc
	v_mov_b32_e32 v8, 0x260
	v_cmp_class_f32_e32 vcc, v6, v8
	v_cndmask_b32_e32 v6, v7, v6, vcc
	v_mov_b32_e32 v7, 0
	ds_write_b64 v7, v[6:7] offset:1112
.LBB46_113:
	s_or_b64 exec, exec, s[4:5]
	v_mov_b32_e32 v6, 0
	s_waitcnt lgkmcnt(0)
	ds_read_b64 v[6:7], v6 offset:1112
	s_waitcnt lgkmcnt(0)
	v_cmp_neq_f32_e32 vcc, 0, v6
	v_cmp_neq_f32_e64 s[2:3], 0, v7
	s_or_b64 vcc, vcc, s[2:3]
	v_cndmask_b32_e32 v6, 1.0, v6, vcc
	s_nor_b64 s[4:5], vcc, s[0:1]
	v_cndmask_b32_e32 v7, 0, v7, vcc
	s_and_saveexec_b64 s[2:3], s[4:5]
	s_cbranch_execz .LBB46_117
; %bb.114:
	v_mbcnt_lo_u32_b32 v6, exec_lo, 0
	v_mbcnt_hi_u32_b32 v6, exec_hi, v6
	v_cmp_eq_u32_e32 vcc, 0, v6
	s_and_saveexec_b64 s[4:5], vcc
	s_cbranch_execz .LBB46_116
; %bb.115:
	v_mov_b32_e32 v6, 0
	v_mov_b32_e32 v7, s19
	global_atomic_smin v6, v7, s[14:15]
.LBB46_116:
	s_or_b64 exec, exec, s[4:5]
	v_mov_b32_e32 v7, 0
	v_mov_b32_e32 v6, 1.0
.LBB46_117:
	s_or_b64 exec, exec, s[2:3]
	v_cmp_lt_u32_e32 vcc, 3, v1
	s_and_saveexec_b64 s[2:3], vcc
	s_cbranch_execz .LBB46_119
; %bb.118:
	v_mul_f32_e32 v16, v7, v7
	v_fmac_f32_e32 v16, v6, v6
	v_div_scale_f32 v8, s[4:5], v16, v16, 1.0
	v_div_scale_f32 v9, vcc, 1.0, v16, 1.0
	v_rcp_f32_e32 v14, v8
	v_fma_f32 v15, -v8, v14, 1.0
	v_fmac_f32_e32 v14, v15, v14
	v_mul_f32_e32 v15, v9, v14
	v_fma_f32 v17, -v8, v15, v9
	v_fmac_f32_e32 v15, v17, v14
	v_fma_f32 v8, -v8, v15, v9
	v_div_fmas_f32 v17, v8, v14, v15
	ds_read_b64 v[8:9], v3 offset:24
	ds_read_b64 v[14:15], v13 offset:24
	s_waitcnt lgkmcnt(0)
	v_sub_f32_e32 v8, v8, v14
	v_sub_f32_e32 v9, v9, v15
	v_mul_f32_e32 v14, v7, v9
	v_mul_f32_e64 v7, v7, -v8
	v_fmac_f32_e32 v14, v8, v6
	v_fmac_f32_e32 v7, v9, v6
	v_div_fixup_f32 v8, v17, v16, 1.0
	v_mul_f32_e32 v6, v8, v14
	v_mul_f32_e32 v7, v8, v7
	ds_write_b64 v3, v[6:7] offset:24
	s_waitcnt lgkmcnt(0)
	ds_read_b64 v[8:9], v5 offset:24
	ds_read_b64 v[14:15], v12
	s_waitcnt lgkmcnt(0)
	v_fma_f32 v14, v6, v8, v14
	v_fmac_f32_e32 v15, v7, v8
	v_fmac_f32_e32 v14, v7, v9
	v_fma_f32 v15, v6, -v9, v15
	ds_write_b64 v12, v[14:15]
.LBB46_119:
	s_or_b64 exec, exec, s[2:3]
	v_cmp_eq_u32_e32 vcc, 4, v1
	s_waitcnt lgkmcnt(0)
	s_and_saveexec_b64 s[4:5], vcc
	s_cbranch_execz .LBB46_127
; %bb.120:
	v_mov_b32_e32 v8, 0
	ds_read2_b64 v[14:17], v8 offset0:148 offset1:204
	s_waitcnt lgkmcnt(0)
	v_sub_f32_e32 v6, v14, v16
	v_sub_f32_e32 v9, v15, v17
	v_cmp_gt_f32_e32 vcc, 0, v6
	v_cndmask_b32_e64 v6, v6, -v6, vcc
	v_cmp_gt_f32_e32 vcc, 0, v9
	v_cndmask_b32_e64 v7, v9, -v9, vcc
	v_cmp_gt_f32_e32 vcc, v6, v7
	s_cbranch_vccnz .LBB46_124
; %bb.121:
	v_cmp_eq_f32_e32 vcc, 0, v9
	s_cbranch_vccnz .LBB46_123
; %bb.122:
	v_div_scale_f32 v8, s[2:3], v7, v7, v6
	v_div_scale_f32 v9, vcc, v6, v7, v6
	s_mov_b32 s2, 0xf800000
	v_rcp_f32_e32 v14, v8
	v_fma_f32 v15, -v8, v14, 1.0
	v_fmac_f32_e32 v14, v15, v14
	v_mul_f32_e32 v15, v9, v14
	v_fma_f32 v16, -v8, v15, v9
	v_fmac_f32_e32 v15, v16, v14
	v_fma_f32 v8, -v8, v15, v9
	v_div_fmas_f32 v8, v8, v14, v15
	v_mov_b32_e32 v14, 0x260
	v_div_fixup_f32 v8, v8, v7, v6
	v_fma_f32 v8, v8, v8, 1.0
	v_mul_f32_e32 v9, 0x4f800000, v8
	v_cmp_gt_f32_e32 vcc, s2, v8
	v_cndmask_b32_e32 v8, v8, v9, vcc
	v_sqrt_f32_e32 v9, v8
	v_add_u32_e32 v15, -1, v9
	v_add_u32_e32 v16, 1, v9
	v_fma_f32 v17, -v15, v9, v8
	v_fma_f32 v18, -v16, v9, v8
	v_cmp_ge_f32_e64 s[2:3], 0, v17
	v_cndmask_b32_e64 v9, v9, v15, s[2:3]
	v_cmp_lt_f32_e64 s[2:3], 0, v18
	v_cndmask_b32_e64 v9, v9, v16, s[2:3]
	v_mul_f32_e32 v15, 0x37800000, v9
	v_cndmask_b32_e32 v9, v9, v15, vcc
	v_cmp_class_f32_e32 vcc, v8, v14
	v_cndmask_b32_e32 v8, v9, v8, vcc
	v_mul_f32_e32 v8, v7, v8
.LBB46_123:
	s_cbranch_execz .LBB46_125
	s_branch .LBB46_126
.LBB46_124:
                                        ; implicit-def: $vgpr8
.LBB46_125:
	v_div_scale_f32 v8, s[2:3], v6, v6, v7
	v_div_scale_f32 v9, vcc, v7, v6, v7
	s_mov_b32 s2, 0xf800000
	v_rcp_f32_e32 v14, v8
	v_fma_f32 v15, -v8, v14, 1.0
	v_fmac_f32_e32 v14, v15, v14
	v_mul_f32_e32 v15, v9, v14
	v_fma_f32 v16, -v8, v15, v9
	v_fmac_f32_e32 v15, v16, v14
	v_fma_f32 v8, -v8, v15, v9
	v_div_fmas_f32 v8, v8, v14, v15
	v_mov_b32_e32 v9, 0x260
	v_div_fixup_f32 v7, v8, v6, v7
	v_fma_f32 v7, v7, v7, 1.0
	v_mul_f32_e32 v8, 0x4f800000, v7
	v_cmp_gt_f32_e32 vcc, s2, v7
	v_cndmask_b32_e32 v7, v7, v8, vcc
	v_sqrt_f32_e32 v8, v7
	v_add_u32_e32 v14, -1, v8
	v_add_u32_e32 v15, 1, v8
	v_fma_f32 v16, -v14, v8, v7
	v_fma_f32 v17, -v15, v8, v7
	v_cmp_ge_f32_e64 s[2:3], 0, v16
	v_cndmask_b32_e64 v8, v8, v14, s[2:3]
	v_cmp_lt_f32_e64 s[2:3], 0, v17
	v_cndmask_b32_e64 v8, v8, v15, s[2:3]
	v_mul_f32_e32 v14, 0x37800000, v8
	v_cndmask_b32_e32 v8, v8, v14, vcc
	v_cmp_class_f32_e32 vcc, v7, v9
	v_cndmask_b32_e32 v7, v8, v7, vcc
	v_mul_f32_e32 v8, v6, v7
.LBB46_126:
	s_mov_b32 s2, 0xf800000
	v_mul_f32_e32 v6, 0x4f800000, v8
	v_cmp_gt_f32_e32 vcc, s2, v8
	v_cndmask_b32_e32 v6, v8, v6, vcc
	v_sqrt_f32_e32 v7, v6
	v_add_u32_e32 v8, -1, v7
	v_fma_f32 v9, -v8, v7, v6
	v_cmp_ge_f32_e64 s[2:3], 0, v9
	v_add_u32_e32 v9, 1, v7
	v_cndmask_b32_e64 v8, v7, v8, s[2:3]
	v_fma_f32 v7, -v9, v7, v6
	v_cmp_lt_f32_e64 s[2:3], 0, v7
	v_cndmask_b32_e64 v7, v8, v9, s[2:3]
	v_mul_f32_e32 v8, 0x37800000, v7
	v_cndmask_b32_e32 v7, v7, v8, vcc
	v_mov_b32_e32 v8, 0x260
	v_cmp_class_f32_e32 vcc, v6, v8
	v_cndmask_b32_e32 v6, v7, v6, vcc
	v_mov_b32_e32 v7, 0
	ds_write_b64 v7, v[6:7] offset:1184
.LBB46_127:
	s_or_b64 exec, exec, s[4:5]
	v_mov_b32_e32 v6, 0
	s_waitcnt lgkmcnt(0)
	ds_read_b64 v[6:7], v6 offset:1184
	s_waitcnt lgkmcnt(0)
	v_cmp_neq_f32_e32 vcc, 0, v6
	v_cmp_neq_f32_e64 s[2:3], 0, v7
	s_or_b64 vcc, vcc, s[2:3]
	v_cndmask_b32_e32 v6, 1.0, v6, vcc
	s_nor_b64 s[4:5], vcc, s[0:1]
	v_cndmask_b32_e32 v7, 0, v7, vcc
	s_and_saveexec_b64 s[2:3], s[4:5]
	s_cbranch_execz .LBB46_131
; %bb.128:
	v_mbcnt_lo_u32_b32 v6, exec_lo, 0
	v_mbcnt_hi_u32_b32 v6, exec_hi, v6
	v_cmp_eq_u32_e32 vcc, 0, v6
	s_and_saveexec_b64 s[4:5], vcc
	s_cbranch_execz .LBB46_130
; %bb.129:
	v_mov_b32_e32 v6, 0
	v_mov_b32_e32 v7, s19
	global_atomic_smin v6, v7, s[14:15]
.LBB46_130:
	s_or_b64 exec, exec, s[4:5]
	v_mov_b32_e32 v7, 0
	v_mov_b32_e32 v6, 1.0
.LBB46_131:
	s_or_b64 exec, exec, s[2:3]
	v_cmp_lt_u32_e32 vcc, 4, v1
	s_and_saveexec_b64 s[2:3], vcc
	s_cbranch_execz .LBB46_133
; %bb.132:
	v_mul_f32_e32 v16, v7, v7
	v_fmac_f32_e32 v16, v6, v6
	v_div_scale_f32 v8, s[4:5], v16, v16, 1.0
	v_div_scale_f32 v9, vcc, 1.0, v16, 1.0
	v_rcp_f32_e32 v14, v8
	v_fma_f32 v15, -v8, v14, 1.0
	v_fmac_f32_e32 v14, v15, v14
	v_mul_f32_e32 v15, v9, v14
	v_fma_f32 v17, -v8, v15, v9
	v_fmac_f32_e32 v15, v17, v14
	v_fma_f32 v8, -v8, v15, v9
	v_div_fmas_f32 v17, v8, v14, v15
	ds_read_b64 v[8:9], v3 offset:32
	ds_read_b64 v[14:15], v13 offset:32
	s_waitcnt lgkmcnt(0)
	v_sub_f32_e32 v8, v8, v14
	v_sub_f32_e32 v9, v9, v15
	v_mul_f32_e32 v14, v7, v9
	v_mul_f32_e64 v7, v7, -v8
	v_fmac_f32_e32 v14, v8, v6
	v_fmac_f32_e32 v7, v9, v6
	v_div_fixup_f32 v8, v17, v16, 1.0
	v_mul_f32_e32 v6, v8, v14
	v_mul_f32_e32 v7, v8, v7
	ds_write_b64 v3, v[6:7] offset:32
	s_waitcnt lgkmcnt(0)
	ds_read_b64 v[8:9], v5 offset:32
	ds_read_b64 v[14:15], v12
	s_waitcnt lgkmcnt(0)
	v_fma_f32 v14, v6, v8, v14
	v_fmac_f32_e32 v15, v7, v8
	v_fmac_f32_e32 v14, v7, v9
	v_fma_f32 v15, v6, -v9, v15
	ds_write_b64 v12, v[14:15]
.LBB46_133:
	s_or_b64 exec, exec, s[2:3]
	v_cmp_eq_u32_e32 vcc, 5, v1
	s_waitcnt lgkmcnt(0)
	s_and_saveexec_b64 s[4:5], vcc
	s_cbranch_execz .LBB46_141
; %bb.134:
	v_mov_b32_e32 v8, 0
	ds_read2_b64 v[14:17], v8 offset0:157 offset1:213
	s_waitcnt lgkmcnt(0)
	v_sub_f32_e32 v6, v14, v16
	v_sub_f32_e32 v9, v15, v17
	v_cmp_gt_f32_e32 vcc, 0, v6
	v_cndmask_b32_e64 v6, v6, -v6, vcc
	v_cmp_gt_f32_e32 vcc, 0, v9
	v_cndmask_b32_e64 v7, v9, -v9, vcc
	v_cmp_gt_f32_e32 vcc, v6, v7
	s_cbranch_vccnz .LBB46_138
; %bb.135:
	v_cmp_eq_f32_e32 vcc, 0, v9
	s_cbranch_vccnz .LBB46_137
; %bb.136:
	v_div_scale_f32 v8, s[2:3], v7, v7, v6
	v_div_scale_f32 v9, vcc, v6, v7, v6
	s_mov_b32 s2, 0xf800000
	v_rcp_f32_e32 v14, v8
	v_fma_f32 v15, -v8, v14, 1.0
	v_fmac_f32_e32 v14, v15, v14
	v_mul_f32_e32 v15, v9, v14
	v_fma_f32 v16, -v8, v15, v9
	v_fmac_f32_e32 v15, v16, v14
	v_fma_f32 v8, -v8, v15, v9
	v_div_fmas_f32 v8, v8, v14, v15
	v_mov_b32_e32 v14, 0x260
	v_div_fixup_f32 v8, v8, v7, v6
	v_fma_f32 v8, v8, v8, 1.0
	v_mul_f32_e32 v9, 0x4f800000, v8
	v_cmp_gt_f32_e32 vcc, s2, v8
	v_cndmask_b32_e32 v8, v8, v9, vcc
	v_sqrt_f32_e32 v9, v8
	v_add_u32_e32 v15, -1, v9
	v_add_u32_e32 v16, 1, v9
	v_fma_f32 v17, -v15, v9, v8
	v_fma_f32 v18, -v16, v9, v8
	v_cmp_ge_f32_e64 s[2:3], 0, v17
	v_cndmask_b32_e64 v9, v9, v15, s[2:3]
	v_cmp_lt_f32_e64 s[2:3], 0, v18
	v_cndmask_b32_e64 v9, v9, v16, s[2:3]
	v_mul_f32_e32 v15, 0x37800000, v9
	v_cndmask_b32_e32 v9, v9, v15, vcc
	v_cmp_class_f32_e32 vcc, v8, v14
	v_cndmask_b32_e32 v8, v9, v8, vcc
	v_mul_f32_e32 v8, v7, v8
.LBB46_137:
	s_cbranch_execz .LBB46_139
	s_branch .LBB46_140
.LBB46_138:
                                        ; implicit-def: $vgpr8
.LBB46_139:
	v_div_scale_f32 v8, s[2:3], v6, v6, v7
	v_div_scale_f32 v9, vcc, v7, v6, v7
	s_mov_b32 s2, 0xf800000
	v_rcp_f32_e32 v14, v8
	v_fma_f32 v15, -v8, v14, 1.0
	v_fmac_f32_e32 v14, v15, v14
	v_mul_f32_e32 v15, v9, v14
	v_fma_f32 v16, -v8, v15, v9
	v_fmac_f32_e32 v15, v16, v14
	v_fma_f32 v8, -v8, v15, v9
	v_div_fmas_f32 v8, v8, v14, v15
	v_mov_b32_e32 v9, 0x260
	v_div_fixup_f32 v7, v8, v6, v7
	v_fma_f32 v7, v7, v7, 1.0
	v_mul_f32_e32 v8, 0x4f800000, v7
	v_cmp_gt_f32_e32 vcc, s2, v7
	v_cndmask_b32_e32 v7, v7, v8, vcc
	v_sqrt_f32_e32 v8, v7
	v_add_u32_e32 v14, -1, v8
	v_add_u32_e32 v15, 1, v8
	v_fma_f32 v16, -v14, v8, v7
	v_fma_f32 v17, -v15, v8, v7
	v_cmp_ge_f32_e64 s[2:3], 0, v16
	v_cndmask_b32_e64 v8, v8, v14, s[2:3]
	v_cmp_lt_f32_e64 s[2:3], 0, v17
	v_cndmask_b32_e64 v8, v8, v15, s[2:3]
	v_mul_f32_e32 v14, 0x37800000, v8
	v_cndmask_b32_e32 v8, v8, v14, vcc
	v_cmp_class_f32_e32 vcc, v7, v9
	v_cndmask_b32_e32 v7, v8, v7, vcc
	v_mul_f32_e32 v8, v6, v7
.LBB46_140:
	s_mov_b32 s2, 0xf800000
	v_mul_f32_e32 v6, 0x4f800000, v8
	v_cmp_gt_f32_e32 vcc, s2, v8
	v_cndmask_b32_e32 v6, v8, v6, vcc
	v_sqrt_f32_e32 v7, v6
	v_add_u32_e32 v8, -1, v7
	v_fma_f32 v9, -v8, v7, v6
	v_cmp_ge_f32_e64 s[2:3], 0, v9
	v_add_u32_e32 v9, 1, v7
	v_cndmask_b32_e64 v8, v7, v8, s[2:3]
	v_fma_f32 v7, -v9, v7, v6
	v_cmp_lt_f32_e64 s[2:3], 0, v7
	v_cndmask_b32_e64 v7, v8, v9, s[2:3]
	v_mul_f32_e32 v8, 0x37800000, v7
	v_cndmask_b32_e32 v7, v7, v8, vcc
	v_mov_b32_e32 v8, 0x260
	v_cmp_class_f32_e32 vcc, v6, v8
	v_cndmask_b32_e32 v6, v7, v6, vcc
	v_mov_b32_e32 v7, 0
	ds_write_b64 v7, v[6:7] offset:1256
.LBB46_141:
	s_or_b64 exec, exec, s[4:5]
	v_mov_b32_e32 v6, 0
	s_waitcnt lgkmcnt(0)
	ds_read_b64 v[6:7], v6 offset:1256
	s_waitcnt lgkmcnt(0)
	v_cmp_neq_f32_e32 vcc, 0, v6
	v_cmp_neq_f32_e64 s[2:3], 0, v7
	s_or_b64 vcc, vcc, s[2:3]
	v_cndmask_b32_e32 v6, 1.0, v6, vcc
	s_nor_b64 s[4:5], vcc, s[0:1]
	v_cndmask_b32_e32 v7, 0, v7, vcc
	s_and_saveexec_b64 s[2:3], s[4:5]
	s_cbranch_execz .LBB46_145
; %bb.142:
	v_mbcnt_lo_u32_b32 v6, exec_lo, 0
	v_mbcnt_hi_u32_b32 v6, exec_hi, v6
	v_cmp_eq_u32_e32 vcc, 0, v6
	s_and_saveexec_b64 s[4:5], vcc
	s_cbranch_execz .LBB46_144
; %bb.143:
	v_mov_b32_e32 v6, 0
	v_mov_b32_e32 v7, s19
	global_atomic_smin v6, v7, s[14:15]
.LBB46_144:
	s_or_b64 exec, exec, s[4:5]
	v_mov_b32_e32 v7, 0
	v_mov_b32_e32 v6, 1.0
.LBB46_145:
	s_or_b64 exec, exec, s[2:3]
	v_cmp_lt_u32_e32 vcc, 5, v1
	s_and_saveexec_b64 s[2:3], vcc
	s_cbranch_execz .LBB46_147
; %bb.146:
	v_mul_f32_e32 v16, v7, v7
	v_fmac_f32_e32 v16, v6, v6
	v_div_scale_f32 v8, s[4:5], v16, v16, 1.0
	v_div_scale_f32 v9, vcc, 1.0, v16, 1.0
	v_rcp_f32_e32 v14, v8
	v_fma_f32 v15, -v8, v14, 1.0
	v_fmac_f32_e32 v14, v15, v14
	v_mul_f32_e32 v15, v9, v14
	v_fma_f32 v17, -v8, v15, v9
	v_fmac_f32_e32 v15, v17, v14
	v_fma_f32 v8, -v8, v15, v9
	v_div_fmas_f32 v17, v8, v14, v15
	ds_read_b64 v[8:9], v3 offset:40
	ds_read_b64 v[14:15], v13 offset:40
	s_waitcnt lgkmcnt(0)
	v_sub_f32_e32 v8, v8, v14
	v_sub_f32_e32 v9, v9, v15
	v_mul_f32_e32 v14, v7, v9
	v_mul_f32_e64 v7, v7, -v8
	v_fmac_f32_e32 v14, v8, v6
	v_fmac_f32_e32 v7, v9, v6
	v_div_fixup_f32 v8, v17, v16, 1.0
	v_mul_f32_e32 v6, v8, v14
	v_mul_f32_e32 v7, v8, v7
	ds_write_b64 v3, v[6:7] offset:40
	s_waitcnt lgkmcnt(0)
	ds_read_b64 v[8:9], v5 offset:40
	ds_read_b64 v[14:15], v12
	s_waitcnt lgkmcnt(0)
	v_fma_f32 v14, v6, v8, v14
	v_fmac_f32_e32 v15, v7, v8
	v_fmac_f32_e32 v14, v7, v9
	v_fma_f32 v15, v6, -v9, v15
	ds_write_b64 v12, v[14:15]
.LBB46_147:
	s_or_b64 exec, exec, s[2:3]
	v_cmp_eq_u32_e32 vcc, 6, v1
	s_waitcnt lgkmcnt(0)
	s_and_saveexec_b64 s[4:5], vcc
	s_cbranch_execz .LBB46_155
; %bb.148:
	v_mov_b32_e32 v8, 0
	ds_read2_b64 v[14:17], v8 offset0:166 offset1:222
	s_waitcnt lgkmcnt(0)
	v_sub_f32_e32 v6, v14, v16
	v_sub_f32_e32 v9, v15, v17
	v_cmp_gt_f32_e32 vcc, 0, v6
	v_cndmask_b32_e64 v6, v6, -v6, vcc
	v_cmp_gt_f32_e32 vcc, 0, v9
	v_cndmask_b32_e64 v7, v9, -v9, vcc
	v_cmp_gt_f32_e32 vcc, v6, v7
	s_cbranch_vccnz .LBB46_152
; %bb.149:
	v_cmp_eq_f32_e32 vcc, 0, v9
	s_cbranch_vccnz .LBB46_151
; %bb.150:
	v_div_scale_f32 v8, s[2:3], v7, v7, v6
	v_div_scale_f32 v9, vcc, v6, v7, v6
	s_mov_b32 s2, 0xf800000
	v_rcp_f32_e32 v14, v8
	v_fma_f32 v15, -v8, v14, 1.0
	v_fmac_f32_e32 v14, v15, v14
	v_mul_f32_e32 v15, v9, v14
	v_fma_f32 v16, -v8, v15, v9
	v_fmac_f32_e32 v15, v16, v14
	v_fma_f32 v8, -v8, v15, v9
	v_div_fmas_f32 v8, v8, v14, v15
	v_mov_b32_e32 v14, 0x260
	v_div_fixup_f32 v8, v8, v7, v6
	v_fma_f32 v8, v8, v8, 1.0
	v_mul_f32_e32 v9, 0x4f800000, v8
	v_cmp_gt_f32_e32 vcc, s2, v8
	v_cndmask_b32_e32 v8, v8, v9, vcc
	v_sqrt_f32_e32 v9, v8
	v_add_u32_e32 v15, -1, v9
	v_add_u32_e32 v16, 1, v9
	v_fma_f32 v17, -v15, v9, v8
	v_fma_f32 v18, -v16, v9, v8
	v_cmp_ge_f32_e64 s[2:3], 0, v17
	v_cndmask_b32_e64 v9, v9, v15, s[2:3]
	v_cmp_lt_f32_e64 s[2:3], 0, v18
	v_cndmask_b32_e64 v9, v9, v16, s[2:3]
	v_mul_f32_e32 v15, 0x37800000, v9
	v_cndmask_b32_e32 v9, v9, v15, vcc
	v_cmp_class_f32_e32 vcc, v8, v14
	v_cndmask_b32_e32 v8, v9, v8, vcc
	v_mul_f32_e32 v8, v7, v8
.LBB46_151:
	s_cbranch_execz .LBB46_153
	s_branch .LBB46_154
.LBB46_152:
                                        ; implicit-def: $vgpr8
.LBB46_153:
	v_div_scale_f32 v8, s[2:3], v6, v6, v7
	v_div_scale_f32 v9, vcc, v7, v6, v7
	s_mov_b32 s2, 0xf800000
	v_rcp_f32_e32 v14, v8
	v_fma_f32 v15, -v8, v14, 1.0
	v_fmac_f32_e32 v14, v15, v14
	v_mul_f32_e32 v15, v9, v14
	v_fma_f32 v16, -v8, v15, v9
	v_fmac_f32_e32 v15, v16, v14
	v_fma_f32 v8, -v8, v15, v9
	v_div_fmas_f32 v8, v8, v14, v15
	v_mov_b32_e32 v9, 0x260
	v_div_fixup_f32 v7, v8, v6, v7
	v_fma_f32 v7, v7, v7, 1.0
	v_mul_f32_e32 v8, 0x4f800000, v7
	v_cmp_gt_f32_e32 vcc, s2, v7
	v_cndmask_b32_e32 v7, v7, v8, vcc
	v_sqrt_f32_e32 v8, v7
	v_add_u32_e32 v14, -1, v8
	v_add_u32_e32 v15, 1, v8
	v_fma_f32 v16, -v14, v8, v7
	v_fma_f32 v17, -v15, v8, v7
	v_cmp_ge_f32_e64 s[2:3], 0, v16
	v_cndmask_b32_e64 v8, v8, v14, s[2:3]
	v_cmp_lt_f32_e64 s[2:3], 0, v17
	v_cndmask_b32_e64 v8, v8, v15, s[2:3]
	v_mul_f32_e32 v14, 0x37800000, v8
	v_cndmask_b32_e32 v8, v8, v14, vcc
	v_cmp_class_f32_e32 vcc, v7, v9
	v_cndmask_b32_e32 v7, v8, v7, vcc
	v_mul_f32_e32 v8, v6, v7
.LBB46_154:
	s_mov_b32 s2, 0xf800000
	v_mul_f32_e32 v6, 0x4f800000, v8
	v_cmp_gt_f32_e32 vcc, s2, v8
	v_cndmask_b32_e32 v6, v8, v6, vcc
	v_sqrt_f32_e32 v7, v6
	v_add_u32_e32 v8, -1, v7
	v_fma_f32 v9, -v8, v7, v6
	v_cmp_ge_f32_e64 s[2:3], 0, v9
	v_add_u32_e32 v9, 1, v7
	v_cndmask_b32_e64 v8, v7, v8, s[2:3]
	v_fma_f32 v7, -v9, v7, v6
	v_cmp_lt_f32_e64 s[2:3], 0, v7
	v_cndmask_b32_e64 v7, v8, v9, s[2:3]
	v_mul_f32_e32 v8, 0x37800000, v7
	v_cndmask_b32_e32 v7, v7, v8, vcc
	v_mov_b32_e32 v8, 0x260
	v_cmp_class_f32_e32 vcc, v6, v8
	v_cndmask_b32_e32 v6, v7, v6, vcc
	v_mov_b32_e32 v7, 0
	ds_write_b64 v7, v[6:7] offset:1328
.LBB46_155:
	s_or_b64 exec, exec, s[4:5]
	v_mov_b32_e32 v6, 0
	s_waitcnt lgkmcnt(0)
	ds_read_b64 v[6:7], v6 offset:1328
	s_waitcnt lgkmcnt(0)
	v_cmp_neq_f32_e32 vcc, 0, v6
	v_cmp_neq_f32_e64 s[2:3], 0, v7
	s_or_b64 vcc, vcc, s[2:3]
	v_cndmask_b32_e32 v6, 1.0, v6, vcc
	s_nor_b64 s[2:3], vcc, s[0:1]
	v_cndmask_b32_e32 v7, 0, v7, vcc
	s_and_saveexec_b64 s[0:1], s[2:3]
	s_cbranch_execz .LBB46_168
; %bb.156:
	v_mbcnt_lo_u32_b32 v6, exec_lo, 0
	v_mbcnt_hi_u32_b32 v6, exec_hi, v6
	v_cmp_eq_u32_e32 vcc, 0, v6
	s_and_saveexec_b64 s[2:3], vcc
	s_cbranch_execz .LBB46_158
; %bb.157:
	v_mov_b32_e32 v6, 0
	v_mov_b32_e32 v7, s19
	global_atomic_smin v6, v7, s[14:15]
.LBB46_158:
	s_or_b64 exec, exec, s[2:3]
	v_mov_b32_e32 v7, 0
	v_mov_b32_e32 v6, 1.0
	s_or_b64 exec, exec, s[0:1]
	v_cmp_lt_u32_e32 vcc, 6, v1
	s_and_saveexec_b64 s[0:1], vcc
	s_cbranch_execnz .LBB46_169
.LBB46_159:
	s_or_b64 exec, exec, s[0:1]
	s_andn2_b64 vcc, exec, s[8:9]
	s_cbranch_vccnz .LBB46_161
.LBB46_160:
	v_mov_b32_e32 v10, v11
.LBB46_161:
	v_add_u32_e32 v5, s18, v10
	v_ashrrev_i32_e32 v6, 31, v5
	v_lshlrev_b64 v[5:6], 3, v[5:6]
	ds_read_b64 v[2:3], v2
	v_mov_b32_e32 v7, s21
	v_add_co_u32_e32 v5, vcc, s20, v5
	v_addc_co_u32_e32 v6, vcc, v7, v6, vcc
	v_cmp_eq_u32_e32 vcc, 0, v4
	s_waitcnt lgkmcnt(0)
	global_store_dwordx2 v[5:6], v[2:3], off
	s_and_saveexec_b64 s[0:1], vcc
	s_cbranch_execz .LBB46_163
; %bb.162:
	s_add_u32 s2, s10, s6
	s_addc_u32 s3, s11, s7
	v_mov_b32_e32 v2, 0
	v_mov_b32_e32 v3, 1
	s_waitcnt vmcnt(0)
	global_store_dword v2, v3, s[2:3]
.LBB46_163:
	s_or_b64 exec, exec, s[0:1]
	s_branch .LBB46_67
.LBB46_164:
	v_or_b32_e32 v0, v0, v1
	v_cmp_eq_u32_e32 vcc, 0, v0
	s_and_saveexec_b64 s[0:1], vcc
	s_cbranch_execz .LBB46_67
; %bb.165:
	v_mbcnt_lo_u32_b32 v0, exec_lo, 0
	v_mbcnt_hi_u32_b32 v0, exec_hi, v0
	v_cmp_eq_u32_e32 vcc, 0, v0
	s_and_saveexec_b64 s[0:1], vcc
	s_cbranch_execz .LBB46_167
; %bb.166:
	s_add_i32 s2, s12, s13
	v_mov_b32_e32 v0, 0
	v_mov_b32_e32 v1, s2
	global_atomic_smin v0, v1, s[14:15]
.LBB46_167:
	s_or_b64 exec, exec, s[0:1]
	s_add_u32 s0, s10, s6
	s_addc_u32 s1, s11, s7
	v_mov_b32_e32 v0, 0
	v_mov_b32_e32 v1, 1
	s_waitcnt vmcnt(0)
	global_store_dword v0, v1, s[0:1]
	s_endpgm
.LBB46_168:
	s_or_b64 exec, exec, s[0:1]
	v_cmp_lt_u32_e32 vcc, 6, v1
	s_and_saveexec_b64 s[0:1], vcc
	s_cbranch_execz .LBB46_159
.LBB46_169:
	v_mul_f32_e32 v15, v7, v7
	v_fmac_f32_e32 v15, v6, v6
	v_div_scale_f32 v8, s[2:3], v15, v15, 1.0
	v_div_scale_f32 v9, vcc, 1.0, v15, 1.0
	v_rcp_f32_e32 v14, v8
	v_fma_f32 v16, -v8, v14, 1.0
	v_fmac_f32_e32 v14, v16, v14
	v_mul_f32_e32 v16, v9, v14
	v_fma_f32 v17, -v8, v16, v9
	v_fmac_f32_e32 v16, v17, v14
	v_fma_f32 v8, -v8, v16, v9
	v_div_fmas_f32 v16, v8, v14, v16
	ds_read_b64 v[8:9], v3 offset:48
	ds_read_b64 v[13:14], v13 offset:48
	s_waitcnt lgkmcnt(0)
	v_sub_f32_e32 v8, v8, v13
	v_sub_f32_e32 v9, v9, v14
	v_mul_f32_e32 v13, v7, v9
	v_mul_f32_e64 v7, v7, -v8
	v_fmac_f32_e32 v13, v8, v6
	v_fmac_f32_e32 v7, v9, v6
	v_div_fixup_f32 v8, v16, v15, 1.0
	v_mul_f32_e32 v6, v8, v13
	v_mul_f32_e32 v7, v8, v7
	ds_write_b64 v3, v[6:7] offset:48
	s_waitcnt lgkmcnt(0)
	ds_read_b64 v[8:9], v5 offset:48
	ds_read_b64 v[13:14], v12
	s_waitcnt lgkmcnt(0)
	v_fma_f32 v5, v6, v8, v13
	v_fmac_f32_e32 v14, v7, v8
	v_fmac_f32_e32 v5, v7, v9
	v_fma_f32 v6, v6, -v9, v14
	ds_write_b64 v12, v[5:6]
	s_or_b64 exec, exec, s[0:1]
	s_andn2_b64 vcc, exec, s[8:9]
	s_waitcnt lgkmcnt(0)
	s_cbranch_vccz .LBB46_160
	s_branch .LBB46_161
	.section	.rodata,"a",@progbits
	.p2align	6, 0x0
	.amdhsa_kernel _ZN9rocsparseL26bsric0_2_8_unrolled_kernelILi49ELi32ELi7E21rocsparse_complex_numIfEEEv20rocsparse_direction_iiPKiS5_PT2_S5_PiS5_S8_21rocsparse_index_base_
		.amdhsa_group_segment_fixed_size 2176
		.amdhsa_private_segment_fixed_size 0
		.amdhsa_kernarg_size 76
		.amdhsa_user_sgpr_count 6
		.amdhsa_user_sgpr_private_segment_buffer 1
		.amdhsa_user_sgpr_dispatch_ptr 0
		.amdhsa_user_sgpr_queue_ptr 0
		.amdhsa_user_sgpr_kernarg_segment_ptr 1
		.amdhsa_user_sgpr_dispatch_id 0
		.amdhsa_user_sgpr_flat_scratch_init 0
		.amdhsa_user_sgpr_private_segment_size 0
		.amdhsa_uses_dynamic_stack 0
		.amdhsa_system_sgpr_private_segment_wavefront_offset 0
		.amdhsa_system_sgpr_workgroup_id_x 1
		.amdhsa_system_sgpr_workgroup_id_y 0
		.amdhsa_system_sgpr_workgroup_id_z 0
		.amdhsa_system_sgpr_workgroup_info 0
		.amdhsa_system_vgpr_workitem_id 1
		.amdhsa_next_free_vgpr 57
		.amdhsa_next_free_sgpr 61
		.amdhsa_reserve_vcc 1
		.amdhsa_reserve_flat_scratch 0
		.amdhsa_float_round_mode_32 0
		.amdhsa_float_round_mode_16_64 0
		.amdhsa_float_denorm_mode_32 3
		.amdhsa_float_denorm_mode_16_64 3
		.amdhsa_dx10_clamp 1
		.amdhsa_ieee_mode 1
		.amdhsa_fp16_overflow 0
		.amdhsa_exception_fp_ieee_invalid_op 0
		.amdhsa_exception_fp_denorm_src 0
		.amdhsa_exception_fp_ieee_div_zero 0
		.amdhsa_exception_fp_ieee_overflow 0
		.amdhsa_exception_fp_ieee_underflow 0
		.amdhsa_exception_fp_ieee_inexact 0
		.amdhsa_exception_int_div_zero 0
	.end_amdhsa_kernel
	.section	.text._ZN9rocsparseL26bsric0_2_8_unrolled_kernelILi49ELi32ELi7E21rocsparse_complex_numIfEEEv20rocsparse_direction_iiPKiS5_PT2_S5_PiS5_S8_21rocsparse_index_base_,"axG",@progbits,_ZN9rocsparseL26bsric0_2_8_unrolled_kernelILi49ELi32ELi7E21rocsparse_complex_numIfEEEv20rocsparse_direction_iiPKiS5_PT2_S5_PiS5_S8_21rocsparse_index_base_,comdat
.Lfunc_end46:
	.size	_ZN9rocsparseL26bsric0_2_8_unrolled_kernelILi49ELi32ELi7E21rocsparse_complex_numIfEEEv20rocsparse_direction_iiPKiS5_PT2_S5_PiS5_S8_21rocsparse_index_base_, .Lfunc_end46-_ZN9rocsparseL26bsric0_2_8_unrolled_kernelILi49ELi32ELi7E21rocsparse_complex_numIfEEEv20rocsparse_direction_iiPKiS5_PT2_S5_PiS5_S8_21rocsparse_index_base_
                                        ; -- End function
	.set _ZN9rocsparseL26bsric0_2_8_unrolled_kernelILi49ELi32ELi7E21rocsparse_complex_numIfEEEv20rocsparse_direction_iiPKiS5_PT2_S5_PiS5_S8_21rocsparse_index_base_.num_vgpr, 57
	.set _ZN9rocsparseL26bsric0_2_8_unrolled_kernelILi49ELi32ELi7E21rocsparse_complex_numIfEEEv20rocsparse_direction_iiPKiS5_PT2_S5_PiS5_S8_21rocsparse_index_base_.num_agpr, 0
	.set _ZN9rocsparseL26bsric0_2_8_unrolled_kernelILi49ELi32ELi7E21rocsparse_complex_numIfEEEv20rocsparse_direction_iiPKiS5_PT2_S5_PiS5_S8_21rocsparse_index_base_.numbered_sgpr, 40
	.set _ZN9rocsparseL26bsric0_2_8_unrolled_kernelILi49ELi32ELi7E21rocsparse_complex_numIfEEEv20rocsparse_direction_iiPKiS5_PT2_S5_PiS5_S8_21rocsparse_index_base_.num_named_barrier, 0
	.set _ZN9rocsparseL26bsric0_2_8_unrolled_kernelILi49ELi32ELi7E21rocsparse_complex_numIfEEEv20rocsparse_direction_iiPKiS5_PT2_S5_PiS5_S8_21rocsparse_index_base_.private_seg_size, 0
	.set _ZN9rocsparseL26bsric0_2_8_unrolled_kernelILi49ELi32ELi7E21rocsparse_complex_numIfEEEv20rocsparse_direction_iiPKiS5_PT2_S5_PiS5_S8_21rocsparse_index_base_.uses_vcc, 1
	.set _ZN9rocsparseL26bsric0_2_8_unrolled_kernelILi49ELi32ELi7E21rocsparse_complex_numIfEEEv20rocsparse_direction_iiPKiS5_PT2_S5_PiS5_S8_21rocsparse_index_base_.uses_flat_scratch, 0
	.set _ZN9rocsparseL26bsric0_2_8_unrolled_kernelILi49ELi32ELi7E21rocsparse_complex_numIfEEEv20rocsparse_direction_iiPKiS5_PT2_S5_PiS5_S8_21rocsparse_index_base_.has_dyn_sized_stack, 0
	.set _ZN9rocsparseL26bsric0_2_8_unrolled_kernelILi49ELi32ELi7E21rocsparse_complex_numIfEEEv20rocsparse_direction_iiPKiS5_PT2_S5_PiS5_S8_21rocsparse_index_base_.has_recursion, 0
	.set _ZN9rocsparseL26bsric0_2_8_unrolled_kernelILi49ELi32ELi7E21rocsparse_complex_numIfEEEv20rocsparse_direction_iiPKiS5_PT2_S5_PiS5_S8_21rocsparse_index_base_.has_indirect_call, 0
	.section	.AMDGPU.csdata,"",@progbits
; Kernel info:
; codeLenInByte = 11840
; TotalNumSgprs: 44
; NumVgprs: 57
; ScratchSize: 0
; MemoryBound: 0
; FloatMode: 240
; IeeeMode: 1
; LDSByteSize: 2176 bytes/workgroup (compile time only)
; SGPRBlocks: 8
; VGPRBlocks: 14
; NumSGPRsForWavesPerEU: 65
; NumVGPRsForWavesPerEU: 57
; Occupancy: 4
; WaveLimiterHint : 1
; COMPUTE_PGM_RSRC2:SCRATCH_EN: 0
; COMPUTE_PGM_RSRC2:USER_SGPR: 6
; COMPUTE_PGM_RSRC2:TRAP_HANDLER: 0
; COMPUTE_PGM_RSRC2:TGID_X_EN: 1
; COMPUTE_PGM_RSRC2:TGID_Y_EN: 0
; COMPUTE_PGM_RSRC2:TGID_Z_EN: 0
; COMPUTE_PGM_RSRC2:TIDIG_COMP_CNT: 1
	.section	.text._ZN9rocsparseL26bsric0_2_8_unrolled_kernelILi64ELi32ELi8E21rocsparse_complex_numIfEEEv20rocsparse_direction_iiPKiS5_PT2_S5_PiS5_S8_21rocsparse_index_base_,"axG",@progbits,_ZN9rocsparseL26bsric0_2_8_unrolled_kernelILi64ELi32ELi8E21rocsparse_complex_numIfEEEv20rocsparse_direction_iiPKiS5_PT2_S5_PiS5_S8_21rocsparse_index_base_,comdat
	.globl	_ZN9rocsparseL26bsric0_2_8_unrolled_kernelILi64ELi32ELi8E21rocsparse_complex_numIfEEEv20rocsparse_direction_iiPKiS5_PT2_S5_PiS5_S8_21rocsparse_index_base_ ; -- Begin function _ZN9rocsparseL26bsric0_2_8_unrolled_kernelILi64ELi32ELi8E21rocsparse_complex_numIfEEEv20rocsparse_direction_iiPKiS5_PT2_S5_PiS5_S8_21rocsparse_index_base_
	.p2align	8
	.type	_ZN9rocsparseL26bsric0_2_8_unrolled_kernelILi64ELi32ELi8E21rocsparse_complex_numIfEEEv20rocsparse_direction_iiPKiS5_PT2_S5_PiS5_S8_21rocsparse_index_base_,@function
_ZN9rocsparseL26bsric0_2_8_unrolled_kernelILi64ELi32ELi8E21rocsparse_complex_numIfEEEv20rocsparse_direction_iiPKiS5_PT2_S5_PiS5_S8_21rocsparse_index_base_: ; @_ZN9rocsparseL26bsric0_2_8_unrolled_kernelILi64ELi32ELi8E21rocsparse_complex_numIfEEEv20rocsparse_direction_iiPKiS5_PT2_S5_PiS5_S8_21rocsparse_index_base_
; %bb.0:
	s_load_dwordx8 s[8:15], s[4:5], 0x28
	s_mov_b32 s7, 0
	s_lshl_b64 s[0:1], s[6:7], 2
	s_waitcnt lgkmcnt(0)
	s_add_u32 s0, s12, s0
	s_addc_u32 s1, s13, s1
	s_load_dword s12, s[0:1], 0x0
	s_waitcnt lgkmcnt(0)
	s_ashr_i32 s13, s12, 31
	s_lshl_b64 s[6:7], s[12:13], 2
	s_add_u32 s0, s8, s6
	s_addc_u32 s1, s9, s7
	s_load_dword s30, s[0:1], 0x0
	s_load_dword s13, s[4:5], 0x48
	s_waitcnt lgkmcnt(0)
	s_cmp_lg_u32 s30, -1
	s_cbranch_scc0 .LBB47_6
; %bb.1:
	s_load_dwordx4 s[16:19], s[4:5], 0x10
	s_load_dwordx2 s[20:21], s[4:5], 0x20
	v_lshlrev_b32_e32 v12, 3, v1
	v_add_u32_e32 v11, v12, v0
	s_waitcnt lgkmcnt(0)
	s_add_u32 s0, s16, s6
	s_addc_u32 s1, s17, s7
	s_load_dword s0, s[0:1], 0x0
	s_waitcnt lgkmcnt(0)
	s_sub_i32 s31, s0, s13
	v_add_u32_e32 v2, s31, v11
	v_cmp_ge_i32_e32 vcc, s30, v2
	s_and_saveexec_b64 s[0:1], vcc
	s_cbranch_execz .LBB47_4
; %bb.2:
	v_lshlrev_b32_e32 v3, 5, v1
	v_lshlrev_b32_e32 v4, 2, v0
	s_movk_i32 s2, 0xa00
	v_add3_u32 v5, v3, v4, s2
	v_ashrrev_i32_e32 v3, 31, v2
	v_lshlrev_b64 v[3:4], 2, v[2:3]
	v_mov_b32_e32 v6, s19
	v_add_co_u32_e32 v3, vcc, s18, v3
	v_addc_co_u32_e32 v4, vcc, v6, v4, vcc
	s_mov_b64 s[2:3], 0
.LBB47_3:                               ; =>This Inner Loop Header: Depth=1
	global_load_dword v6, v[3:4], off
	v_add_co_u32_e32 v3, vcc, 0x100, v3
	v_add_u32_e32 v2, 64, v2
	v_addc_co_u32_e32 v4, vcc, 0, v4, vcc
	v_cmp_lt_i32_e32 vcc, s30, v2
	s_or_b64 s[2:3], vcc, s[2:3]
	s_waitcnt vmcnt(0)
	v_subrev_u32_e32 v6, s13, v6
	ds_write_b32 v5, v6
	v_add_u32_e32 v5, 0x100, v5
	s_andn2_b64 exec, exec, s[2:3]
	s_cbranch_execnz .LBB47_3
.LBB47_4:
	s_or_b64 exec, exec, s[0:1]
	s_movk_i32 s0, 0x48
	v_mov_b32_e32 v2, 0x6c0
	v_mad_u32_u24 v10, v1, s0, v2
	v_mov_b32_e32 v2, 0
	v_lshl_add_u32 v8, v0, 3, v10
	v_mov_b32_e32 v3, v2
	s_cmp_lt_i32 s31, s30
	ds_write_b64 v8, v[2:3]
	s_waitcnt lgkmcnt(0)
	s_cbranch_scc1 .LBB47_8
; %bb.5:
	v_lshl_add_u32 v13, v0, 3, v1
	v_or_b32_e32 v9, v0, v1
	s_load_dword s33, s[4:5], 0x0
	s_cbranch_execz .LBB47_9
	s_branch .LBB47_43
.LBB47_6:
	s_cbranch_execnz .LBB47_158
.LBB47_7:
	s_endpgm
.LBB47_8:
                                        ; implicit-def: $vgpr13
                                        ; implicit-def: $vgpr9
	s_load_dword s33, s[4:5], 0x0
.LBB47_9:
	s_waitcnt lgkmcnt(0)
	s_cmp_lg_u32 s33, 0
	s_cselect_b64 s[4:5], -1, 0
	s_cmp_eq_u32 s33, 0
	v_lshlrev_b32_e32 v14, 3, v0
	s_movk_i32 s0, 0x48
	v_mov_b32_e32 v2, 0x480
	v_mov_b32_e32 v3, 0x240
	v_add_u32_e32 v13, v14, v1
	v_mad_u32_u24 v15, v1, s0, v2
	v_mad_u32_u24 v18, v1, s0, v3
	v_or_b32_e32 v9, v0, v1
	s_cselect_b64 vcc, -1, 0
	v_add_u32_e32 v16, v15, v14
	v_mad_u32_u24 v17, v1, s0, v14
	v_add_u32_e32 v19, v18, v14
	v_mad_u32_u24 v20, v0, s0, v2
	v_cmp_ne_u32_e64 s[0:1], 0, v9
	v_cndmask_b32_e32 v21, v13, v11, vcc
	v_mov_b32_e32 v22, 0
	s_mov_b32 s22, s31
	s_branch .LBB47_11
.LBB47_10:                              ;   in Loop: Header=BB47_11 Depth=1
	ds_read_b64 v[4:5], v16
	s_add_i32 s22, s22, 1
	s_cmp_ge_i32 s22, s30
	s_cselect_b64 s[2:3], -1, 0
	s_waitcnt lgkmcnt(0)
	global_store_dwordx2 v[2:3], v[4:5], off
	s_waitcnt vmcnt(0)
	buffer_wbinvl1_vol
	s_and_b64 vcc, exec, s[2:3]
	s_cbranch_vccnz .LBB47_43
.LBB47_11:                              ; =>This Loop Header: Depth=1
                                        ;     Child Loop BB47_14 Depth 2
                                        ;     Child Loop BB47_25 Depth 2
	;; [unrolled: 1-line block ×4, first 2 shown]
                                        ;       Child Loop BB47_41 Depth 3
	s_ashr_i32 s23, s22, 31
	s_lshl_b64 s[2:3], s[22:23], 2
	s_add_u32 s2, s18, s2
	s_addc_u32 s3, s19, s3
	s_load_dword s23, s[2:3], 0x0
	s_waitcnt lgkmcnt(0)
	s_sub_i32 s24, s23, s13
	s_ashr_i32 s25, s24, 31
	s_lshl_b64 s[2:3], s[24:25], 2
	s_add_u32 s26, s8, s2
	s_addc_u32 s27, s9, s3
	s_load_dword s25, s[26:27], 0x0
	s_waitcnt lgkmcnt(0)
	s_cmp_eq_u32 s25, -1
	s_cbranch_scc1 .LBB47_42
; %bb.12:                               ;   in Loop: Header=BB47_11 Depth=1
	v_lshl_add_u32 v2, s22, 6, v21
	v_ashrrev_i32_e32 v3, 31, v2
	v_lshlrev_b64 v[2:3], 3, v[2:3]
	v_mov_b32_e32 v4, s21
	v_add_co_u32_e32 v2, vcc, s20, v2
	v_addc_co_u32_e32 v3, vcc, v4, v3, vcc
	global_load_dwordx2 v[4:5], v[2:3], off
	s_add_u32 s26, s16, s2
	s_addc_u32 s27, s17, s3
	s_load_dword s26, s[26:27], 0x0
	ds_read_b32 v6, v22 offset:2560
	s_mov_b32 s27, 0
	s_waitcnt lgkmcnt(0)
	s_sub_i32 s26, s26, s13
	s_cmp_le_i32 s26, s25
	v_cmp_ge_i32_e32 vcc, s24, v6
	s_cselect_b64 s[28:29], -1, 0
	s_and_b64 s[28:29], s[28:29], vcc
	s_andn2_b64 vcc, exec, s[28:29]
	s_waitcnt vmcnt(0)
	ds_write_b64 v16, v[4:5]
	s_cbranch_vccnz .LBB47_24
; %bb.13:                               ;   in Loop: Header=BB47_11 Depth=1
	s_mov_b32 s34, 0
	s_mov_b32 s35, 0
.LBB47_14:                              ;   Parent Loop BB47_11 Depth=1
                                        ; =>  This Inner Loop Header: Depth=2
	s_ashr_i32 s27, s26, 31
	s_lshl_b64 s[28:29], s[26:27], 2
	s_add_u32 s28, s18, s28
	s_addc_u32 s29, s19, s29
	s_load_dword s27, s[28:29], 0x0
	s_lshl_b32 s28, s35, 2
	v_mov_b32_e32 v4, s28
	ds_read_b32 v4, v4 offset:2560
	s_mov_b64 s[28:29], -1
	s_waitcnt lgkmcnt(0)
	s_sub_i32 s39, s27, s13
                                        ; implicit-def: $sgpr27
                                        ; implicit-def: $sgpr38
                                        ; implicit-def: $sgpr37
	v_cmp_ge_i32_e32 vcc, s39, v4
	v_readfirstlane_b32 s36, v4
	s_cbranch_vccz .LBB47_20
; %bb.15:                               ;   in Loop: Header=BB47_14 Depth=2
	s_cmp_le_i32 s39, s36
                                        ; implicit-def: $sgpr27
                                        ; implicit-def: $sgpr38
                                        ; implicit-def: $sgpr37
	s_cbranch_scc0 .LBB47_17
; %bb.16:                               ;   in Loop: Header=BB47_14 Depth=2
	s_add_i32 s27, s35, s31
	s_lshl_b32 s27, s27, 6
	s_lshl_b32 s28, s34, 2
	v_mov_b32_e32 v4, s28
	v_mov_b32_e32 v5, s27
	s_lshl_b32 s27, s26, 6
	v_mov_b32_e32 v6, s27
	v_add_u32_e32 v4, 0x800, v4
	ds_write2_b32 v4, v6, v5 offset0:64 offset1:96
	s_add_i32 s37, s35, 1
	s_add_i32 s38, s26, 1
	;; [unrolled: 1-line block ×3, first 2 shown]
	s_mov_b64 s[28:29], 0
.LBB47_17:                              ;   in Loop: Header=BB47_14 Depth=2
	s_andn2_b64 vcc, exec, s[28:29]
	s_cbranch_vccnz .LBB47_19
; %bb.18:                               ;   in Loop: Header=BB47_14 Depth=2
	s_add_i32 s37, s35, 1
	s_mov_b32 s27, s34
	s_mov_b32 s38, s26
.LBB47_19:                              ;   in Loop: Header=BB47_14 Depth=2
	s_mov_b64 s[28:29], 0
.LBB47_20:                              ;   in Loop: Header=BB47_14 Depth=2
	s_andn2_b64 vcc, exec, s[28:29]
	s_cbranch_vccnz .LBB47_22
; %bb.21:                               ;   in Loop: Header=BB47_14 Depth=2
	s_add_i32 s38, s26, 1
	s_mov_b32 s37, s35
	s_mov_b32 s27, s34
.LBB47_22:                              ;   in Loop: Header=BB47_14 Depth=2
	s_cmp_le_i32 s38, s25
	s_cselect_b64 s[28:29], -1, 0
	s_cmp_le_i32 s36, s24
	s_cselect_b64 s[34:35], -1, 0
	s_and_b64 s[28:29], s[28:29], s[34:35]
	s_and_b64 vcc, exec, s[28:29]
	s_cbranch_vccz .LBB47_24
; %bb.23:                               ;   in Loop: Header=BB47_14 Depth=2
	s_mov_b32 s34, s27
	s_mov_b32 s26, s38
	;; [unrolled: 1-line block ×3, first 2 shown]
	s_branch .LBB47_14
.LBB47_24:                              ;   in Loop: Header=BB47_11 Depth=1
	s_add_u32 s2, s10, s2
	s_addc_u32 s3, s11, s3
	s_waitcnt lgkmcnt(0)
.LBB47_25:                              ;   Parent Loop BB47_11 Depth=1
                                        ; =>  This Inner Loop Header: Depth=2
	global_load_dword v4, v22, s[2:3] glc
	s_waitcnt vmcnt(0)
	v_cmp_eq_u32_e32 vcc, 0, v4
	s_cbranch_vccnz .LBB47_25
; %bb.26:                               ;   in Loop: Header=BB47_11 Depth=1
	v_lshl_add_u32 v4, s25, 6, v21
	v_ashrrev_i32_e32 v5, 31, v4
	v_lshlrev_b64 v[4:5], 3, v[4:5]
	v_mov_b32_e32 v6, s21
	v_add_co_u32_e32 v4, vcc, s20, v4
	v_addc_co_u32_e32 v5, vcc, v6, v5, vcc
	buffer_wbinvl1_vol
	global_load_dwordx2 v[4:5], v[4:5], off
	v_mov_b32_e32 v7, 0
	s_cmp_lt_i32 s27, 2
	v_mov_b32_e32 v6, 0
	s_waitcnt vmcnt(0)
	ds_write_b64 v17, v[4:5]
	s_waitcnt lgkmcnt(0)
	s_cbranch_scc1 .LBB47_34
; %bb.27:                               ;   in Loop: Header=BB47_11 Depth=1
	s_add_i32 s24, s27, -1
	v_mov_b32_e32 v24, 0
	s_movk_i32 s25, 0x900
	v_mov_b32_e32 v23, 0
.LBB47_28:                              ;   Parent Loop BB47_11 Depth=1
                                        ; =>  This Inner Loop Header: Depth=2
	s_waitcnt lgkmcnt(0)
	v_mov_b32_e32 v4, s25
	ds_read2_b32 v[4:5], v4 offset1:32
	s_mov_b64 s[2:3], -1
	s_and_b64 vcc, exec, s[4:5]
                                        ; implicit-def: $vgpr7
	s_cbranch_vccz .LBB47_31
; %bb.29:                               ;   in Loop: Header=BB47_28 Depth=2
	s_waitcnt lgkmcnt(0)
	v_add_u32_e32 v6, v4, v0
	v_ashrrev_i32_e32 v7, 31, v6
	v_lshlrev_b64 v[25:26], 3, v[6:7]
	v_add_u32_e32 v27, v5, v1
	v_ashrrev_i32_e32 v28, 31, v27
	v_mov_b32_e32 v7, s21
	v_add_co_u32_e32 v25, vcc, s20, v25
	v_lshlrev_b64 v[28:29], 3, v[27:28]
	v_add_u32_e32 v30, 8, v6
	v_addc_co_u32_e32 v26, vcc, v7, v26, vcc
	v_ashrrev_i32_e32 v31, 31, v30
	v_add_co_u32_e32 v28, vcc, s20, v28
	v_lshlrev_b64 v[30:31], 3, v[30:31]
	v_add_u32_e32 v32, 8, v27
	v_addc_co_u32_e32 v29, vcc, v7, v29, vcc
	v_ashrrev_i32_e32 v33, 31, v32
	v_add_co_u32_e32 v30, vcc, s20, v30
	v_lshlrev_b64 v[32:33], 3, v[32:33]
	v_addc_co_u32_e32 v31, vcc, v7, v31, vcc
	v_add_co_u32_e32 v32, vcc, s20, v32
	v_addc_co_u32_e32 v33, vcc, v7, v33, vcc
	global_load_dwordx2 v[34:35], v[25:26], off
	global_load_dwordx2 v[36:37], v[28:29], off
	global_load_dwordx2 v[38:39], v[30:31], off
	global_load_dwordx2 v[40:41], v[32:33], off
	v_add_u32_e32 v25, 16, v6
	v_ashrrev_i32_e32 v26, 31, v25
	v_lshlrev_b64 v[25:26], 3, v[25:26]
	v_add_u32_e32 v28, 16, v27
	v_ashrrev_i32_e32 v29, 31, v28
	v_add_co_u32_e32 v25, vcc, s20, v25
	v_lshlrev_b64 v[28:29], 3, v[28:29]
	v_add_u32_e32 v30, 24, v6
	v_addc_co_u32_e32 v26, vcc, v7, v26, vcc
	v_ashrrev_i32_e32 v31, 31, v30
	v_add_co_u32_e32 v28, vcc, s20, v28
	v_lshlrev_b64 v[30:31], 3, v[30:31]
	v_add_u32_e32 v32, 24, v27
	v_addc_co_u32_e32 v29, vcc, v7, v29, vcc
	v_ashrrev_i32_e32 v33, 31, v32
	v_add_co_u32_e32 v30, vcc, s20, v30
	v_lshlrev_b64 v[32:33], 3, v[32:33]
	v_addc_co_u32_e32 v31, vcc, v7, v31, vcc
	v_add_co_u32_e32 v32, vcc, s20, v32
	v_addc_co_u32_e32 v33, vcc, v7, v33, vcc
	global_load_dwordx2 v[42:43], v[25:26], off
	global_load_dwordx2 v[44:45], v[28:29], off
	global_load_dwordx2 v[46:47], v[30:31], off
	global_load_dwordx2 v[48:49], v[32:33], off
	v_add_u32_e32 v25, 32, v6
	v_ashrrev_i32_e32 v26, 31, v25
	v_lshlrev_b64 v[25:26], 3, v[25:26]
	v_add_u32_e32 v28, 32, v27
	v_ashrrev_i32_e32 v29, 31, v28
	;; [unrolled: 24-line block ×3, first 2 shown]
	v_add_co_u32_e32 v25, vcc, s20, v25
	v_lshlrev_b64 v[28:29], 3, v[28:29]
	v_addc_co_u32_e32 v26, vcc, v7, v26, vcc
	v_add_co_u32_e32 v28, vcc, s20, v28
	v_add_u32_e32 v6, 56, v6
	v_addc_co_u32_e32 v29, vcc, v7, v29, vcc
	v_ashrrev_i32_e32 v7, 31, v6
	v_lshlrev_b64 v[6:7], 3, v[6:7]
	global_load_dwordx2 v[30:31], v[25:26], off
	global_load_dwordx2 v[32:33], v[28:29], off
	v_mov_b32_e32 v25, s21
	v_add_co_u32_e32 v6, vcc, s20, v6
	v_addc_co_u32_e32 v7, vcc, v25, v7, vcc
	v_add_u32_e32 v25, 56, v27
	v_ashrrev_i32_e32 v26, 31, v25
	v_lshlrev_b64 v[25:26], 3, v[25:26]
	v_mov_b32_e32 v27, s21
	v_add_co_u32_e32 v25, vcc, s20, v25
	v_addc_co_u32_e32 v26, vcc, v27, v26, vcc
	global_load_dwordx2 v[27:28], v[6:7], off
	global_load_dwordx2 v[58:59], v[25:26], off
	s_waitcnt vmcnt(14)
	v_fma_f32 v6, v34, v36, v23
	v_fma_f32 v7, v35, v36, v24
	v_fmac_f32_e32 v6, v35, v37
	v_fma_f32 v7, v34, -v37, v7
	s_waitcnt vmcnt(12)
	v_fmac_f32_e32 v6, v38, v40
	v_fmac_f32_e32 v7, v39, v40
	v_fmac_f32_e32 v6, v39, v41
	v_fma_f32 v7, v38, -v41, v7
	s_waitcnt vmcnt(10)
	v_fmac_f32_e32 v6, v42, v44
	v_fmac_f32_e32 v7, v43, v44
	;; [unrolled: 5-line block ×7, first 2 shown]
	v_fmac_f32_e32 v6, v28, v59
	v_fma_f32 v7, v27, -v59, v7
	s_cbranch_execz .LBB47_32
.LBB47_30:                              ;   in Loop: Header=BB47_28 Depth=2
	s_add_i32 s24, s24, -1
	s_add_i32 s25, s25, 4
	s_cmp_eq_u32 s24, 0
	s_cbranch_scc0 .LBB47_33
	s_branch .LBB47_34
.LBB47_31:                              ;   in Loop: Header=BB47_28 Depth=2
	s_andn2_b64 vcc, exec, s[2:3]
	s_cbranch_vccnz .LBB47_30
.LBB47_32:                              ;   in Loop: Header=BB47_28 Depth=2
	s_waitcnt lgkmcnt(0)
	v_add_u32_e32 v6, v4, v14
	v_ashrrev_i32_e32 v7, 31, v6
	v_lshlrev_b64 v[6:7], 3, v[6:7]
	v_mov_b32_e32 v4, s21
	v_add_co_u32_e32 v53, vcc, s20, v6
	v_addc_co_u32_e32 v54, vcc, v4, v7, vcc
	v_add_u32_e32 v4, v5, v12
	v_ashrrev_i32_e32 v5, 31, v4
	v_lshlrev_b64 v[4:5], 3, v[4:5]
	v_mov_b32_e32 v6, s21
	v_add_co_u32_e32 v55, vcc, s20, v4
	v_addc_co_u32_e32 v56, vcc, v6, v5, vcc
	global_load_dwordx4 v[4:7], v[55:56], off
	global_load_dwordx4 v[25:28], v[53:54], off
	global_load_dwordx4 v[29:32], v[53:54], off offset:16
	global_load_dwordx4 v[33:36], v[55:56], off offset:16
	;; [unrolled: 1-line block ×6, first 2 shown]
	s_waitcnt vmcnt(6)
	v_fmac_f32_e32 v23, v25, v4
	v_fmac_f32_e32 v24, v26, v4
	v_fmac_f32_e32 v23, v26, v5
	v_fma_f32 v4, v25, -v5, v24
	v_fmac_f32_e32 v23, v27, v6
	v_fmac_f32_e32 v4, v28, v6
	v_fmac_f32_e32 v23, v28, v7
	v_fma_f32 v4, v27, -v7, v4
	s_waitcnt vmcnt(4)
	v_fmac_f32_e32 v23, v29, v33
	v_fmac_f32_e32 v4, v30, v33
	v_fmac_f32_e32 v23, v30, v34
	v_fma_f32 v4, v29, -v34, v4
	v_fmac_f32_e32 v23, v31, v35
	v_fmac_f32_e32 v4, v32, v35
	v_fmac_f32_e32 v23, v32, v36
	v_fma_f32 v4, v31, -v36, v4
	;; [unrolled: 9-line block ×4, first 2 shown]
	v_mov_b32_e32 v6, v23
	s_add_i32 s24, s24, -1
	s_add_i32 s25, s25, 4
	s_cmp_eq_u32 s24, 0
	s_cbranch_scc1 .LBB47_34
.LBB47_33:                              ;   in Loop: Header=BB47_28 Depth=2
	v_mov_b32_e32 v24, v7
	v_mov_b32_e32 v23, v6
	s_branch .LBB47_28
.LBB47_34:                              ;   in Loop: Header=BB47_11 Depth=1
	s_mov_b32 s26, 0
	s_mov_b32 s27, 0
	ds_write_b64 v19, v[6:7]
	s_waitcnt lgkmcnt(0)
	s_branch .LBB47_36
.LBB47_35:                              ;   in Loop: Header=BB47_36 Depth=2
	v_mul_f32_e32 v26, v25, v25
	v_fmac_f32_e32 v26, v24, v24
	v_div_scale_f32 v27, s[2:3], v26, v26, 1.0
	v_div_scale_f32 v28, vcc, 1.0, v26, 1.0
	s_waitcnt lgkmcnt(0)
	v_sub_f32_e32 v4, v4, v6
	v_sub_f32_e32 v5, v5, v7
	v_mul_f32_e32 v7, v25, v5
	v_mul_f32_e64 v25, v25, -v4
	v_fmac_f32_e32 v7, v4, v24
	v_fmac_f32_e32 v25, v5, v24
	v_lshl_add_u32 v6, s27, 3, v20
	s_add_i32 s27, s27, 1
	s_addk_i32 s26, 0x48
	s_cmp_eq_u32 s27, 8
	v_rcp_f32_e32 v29, v27
	v_fma_f32 v30, -v27, v29, 1.0
	v_fmac_f32_e32 v29, v30, v29
	v_mul_f32_e32 v30, v28, v29
	v_fma_f32 v31, -v27, v30, v28
	v_fmac_f32_e32 v30, v31, v29
	v_fma_f32 v27, -v27, v30, v28
	v_div_fmas_f32 v27, v27, v29, v30
	v_div_fixup_f32 v5, v27, v26, 1.0
	v_mul_f32_e32 v4, v5, v7
	v_mul_f32_e32 v5, v5, v25
	ds_write_b64 v23, v[4:5]
	s_waitcnt lgkmcnt(0)
	ds_read_b64 v[6:7], v6
	ds_read_b64 v[23:24], v8
	s_waitcnt lgkmcnt(0)
	v_fma_f32 v23, v4, v6, v23
	v_fmac_f32_e32 v24, v5, v6
	v_fmac_f32_e32 v23, v5, v7
	v_fma_f32 v24, v4, -v7, v24
	ds_write_b64 v8, v[23:24]
	s_waitcnt lgkmcnt(0)
	s_cbranch_scc1 .LBB47_10
.LBB47_36:                              ;   Parent Loop BB47_11 Depth=1
                                        ; =>  This Loop Header: Depth=2
                                        ;       Child Loop BB47_41 Depth 3
	s_lshl_b32 s2, s27, 3
	s_mul_i32 s3, s27, 0x48
	s_add_i32 s3, s3, s2
	v_mov_b32_e32 v4, s3
	ds_read_b64 v[6:7], v4
	v_add_u32_e32 v23, s2, v15
	ds_read_b64 v[4:5], v23
	s_waitcnt lgkmcnt(1)
	v_cmp_neq_f32_e32 vcc, 0, v6
	v_cmp_neq_f32_e64 s[2:3], 0, v7
	s_or_b64 vcc, vcc, s[2:3]
	v_cndmask_b32_e32 v24, 1.0, v6, vcc
	s_nor_b64 s[24:25], vcc, s[0:1]
	v_cndmask_b32_e32 v25, 0, v7, vcc
	s_and_saveexec_b64 s[2:3], s[24:25]
	s_cbranch_execz .LBB47_40
; %bb.37:                               ;   in Loop: Header=BB47_36 Depth=2
	v_mbcnt_lo_u32_b32 v6, exec_lo, 0
	v_mbcnt_hi_u32_b32 v6, exec_hi, v6
	v_cmp_eq_u32_e32 vcc, 0, v6
	s_and_saveexec_b64 s[24:25], vcc
	s_cbranch_execz .LBB47_39
; %bb.38:                               ;   in Loop: Header=BB47_36 Depth=2
	v_mov_b32_e32 v6, s23
	global_atomic_smin v22, v6, s[14:15]
.LBB47_39:                              ;   in Loop: Header=BB47_36 Depth=2
	s_or_b64 exec, exec, s[24:25]
	v_mov_b32_e32 v25, 0
	v_mov_b32_e32 v24, 1.0
.LBB47_40:                              ;   in Loop: Header=BB47_36 Depth=2
	s_or_b64 exec, exec, s[2:3]
	v_lshl_add_u32 v6, s27, 3, v18
	ds_read_b64 v[6:7], v6
	s_cmp_eq_u32 s27, 0
	v_mov_b32_e32 v26, v15
	s_mov_b32 s2, s26
	s_mov_b32 s3, s27
	s_cbranch_scc1 .LBB47_35
.LBB47_41:                              ;   Parent Loop BB47_11 Depth=1
                                        ;     Parent Loop BB47_36 Depth=2
                                        ; =>    This Inner Loop Header: Depth=3
	v_mov_b32_e32 v29, s2
	ds_read_b64 v[27:28], v26
	ds_read_b64 v[29:30], v29
	s_add_i32 s3, s3, -1
	s_add_i32 s2, s2, 8
	v_add_u32_e32 v26, 8, v26
	s_cmp_eq_u32 s3, 0
	s_waitcnt lgkmcnt(0)
	v_fmac_f32_e32 v6, v29, v27
	v_fmac_f32_e32 v7, v30, v27
	v_fmac_f32_e32 v6, v30, v28
	v_fma_f32 v7, v29, -v28, v7
	s_cbranch_scc0 .LBB47_41
	s_branch .LBB47_35
.LBB47_42:                              ;   in Loop: Header=BB47_11 Depth=1
                                        ; implicit-def: $sgpr22
	s_cbranch_execz .LBB47_11
.LBB47_43:
	s_waitcnt lgkmcnt(0)
	s_cmp_eq_u32 s33, 0
	s_cselect_b64 vcc, -1, 0
	v_cndmask_b32_e32 v2, v13, v11, vcc
	v_lshl_add_u32 v2, s30, 6, v2
	v_ashrrev_i32_e32 v3, 31, v2
	v_lshlrev_b64 v[2:3], 3, v[2:3]
	v_mov_b32_e32 v4, s21
	v_add_co_u32_e32 v2, vcc, s20, v2
	v_addc_co_u32_e32 v3, vcc, v4, v3, vcc
	global_load_dwordx2 v[6:7], v[2:3], off
	s_movk_i32 s0, 0x48
	v_mov_b32_e32 v4, 0x480
	v_mad_u32_u24 v5, v1, s0, v4
	v_cmp_ne_u32_e64 s[2:3], 0, v1
	v_lshl_add_u32 v4, v0, 3, v5
	v_cmp_eq_u32_e32 vcc, 0, v1
	s_waitcnt vmcnt(0)
	ds_write_b64 v4, v[6:7]
	s_waitcnt lgkmcnt(0)
	s_and_saveexec_b64 s[4:5], vcc
	s_cbranch_execz .LBB47_51
; %bb.44:
	v_mov_b32_e32 v11, 0
	ds_read2_b64 v[12:15], v11 offset0:144 offset1:216
	s_waitcnt lgkmcnt(0)
	v_sub_f32_e32 v6, v12, v14
	v_sub_f32_e32 v12, v13, v15
	v_cmp_gt_f32_e32 vcc, 0, v6
	v_cndmask_b32_e64 v6, v6, -v6, vcc
	v_cmp_gt_f32_e32 vcc, 0, v12
	v_cndmask_b32_e64 v7, v12, -v12, vcc
	v_cmp_ngt_f32_e32 vcc, v6, v7
	s_cbranch_vccz .LBB47_48
; %bb.45:
	v_cmp_eq_f32_e32 vcc, 0, v12
	s_cbranch_vccnz .LBB47_47
; %bb.46:
	v_div_scale_f32 v11, s[0:1], v7, v7, v6
	v_div_scale_f32 v12, vcc, v6, v7, v6
	s_mov_b32 s0, 0xf800000
	v_rcp_f32_e32 v13, v11
	v_fma_f32 v14, -v11, v13, 1.0
	v_fmac_f32_e32 v13, v14, v13
	v_mul_f32_e32 v14, v12, v13
	v_fma_f32 v15, -v11, v14, v12
	v_fmac_f32_e32 v14, v15, v13
	v_fma_f32 v11, -v11, v14, v12
	v_div_fmas_f32 v11, v11, v13, v14
	v_mov_b32_e32 v13, 0x260
	v_div_fixup_f32 v11, v11, v7, v6
	v_fma_f32 v11, v11, v11, 1.0
	v_mul_f32_e32 v12, 0x4f800000, v11
	v_cmp_gt_f32_e32 vcc, s0, v11
	v_cndmask_b32_e32 v11, v11, v12, vcc
	v_sqrt_f32_e32 v12, v11
	v_add_u32_e32 v14, -1, v12
	v_add_u32_e32 v15, 1, v12
	v_fma_f32 v16, -v14, v12, v11
	v_fma_f32 v17, -v15, v12, v11
	v_cmp_ge_f32_e64 s[0:1], 0, v16
	v_cndmask_b32_e64 v12, v12, v14, s[0:1]
	v_cmp_lt_f32_e64 s[0:1], 0, v17
	v_cndmask_b32_e64 v12, v12, v15, s[0:1]
	v_mul_f32_e32 v14, 0x37800000, v12
	v_cndmask_b32_e32 v12, v12, v14, vcc
	v_cmp_class_f32_e32 vcc, v11, v13
	v_cndmask_b32_e32 v11, v12, v11, vcc
	v_mul_f32_e32 v11, v7, v11
.LBB47_47:
	s_cbranch_execz .LBB47_49
	s_branch .LBB47_50
.LBB47_48:
                                        ; implicit-def: $vgpr11
.LBB47_49:
	v_div_scale_f32 v11, s[0:1], v6, v6, v7
	v_div_scale_f32 v12, vcc, v7, v6, v7
	s_mov_b32 s0, 0xf800000
	v_rcp_f32_e32 v13, v11
	v_fma_f32 v14, -v11, v13, 1.0
	v_fmac_f32_e32 v13, v14, v13
	v_mul_f32_e32 v14, v12, v13
	v_fma_f32 v15, -v11, v14, v12
	v_fmac_f32_e32 v14, v15, v13
	v_fma_f32 v11, -v11, v14, v12
	v_div_fmas_f32 v11, v11, v13, v14
	v_mov_b32_e32 v12, 0x260
	v_div_fixup_f32 v7, v11, v6, v7
	v_fma_f32 v7, v7, v7, 1.0
	v_mul_f32_e32 v11, 0x4f800000, v7
	v_cmp_gt_f32_e32 vcc, s0, v7
	v_cndmask_b32_e32 v7, v7, v11, vcc
	v_sqrt_f32_e32 v11, v7
	v_add_u32_e32 v13, -1, v11
	v_add_u32_e32 v14, 1, v11
	v_fma_f32 v15, -v13, v11, v7
	v_fma_f32 v16, -v14, v11, v7
	v_cmp_ge_f32_e64 s[0:1], 0, v15
	v_cndmask_b32_e64 v11, v11, v13, s[0:1]
	v_cmp_lt_f32_e64 s[0:1], 0, v16
	v_cndmask_b32_e64 v11, v11, v14, s[0:1]
	v_mul_f32_e32 v13, 0x37800000, v11
	v_cndmask_b32_e32 v11, v11, v13, vcc
	v_cmp_class_f32_e32 vcc, v7, v12
	v_cndmask_b32_e32 v7, v11, v7, vcc
	v_mul_f32_e32 v11, v6, v7
.LBB47_50:
	s_mov_b32 s0, 0xf800000
	v_mul_f32_e32 v6, 0x4f800000, v11
	v_cmp_gt_f32_e32 vcc, s0, v11
	v_cndmask_b32_e32 v6, v11, v6, vcc
	v_sqrt_f32_e32 v7, v6
	v_add_u32_e32 v11, -1, v7
	v_fma_f32 v12, -v11, v7, v6
	v_cmp_ge_f32_e64 s[0:1], 0, v12
	v_add_u32_e32 v12, 1, v7
	v_cndmask_b32_e64 v11, v7, v11, s[0:1]
	v_fma_f32 v7, -v12, v7, v6
	v_cmp_lt_f32_e64 s[0:1], 0, v7
	v_cndmask_b32_e64 v7, v11, v12, s[0:1]
	v_mul_f32_e32 v11, 0x37800000, v7
	v_cndmask_b32_e32 v7, v7, v11, vcc
	v_mov_b32_e32 v11, 0x260
	v_cmp_class_f32_e32 vcc, v6, v11
	v_cndmask_b32_e32 v6, v7, v6, vcc
	v_mov_b32_e32 v7, 0
	ds_write_b64 v7, v[6:7] offset:1152
.LBB47_51:
	s_or_b64 exec, exec, s[4:5]
	v_mov_b32_e32 v6, 0
	s_waitcnt lgkmcnt(0)
	ds_read_b64 v[11:12], v6 offset:1152
	v_cmp_ne_u32_e64 s[0:1], 0, v9
	s_add_i32 s16, s12, s13
	s_waitcnt lgkmcnt(0)
	v_cmp_neq_f32_e32 vcc, 0, v11
	v_cmp_neq_f32_e64 s[4:5], 0, v12
	s_or_b64 vcc, vcc, s[4:5]
	v_cndmask_b32_e32 v7, 1.0, v11, vcc
	s_nor_b64 s[8:9], vcc, s[0:1]
	v_cndmask_b32_e32 v11, 0, v12, vcc
	s_and_saveexec_b64 s[4:5], s[8:9]
	s_cbranch_execz .LBB47_55
; %bb.52:
	v_mbcnt_lo_u32_b32 v6, exec_lo, 0
	v_mbcnt_hi_u32_b32 v6, exec_hi, v6
	v_cmp_eq_u32_e32 vcc, 0, v6
	s_and_saveexec_b64 s[8:9], vcc
	s_cbranch_execz .LBB47_54
; %bb.53:
	v_mov_b32_e32 v6, 0
	v_mov_b32_e32 v7, s16
	global_atomic_smin v6, v7, s[14:15]
.LBB47_54:
	s_or_b64 exec, exec, s[8:9]
	v_mov_b32_e32 v11, 0
	v_mov_b32_e32 v7, 1.0
.LBB47_55:
	s_or_b64 exec, exec, s[4:5]
	s_movk_i32 s4, 0x48
	v_mov_b32_e32 v6, 0x480
	v_mad_u32_u24 v6, v0, s4, v6
	s_and_saveexec_b64 s[4:5], s[2:3]
	s_cbranch_execz .LBB47_57
; %bb.56:
	v_mul_f32_e32 v16, v11, v11
	v_fmac_f32_e32 v16, v7, v7
	v_div_scale_f32 v12, s[2:3], v16, v16, 1.0
	v_div_scale_f32 v13, vcc, 1.0, v16, 1.0
	v_rcp_f32_e32 v14, v12
	v_fma_f32 v15, -v12, v14, 1.0
	v_fmac_f32_e32 v14, v15, v14
	v_mul_f32_e32 v15, v13, v14
	v_fma_f32 v17, -v12, v15, v13
	v_fmac_f32_e32 v15, v17, v14
	v_fma_f32 v12, -v12, v15, v13
	v_div_fmas_f32 v17, v12, v14, v15
	ds_read_b64 v[12:13], v5
	ds_read_b64 v[14:15], v10
	s_waitcnt lgkmcnt(0)
	v_sub_f32_e32 v12, v12, v14
	v_sub_f32_e32 v13, v13, v15
	v_mul_f32_e32 v14, v11, v13
	v_mul_f32_e64 v15, v11, -v12
	v_fmac_f32_e32 v14, v12, v7
	v_fmac_f32_e32 v15, v13, v7
	v_div_fixup_f32 v7, v17, v16, 1.0
	v_mul_f32_e32 v11, v7, v14
	v_mul_f32_e32 v12, v7, v15
	ds_write_b64 v5, v[11:12]
	s_waitcnt lgkmcnt(0)
	ds_read_b64 v[13:14], v6
	ds_read_b64 v[15:16], v8
	s_waitcnt lgkmcnt(0)
	v_fma_f32 v15, v11, v13, v15
	v_fmac_f32_e32 v16, v12, v13
	v_fmac_f32_e32 v15, v12, v14
	v_fma_f32 v16, v11, -v14, v16
	ds_write_b64 v8, v[15:16]
.LBB47_57:
	s_or_b64 exec, exec, s[4:5]
	v_cmp_eq_u32_e32 vcc, 1, v1
	s_waitcnt lgkmcnt(0)
	s_and_saveexec_b64 s[4:5], vcc
	s_cbranch_execz .LBB47_65
; %bb.58:
	v_mov_b32_e32 v12, 0
	ds_read2_b64 v[13:16], v12 offset0:154 offset1:226
	s_waitcnt lgkmcnt(0)
	v_sub_f32_e32 v7, v13, v15
	v_sub_f32_e32 v13, v14, v16
	v_cmp_gt_f32_e32 vcc, 0, v7
	v_cndmask_b32_e64 v7, v7, -v7, vcc
	v_cmp_gt_f32_e32 vcc, 0, v13
	v_cndmask_b32_e64 v11, v13, -v13, vcc
	v_cmp_gt_f32_e32 vcc, v7, v11
	s_cbranch_vccnz .LBB47_62
; %bb.59:
	v_cmp_eq_f32_e32 vcc, 0, v13
	s_cbranch_vccnz .LBB47_61
; %bb.60:
	v_div_scale_f32 v12, s[2:3], v11, v11, v7
	v_div_scale_f32 v13, vcc, v7, v11, v7
	s_mov_b32 s2, 0xf800000
	v_rcp_f32_e32 v14, v12
	v_fma_f32 v15, -v12, v14, 1.0
	v_fmac_f32_e32 v14, v15, v14
	v_mul_f32_e32 v15, v13, v14
	v_fma_f32 v16, -v12, v15, v13
	v_fmac_f32_e32 v15, v16, v14
	v_fma_f32 v12, -v12, v15, v13
	v_div_fmas_f32 v12, v12, v14, v15
	v_mov_b32_e32 v14, 0x260
	v_div_fixup_f32 v12, v12, v11, v7
	v_fma_f32 v12, v12, v12, 1.0
	v_mul_f32_e32 v13, 0x4f800000, v12
	v_cmp_gt_f32_e32 vcc, s2, v12
	v_cndmask_b32_e32 v12, v12, v13, vcc
	v_sqrt_f32_e32 v13, v12
	v_add_u32_e32 v15, -1, v13
	v_add_u32_e32 v16, 1, v13
	v_fma_f32 v17, -v15, v13, v12
	v_fma_f32 v18, -v16, v13, v12
	v_cmp_ge_f32_e64 s[2:3], 0, v17
	v_cndmask_b32_e64 v13, v13, v15, s[2:3]
	v_cmp_lt_f32_e64 s[2:3], 0, v18
	v_cndmask_b32_e64 v13, v13, v16, s[2:3]
	v_mul_f32_e32 v15, 0x37800000, v13
	v_cndmask_b32_e32 v13, v13, v15, vcc
	v_cmp_class_f32_e32 vcc, v12, v14
	v_cndmask_b32_e32 v12, v13, v12, vcc
	v_mul_f32_e32 v12, v11, v12
.LBB47_61:
	s_cbranch_execz .LBB47_63
	s_branch .LBB47_64
.LBB47_62:
                                        ; implicit-def: $vgpr12
.LBB47_63:
	v_div_scale_f32 v12, s[2:3], v7, v7, v11
	v_div_scale_f32 v13, vcc, v11, v7, v11
	s_mov_b32 s2, 0xf800000
	v_rcp_f32_e32 v14, v12
	v_fma_f32 v15, -v12, v14, 1.0
	v_fmac_f32_e32 v14, v15, v14
	v_mul_f32_e32 v15, v13, v14
	v_fma_f32 v16, -v12, v15, v13
	v_fmac_f32_e32 v15, v16, v14
	v_fma_f32 v12, -v12, v15, v13
	v_div_fmas_f32 v12, v12, v14, v15
	v_mov_b32_e32 v13, 0x260
	v_div_fixup_f32 v11, v12, v7, v11
	v_fma_f32 v11, v11, v11, 1.0
	v_mul_f32_e32 v12, 0x4f800000, v11
	v_cmp_gt_f32_e32 vcc, s2, v11
	v_cndmask_b32_e32 v11, v11, v12, vcc
	v_sqrt_f32_e32 v12, v11
	v_add_u32_e32 v14, -1, v12
	v_add_u32_e32 v15, 1, v12
	v_fma_f32 v16, -v14, v12, v11
	v_fma_f32 v17, -v15, v12, v11
	v_cmp_ge_f32_e64 s[2:3], 0, v16
	v_cndmask_b32_e64 v12, v12, v14, s[2:3]
	v_cmp_lt_f32_e64 s[2:3], 0, v17
	v_cndmask_b32_e64 v12, v12, v15, s[2:3]
	v_mul_f32_e32 v14, 0x37800000, v12
	v_cndmask_b32_e32 v12, v12, v14, vcc
	v_cmp_class_f32_e32 vcc, v11, v13
	v_cndmask_b32_e32 v11, v12, v11, vcc
	v_mul_f32_e32 v12, v7, v11
.LBB47_64:
	s_mov_b32 s2, 0xf800000
	v_mul_f32_e32 v7, 0x4f800000, v12
	v_cmp_gt_f32_e32 vcc, s2, v12
	v_cndmask_b32_e32 v7, v12, v7, vcc
	v_sqrt_f32_e32 v11, v7
	v_add_u32_e32 v12, -1, v11
	v_fma_f32 v13, -v12, v11, v7
	v_cmp_ge_f32_e64 s[2:3], 0, v13
	v_add_u32_e32 v13, 1, v11
	v_cndmask_b32_e64 v12, v11, v12, s[2:3]
	v_fma_f32 v11, -v13, v11, v7
	v_cmp_lt_f32_e64 s[2:3], 0, v11
	v_cndmask_b32_e64 v11, v12, v13, s[2:3]
	v_mul_f32_e32 v12, 0x37800000, v11
	v_cndmask_b32_e32 v11, v11, v12, vcc
	v_mov_b32_e32 v12, 0x260
	v_cmp_class_f32_e32 vcc, v7, v12
	v_cndmask_b32_e32 v11, v11, v7, vcc
	v_mov_b32_e32 v12, 0
	ds_write_b64 v12, v[11:12] offset:1232
.LBB47_65:
	s_or_b64 exec, exec, s[4:5]
	v_mov_b32_e32 v7, 0
	s_waitcnt lgkmcnt(0)
	ds_read_b64 v[11:12], v7 offset:1232
	s_waitcnt lgkmcnt(0)
	v_cmp_neq_f32_e32 vcc, 0, v11
	v_cmp_neq_f32_e64 s[2:3], 0, v12
	s_or_b64 vcc, vcc, s[2:3]
	v_cndmask_b32_e32 v7, 1.0, v11, vcc
	s_nor_b64 s[4:5], vcc, s[0:1]
	v_cndmask_b32_e32 v11, 0, v12, vcc
	s_and_saveexec_b64 s[2:3], s[4:5]
	s_cbranch_execz .LBB47_69
; %bb.66:
	v_mbcnt_lo_u32_b32 v7, exec_lo, 0
	v_mbcnt_hi_u32_b32 v7, exec_hi, v7
	v_cmp_eq_u32_e32 vcc, 0, v7
	s_and_saveexec_b64 s[4:5], vcc
	s_cbranch_execz .LBB47_68
; %bb.67:
	v_mov_b32_e32 v7, 0
	v_mov_b32_e32 v11, s16
	global_atomic_smin v7, v11, s[14:15]
.LBB47_68:
	s_or_b64 exec, exec, s[4:5]
	v_mov_b32_e32 v11, 0
	v_mov_b32_e32 v7, 1.0
.LBB47_69:
	s_or_b64 exec, exec, s[2:3]
	v_cmp_lt_u32_e32 vcc, 1, v1
	s_and_saveexec_b64 s[2:3], vcc
	s_cbranch_execz .LBB47_71
; %bb.70:
	v_mul_f32_e32 v16, v11, v11
	v_fmac_f32_e32 v16, v7, v7
	v_div_scale_f32 v12, s[4:5], v16, v16, 1.0
	v_div_scale_f32 v13, vcc, 1.0, v16, 1.0
	v_rcp_f32_e32 v14, v12
	v_fma_f32 v15, -v12, v14, 1.0
	v_fmac_f32_e32 v14, v15, v14
	v_mul_f32_e32 v15, v13, v14
	v_fma_f32 v17, -v12, v15, v13
	v_fmac_f32_e32 v15, v17, v14
	v_fma_f32 v12, -v12, v15, v13
	v_div_fmas_f32 v17, v12, v14, v15
	ds_read_b64 v[12:13], v5 offset:8
	ds_read_b64 v[14:15], v10 offset:8
	s_waitcnt lgkmcnt(0)
	v_sub_f32_e32 v12, v12, v14
	v_sub_f32_e32 v13, v13, v15
	v_mul_f32_e32 v14, v11, v13
	v_mul_f32_e64 v15, v11, -v12
	v_fmac_f32_e32 v14, v12, v7
	v_fmac_f32_e32 v15, v13, v7
	v_div_fixup_f32 v7, v17, v16, 1.0
	v_mul_f32_e32 v11, v7, v14
	v_mul_f32_e32 v12, v7, v15
	ds_write_b64 v5, v[11:12] offset:8
	s_waitcnt lgkmcnt(0)
	ds_read_b64 v[13:14], v6 offset:8
	ds_read_b64 v[15:16], v8
	s_waitcnt lgkmcnt(0)
	v_fma_f32 v15, v11, v13, v15
	v_fmac_f32_e32 v16, v12, v13
	v_fmac_f32_e32 v15, v12, v14
	v_fma_f32 v16, v11, -v14, v16
	ds_write_b64 v8, v[15:16]
.LBB47_71:
	s_or_b64 exec, exec, s[2:3]
	v_cmp_eq_u32_e32 vcc, 2, v1
	s_waitcnt lgkmcnt(0)
	s_and_saveexec_b64 s[4:5], vcc
	s_cbranch_execz .LBB47_79
; %bb.72:
	v_mov_b32_e32 v12, 0
	ds_read2_b64 v[13:16], v12 offset0:164 offset1:236
	s_waitcnt lgkmcnt(0)
	v_sub_f32_e32 v7, v13, v15
	v_sub_f32_e32 v13, v14, v16
	v_cmp_gt_f32_e32 vcc, 0, v7
	v_cndmask_b32_e64 v7, v7, -v7, vcc
	v_cmp_gt_f32_e32 vcc, 0, v13
	v_cndmask_b32_e64 v11, v13, -v13, vcc
	v_cmp_gt_f32_e32 vcc, v7, v11
	s_cbranch_vccnz .LBB47_76
; %bb.73:
	v_cmp_eq_f32_e32 vcc, 0, v13
	s_cbranch_vccnz .LBB47_75
; %bb.74:
	v_div_scale_f32 v12, s[2:3], v11, v11, v7
	v_div_scale_f32 v13, vcc, v7, v11, v7
	s_mov_b32 s2, 0xf800000
	v_rcp_f32_e32 v14, v12
	v_fma_f32 v15, -v12, v14, 1.0
	v_fmac_f32_e32 v14, v15, v14
	v_mul_f32_e32 v15, v13, v14
	v_fma_f32 v16, -v12, v15, v13
	v_fmac_f32_e32 v15, v16, v14
	v_fma_f32 v12, -v12, v15, v13
	v_div_fmas_f32 v12, v12, v14, v15
	v_mov_b32_e32 v14, 0x260
	v_div_fixup_f32 v12, v12, v11, v7
	v_fma_f32 v12, v12, v12, 1.0
	v_mul_f32_e32 v13, 0x4f800000, v12
	v_cmp_gt_f32_e32 vcc, s2, v12
	v_cndmask_b32_e32 v12, v12, v13, vcc
	v_sqrt_f32_e32 v13, v12
	v_add_u32_e32 v15, -1, v13
	v_add_u32_e32 v16, 1, v13
	v_fma_f32 v17, -v15, v13, v12
	v_fma_f32 v18, -v16, v13, v12
	v_cmp_ge_f32_e64 s[2:3], 0, v17
	v_cndmask_b32_e64 v13, v13, v15, s[2:3]
	v_cmp_lt_f32_e64 s[2:3], 0, v18
	v_cndmask_b32_e64 v13, v13, v16, s[2:3]
	v_mul_f32_e32 v15, 0x37800000, v13
	v_cndmask_b32_e32 v13, v13, v15, vcc
	v_cmp_class_f32_e32 vcc, v12, v14
	v_cndmask_b32_e32 v12, v13, v12, vcc
	v_mul_f32_e32 v12, v11, v12
.LBB47_75:
	s_cbranch_execz .LBB47_77
	s_branch .LBB47_78
.LBB47_76:
                                        ; implicit-def: $vgpr12
.LBB47_77:
	v_div_scale_f32 v12, s[2:3], v7, v7, v11
	v_div_scale_f32 v13, vcc, v11, v7, v11
	s_mov_b32 s2, 0xf800000
	v_rcp_f32_e32 v14, v12
	v_fma_f32 v15, -v12, v14, 1.0
	v_fmac_f32_e32 v14, v15, v14
	v_mul_f32_e32 v15, v13, v14
	v_fma_f32 v16, -v12, v15, v13
	v_fmac_f32_e32 v15, v16, v14
	v_fma_f32 v12, -v12, v15, v13
	v_div_fmas_f32 v12, v12, v14, v15
	v_mov_b32_e32 v13, 0x260
	v_div_fixup_f32 v11, v12, v7, v11
	v_fma_f32 v11, v11, v11, 1.0
	v_mul_f32_e32 v12, 0x4f800000, v11
	v_cmp_gt_f32_e32 vcc, s2, v11
	v_cndmask_b32_e32 v11, v11, v12, vcc
	v_sqrt_f32_e32 v12, v11
	v_add_u32_e32 v14, -1, v12
	v_add_u32_e32 v15, 1, v12
	v_fma_f32 v16, -v14, v12, v11
	v_fma_f32 v17, -v15, v12, v11
	v_cmp_ge_f32_e64 s[2:3], 0, v16
	v_cndmask_b32_e64 v12, v12, v14, s[2:3]
	v_cmp_lt_f32_e64 s[2:3], 0, v17
	v_cndmask_b32_e64 v12, v12, v15, s[2:3]
	v_mul_f32_e32 v14, 0x37800000, v12
	v_cndmask_b32_e32 v12, v12, v14, vcc
	v_cmp_class_f32_e32 vcc, v11, v13
	v_cndmask_b32_e32 v11, v12, v11, vcc
	v_mul_f32_e32 v12, v7, v11
.LBB47_78:
	s_mov_b32 s2, 0xf800000
	v_mul_f32_e32 v7, 0x4f800000, v12
	v_cmp_gt_f32_e32 vcc, s2, v12
	v_cndmask_b32_e32 v7, v12, v7, vcc
	v_sqrt_f32_e32 v11, v7
	v_add_u32_e32 v12, -1, v11
	v_fma_f32 v13, -v12, v11, v7
	v_cmp_ge_f32_e64 s[2:3], 0, v13
	v_add_u32_e32 v13, 1, v11
	v_cndmask_b32_e64 v12, v11, v12, s[2:3]
	v_fma_f32 v11, -v13, v11, v7
	v_cmp_lt_f32_e64 s[2:3], 0, v11
	v_cndmask_b32_e64 v11, v12, v13, s[2:3]
	v_mul_f32_e32 v12, 0x37800000, v11
	v_cndmask_b32_e32 v11, v11, v12, vcc
	v_mov_b32_e32 v12, 0x260
	v_cmp_class_f32_e32 vcc, v7, v12
	v_cndmask_b32_e32 v11, v11, v7, vcc
	v_mov_b32_e32 v12, 0
	ds_write_b64 v12, v[11:12] offset:1312
.LBB47_79:
	s_or_b64 exec, exec, s[4:5]
	v_mov_b32_e32 v7, 0
	s_waitcnt lgkmcnt(0)
	ds_read_b64 v[11:12], v7 offset:1312
	s_waitcnt lgkmcnt(0)
	v_cmp_neq_f32_e32 vcc, 0, v11
	v_cmp_neq_f32_e64 s[2:3], 0, v12
	s_or_b64 vcc, vcc, s[2:3]
	v_cndmask_b32_e32 v7, 1.0, v11, vcc
	s_nor_b64 s[4:5], vcc, s[0:1]
	v_cndmask_b32_e32 v11, 0, v12, vcc
	s_and_saveexec_b64 s[2:3], s[4:5]
	s_cbranch_execz .LBB47_83
; %bb.80:
	v_mbcnt_lo_u32_b32 v7, exec_lo, 0
	v_mbcnt_hi_u32_b32 v7, exec_hi, v7
	v_cmp_eq_u32_e32 vcc, 0, v7
	s_and_saveexec_b64 s[4:5], vcc
	s_cbranch_execz .LBB47_82
; %bb.81:
	v_mov_b32_e32 v7, 0
	v_mov_b32_e32 v11, s16
	global_atomic_smin v7, v11, s[14:15]
.LBB47_82:
	s_or_b64 exec, exec, s[4:5]
	v_mov_b32_e32 v11, 0
	v_mov_b32_e32 v7, 1.0
.LBB47_83:
	s_or_b64 exec, exec, s[2:3]
	v_cmp_lt_u32_e32 vcc, 2, v1
	s_and_saveexec_b64 s[2:3], vcc
	s_cbranch_execz .LBB47_85
; %bb.84:
	v_mul_f32_e32 v16, v11, v11
	v_fmac_f32_e32 v16, v7, v7
	v_div_scale_f32 v12, s[4:5], v16, v16, 1.0
	v_div_scale_f32 v13, vcc, 1.0, v16, 1.0
	v_rcp_f32_e32 v14, v12
	v_fma_f32 v15, -v12, v14, 1.0
	v_fmac_f32_e32 v14, v15, v14
	v_mul_f32_e32 v15, v13, v14
	v_fma_f32 v17, -v12, v15, v13
	v_fmac_f32_e32 v15, v17, v14
	v_fma_f32 v12, -v12, v15, v13
	v_div_fmas_f32 v17, v12, v14, v15
	ds_read_b64 v[12:13], v5 offset:16
	ds_read_b64 v[14:15], v10 offset:16
	s_waitcnt lgkmcnt(0)
	v_sub_f32_e32 v12, v12, v14
	v_sub_f32_e32 v13, v13, v15
	v_mul_f32_e32 v14, v11, v13
	v_mul_f32_e64 v15, v11, -v12
	v_fmac_f32_e32 v14, v12, v7
	v_fmac_f32_e32 v15, v13, v7
	v_div_fixup_f32 v7, v17, v16, 1.0
	v_mul_f32_e32 v11, v7, v14
	v_mul_f32_e32 v12, v7, v15
	ds_write_b64 v5, v[11:12] offset:16
	s_waitcnt lgkmcnt(0)
	ds_read_b64 v[13:14], v6 offset:16
	ds_read_b64 v[15:16], v8
	s_waitcnt lgkmcnt(0)
	v_fma_f32 v15, v11, v13, v15
	v_fmac_f32_e32 v16, v12, v13
	v_fmac_f32_e32 v15, v12, v14
	v_fma_f32 v16, v11, -v14, v16
	ds_write_b64 v8, v[15:16]
.LBB47_85:
	s_or_b64 exec, exec, s[2:3]
	v_cmp_eq_u32_e32 vcc, 3, v1
	s_waitcnt lgkmcnt(0)
	s_and_saveexec_b64 s[4:5], vcc
	s_cbranch_execz .LBB47_93
; %bb.86:
	v_mov_b32_e32 v12, 0
	ds_read2_b64 v[13:16], v12 offset0:174 offset1:246
	s_waitcnt lgkmcnt(0)
	v_sub_f32_e32 v7, v13, v15
	v_sub_f32_e32 v13, v14, v16
	v_cmp_gt_f32_e32 vcc, 0, v7
	v_cndmask_b32_e64 v7, v7, -v7, vcc
	v_cmp_gt_f32_e32 vcc, 0, v13
	v_cndmask_b32_e64 v11, v13, -v13, vcc
	v_cmp_gt_f32_e32 vcc, v7, v11
	s_cbranch_vccnz .LBB47_90
; %bb.87:
	v_cmp_eq_f32_e32 vcc, 0, v13
	s_cbranch_vccnz .LBB47_89
; %bb.88:
	v_div_scale_f32 v12, s[2:3], v11, v11, v7
	v_div_scale_f32 v13, vcc, v7, v11, v7
	s_mov_b32 s2, 0xf800000
	v_rcp_f32_e32 v14, v12
	v_fma_f32 v15, -v12, v14, 1.0
	v_fmac_f32_e32 v14, v15, v14
	v_mul_f32_e32 v15, v13, v14
	v_fma_f32 v16, -v12, v15, v13
	v_fmac_f32_e32 v15, v16, v14
	v_fma_f32 v12, -v12, v15, v13
	v_div_fmas_f32 v12, v12, v14, v15
	v_mov_b32_e32 v14, 0x260
	v_div_fixup_f32 v12, v12, v11, v7
	v_fma_f32 v12, v12, v12, 1.0
	v_mul_f32_e32 v13, 0x4f800000, v12
	v_cmp_gt_f32_e32 vcc, s2, v12
	v_cndmask_b32_e32 v12, v12, v13, vcc
	v_sqrt_f32_e32 v13, v12
	v_add_u32_e32 v15, -1, v13
	v_add_u32_e32 v16, 1, v13
	v_fma_f32 v17, -v15, v13, v12
	v_fma_f32 v18, -v16, v13, v12
	v_cmp_ge_f32_e64 s[2:3], 0, v17
	v_cndmask_b32_e64 v13, v13, v15, s[2:3]
	v_cmp_lt_f32_e64 s[2:3], 0, v18
	v_cndmask_b32_e64 v13, v13, v16, s[2:3]
	v_mul_f32_e32 v15, 0x37800000, v13
	v_cndmask_b32_e32 v13, v13, v15, vcc
	v_cmp_class_f32_e32 vcc, v12, v14
	v_cndmask_b32_e32 v12, v13, v12, vcc
	v_mul_f32_e32 v12, v11, v12
.LBB47_89:
	s_cbranch_execz .LBB47_91
	s_branch .LBB47_92
.LBB47_90:
                                        ; implicit-def: $vgpr12
.LBB47_91:
	v_div_scale_f32 v12, s[2:3], v7, v7, v11
	v_div_scale_f32 v13, vcc, v11, v7, v11
	s_mov_b32 s2, 0xf800000
	v_rcp_f32_e32 v14, v12
	v_fma_f32 v15, -v12, v14, 1.0
	v_fmac_f32_e32 v14, v15, v14
	v_mul_f32_e32 v15, v13, v14
	v_fma_f32 v16, -v12, v15, v13
	v_fmac_f32_e32 v15, v16, v14
	v_fma_f32 v12, -v12, v15, v13
	v_div_fmas_f32 v12, v12, v14, v15
	v_mov_b32_e32 v13, 0x260
	v_div_fixup_f32 v11, v12, v7, v11
	v_fma_f32 v11, v11, v11, 1.0
	v_mul_f32_e32 v12, 0x4f800000, v11
	v_cmp_gt_f32_e32 vcc, s2, v11
	v_cndmask_b32_e32 v11, v11, v12, vcc
	v_sqrt_f32_e32 v12, v11
	v_add_u32_e32 v14, -1, v12
	v_add_u32_e32 v15, 1, v12
	v_fma_f32 v16, -v14, v12, v11
	v_fma_f32 v17, -v15, v12, v11
	v_cmp_ge_f32_e64 s[2:3], 0, v16
	v_cndmask_b32_e64 v12, v12, v14, s[2:3]
	v_cmp_lt_f32_e64 s[2:3], 0, v17
	v_cndmask_b32_e64 v12, v12, v15, s[2:3]
	v_mul_f32_e32 v14, 0x37800000, v12
	v_cndmask_b32_e32 v12, v12, v14, vcc
	v_cmp_class_f32_e32 vcc, v11, v13
	v_cndmask_b32_e32 v11, v12, v11, vcc
	v_mul_f32_e32 v12, v7, v11
.LBB47_92:
	s_mov_b32 s2, 0xf800000
	v_mul_f32_e32 v7, 0x4f800000, v12
	v_cmp_gt_f32_e32 vcc, s2, v12
	v_cndmask_b32_e32 v7, v12, v7, vcc
	v_sqrt_f32_e32 v11, v7
	v_add_u32_e32 v12, -1, v11
	v_fma_f32 v13, -v12, v11, v7
	v_cmp_ge_f32_e64 s[2:3], 0, v13
	v_add_u32_e32 v13, 1, v11
	v_cndmask_b32_e64 v12, v11, v12, s[2:3]
	v_fma_f32 v11, -v13, v11, v7
	v_cmp_lt_f32_e64 s[2:3], 0, v11
	v_cndmask_b32_e64 v11, v12, v13, s[2:3]
	v_mul_f32_e32 v12, 0x37800000, v11
	v_cndmask_b32_e32 v11, v11, v12, vcc
	v_mov_b32_e32 v12, 0x260
	v_cmp_class_f32_e32 vcc, v7, v12
	v_cndmask_b32_e32 v11, v11, v7, vcc
	v_mov_b32_e32 v12, 0
	ds_write_b64 v12, v[11:12] offset:1392
.LBB47_93:
	s_or_b64 exec, exec, s[4:5]
	v_mov_b32_e32 v7, 0
	s_waitcnt lgkmcnt(0)
	ds_read_b64 v[11:12], v7 offset:1392
	s_waitcnt lgkmcnt(0)
	v_cmp_neq_f32_e32 vcc, 0, v11
	v_cmp_neq_f32_e64 s[2:3], 0, v12
	s_or_b64 vcc, vcc, s[2:3]
	v_cndmask_b32_e32 v7, 1.0, v11, vcc
	s_nor_b64 s[4:5], vcc, s[0:1]
	v_cndmask_b32_e32 v11, 0, v12, vcc
	s_and_saveexec_b64 s[2:3], s[4:5]
	s_cbranch_execz .LBB47_97
; %bb.94:
	v_mbcnt_lo_u32_b32 v7, exec_lo, 0
	v_mbcnt_hi_u32_b32 v7, exec_hi, v7
	v_cmp_eq_u32_e32 vcc, 0, v7
	s_and_saveexec_b64 s[4:5], vcc
	s_cbranch_execz .LBB47_96
; %bb.95:
	v_mov_b32_e32 v7, 0
	v_mov_b32_e32 v11, s16
	global_atomic_smin v7, v11, s[14:15]
.LBB47_96:
	s_or_b64 exec, exec, s[4:5]
	v_mov_b32_e32 v11, 0
	v_mov_b32_e32 v7, 1.0
.LBB47_97:
	s_or_b64 exec, exec, s[2:3]
	v_cmp_lt_u32_e32 vcc, 3, v1
	s_and_saveexec_b64 s[2:3], vcc
	s_cbranch_execz .LBB47_99
; %bb.98:
	v_mul_f32_e32 v16, v11, v11
	v_fmac_f32_e32 v16, v7, v7
	v_div_scale_f32 v12, s[4:5], v16, v16, 1.0
	v_div_scale_f32 v13, vcc, 1.0, v16, 1.0
	v_rcp_f32_e32 v14, v12
	v_fma_f32 v15, -v12, v14, 1.0
	v_fmac_f32_e32 v14, v15, v14
	v_mul_f32_e32 v15, v13, v14
	v_fma_f32 v17, -v12, v15, v13
	v_fmac_f32_e32 v15, v17, v14
	v_fma_f32 v12, -v12, v15, v13
	v_div_fmas_f32 v17, v12, v14, v15
	ds_read_b64 v[12:13], v5 offset:24
	ds_read_b64 v[14:15], v10 offset:24
	s_waitcnt lgkmcnt(0)
	v_sub_f32_e32 v12, v12, v14
	v_sub_f32_e32 v13, v13, v15
	v_mul_f32_e32 v14, v11, v13
	v_mul_f32_e64 v15, v11, -v12
	v_fmac_f32_e32 v14, v12, v7
	v_fmac_f32_e32 v15, v13, v7
	v_div_fixup_f32 v7, v17, v16, 1.0
	v_mul_f32_e32 v11, v7, v14
	v_mul_f32_e32 v12, v7, v15
	ds_write_b64 v5, v[11:12] offset:24
	s_waitcnt lgkmcnt(0)
	ds_read_b64 v[13:14], v6 offset:24
	ds_read_b64 v[15:16], v8
	s_waitcnt lgkmcnt(0)
	v_fma_f32 v15, v11, v13, v15
	v_fmac_f32_e32 v16, v12, v13
	v_fmac_f32_e32 v15, v12, v14
	v_fma_f32 v16, v11, -v14, v16
	ds_write_b64 v8, v[15:16]
.LBB47_99:
	s_or_b64 exec, exec, s[2:3]
	v_cmp_eq_u32_e32 vcc, 4, v1
	s_waitcnt lgkmcnt(0)
	s_and_saveexec_b64 s[4:5], vcc
	s_cbranch_execz .LBB47_107
; %bb.100:
	s_movk_i32 s2, 0x400
	v_add_u32_e64 v7, s2, 0
	ds_read2_b64 v[13:16], v7 offset0:56 offset1:128
	v_mov_b32_e32 v12, 0
	s_waitcnt lgkmcnt(0)
	v_sub_f32_e32 v7, v13, v15
	v_sub_f32_e32 v13, v14, v16
	v_cmp_gt_f32_e32 vcc, 0, v7
	v_cndmask_b32_e64 v7, v7, -v7, vcc
	v_cmp_gt_f32_e32 vcc, 0, v13
	v_cndmask_b32_e64 v11, v13, -v13, vcc
	v_cmp_gt_f32_e32 vcc, v7, v11
	s_cbranch_vccnz .LBB47_104
; %bb.101:
	v_cmp_eq_f32_e32 vcc, 0, v13
	s_cbranch_vccnz .LBB47_103
; %bb.102:
	v_div_scale_f32 v12, s[2:3], v11, v11, v7
	v_div_scale_f32 v13, vcc, v7, v11, v7
	s_mov_b32 s2, 0xf800000
	v_rcp_f32_e32 v14, v12
	v_fma_f32 v15, -v12, v14, 1.0
	v_fmac_f32_e32 v14, v15, v14
	v_mul_f32_e32 v15, v13, v14
	v_fma_f32 v16, -v12, v15, v13
	v_fmac_f32_e32 v15, v16, v14
	v_fma_f32 v12, -v12, v15, v13
	v_div_fmas_f32 v12, v12, v14, v15
	v_mov_b32_e32 v14, 0x260
	v_div_fixup_f32 v12, v12, v11, v7
	v_fma_f32 v12, v12, v12, 1.0
	v_mul_f32_e32 v13, 0x4f800000, v12
	v_cmp_gt_f32_e32 vcc, s2, v12
	v_cndmask_b32_e32 v12, v12, v13, vcc
	v_sqrt_f32_e32 v13, v12
	v_add_u32_e32 v15, -1, v13
	v_add_u32_e32 v16, 1, v13
	v_fma_f32 v17, -v15, v13, v12
	v_fma_f32 v18, -v16, v13, v12
	v_cmp_ge_f32_e64 s[2:3], 0, v17
	v_cndmask_b32_e64 v13, v13, v15, s[2:3]
	v_cmp_lt_f32_e64 s[2:3], 0, v18
	v_cndmask_b32_e64 v13, v13, v16, s[2:3]
	v_mul_f32_e32 v15, 0x37800000, v13
	v_cndmask_b32_e32 v13, v13, v15, vcc
	v_cmp_class_f32_e32 vcc, v12, v14
	v_cndmask_b32_e32 v12, v13, v12, vcc
	v_mul_f32_e32 v12, v11, v12
.LBB47_103:
	s_cbranch_execz .LBB47_105
	s_branch .LBB47_106
.LBB47_104:
                                        ; implicit-def: $vgpr12
.LBB47_105:
	v_div_scale_f32 v12, s[2:3], v7, v7, v11
	v_div_scale_f32 v13, vcc, v11, v7, v11
	s_mov_b32 s2, 0xf800000
	v_rcp_f32_e32 v14, v12
	v_fma_f32 v15, -v12, v14, 1.0
	v_fmac_f32_e32 v14, v15, v14
	v_mul_f32_e32 v15, v13, v14
	v_fma_f32 v16, -v12, v15, v13
	v_fmac_f32_e32 v15, v16, v14
	v_fma_f32 v12, -v12, v15, v13
	v_div_fmas_f32 v12, v12, v14, v15
	v_mov_b32_e32 v13, 0x260
	v_div_fixup_f32 v11, v12, v7, v11
	v_fma_f32 v11, v11, v11, 1.0
	v_mul_f32_e32 v12, 0x4f800000, v11
	v_cmp_gt_f32_e32 vcc, s2, v11
	v_cndmask_b32_e32 v11, v11, v12, vcc
	v_sqrt_f32_e32 v12, v11
	v_add_u32_e32 v14, -1, v12
	v_add_u32_e32 v15, 1, v12
	v_fma_f32 v16, -v14, v12, v11
	v_fma_f32 v17, -v15, v12, v11
	v_cmp_ge_f32_e64 s[2:3], 0, v16
	v_cndmask_b32_e64 v12, v12, v14, s[2:3]
	v_cmp_lt_f32_e64 s[2:3], 0, v17
	v_cndmask_b32_e64 v12, v12, v15, s[2:3]
	v_mul_f32_e32 v14, 0x37800000, v12
	v_cndmask_b32_e32 v12, v12, v14, vcc
	v_cmp_class_f32_e32 vcc, v11, v13
	v_cndmask_b32_e32 v11, v12, v11, vcc
	v_mul_f32_e32 v12, v7, v11
.LBB47_106:
	s_mov_b32 s2, 0xf800000
	v_mul_f32_e32 v7, 0x4f800000, v12
	v_cmp_gt_f32_e32 vcc, s2, v12
	v_cndmask_b32_e32 v7, v12, v7, vcc
	v_sqrt_f32_e32 v11, v7
	v_add_u32_e32 v12, -1, v11
	v_fma_f32 v13, -v12, v11, v7
	v_cmp_ge_f32_e64 s[2:3], 0, v13
	v_add_u32_e32 v13, 1, v11
	v_cndmask_b32_e64 v12, v11, v12, s[2:3]
	v_fma_f32 v11, -v13, v11, v7
	v_cmp_lt_f32_e64 s[2:3], 0, v11
	v_cndmask_b32_e64 v11, v12, v13, s[2:3]
	v_mul_f32_e32 v12, 0x37800000, v11
	v_cndmask_b32_e32 v11, v11, v12, vcc
	v_mov_b32_e32 v12, 0x260
	v_cmp_class_f32_e32 vcc, v7, v12
	v_cndmask_b32_e32 v11, v11, v7, vcc
	v_mov_b32_e32 v12, 0
	ds_write_b64 v12, v[11:12] offset:1472
.LBB47_107:
	s_or_b64 exec, exec, s[4:5]
	v_mov_b32_e32 v7, 0
	s_waitcnt lgkmcnt(0)
	ds_read_b64 v[11:12], v7 offset:1472
	s_waitcnt lgkmcnt(0)
	v_cmp_neq_f32_e32 vcc, 0, v11
	v_cmp_neq_f32_e64 s[2:3], 0, v12
	s_or_b64 vcc, vcc, s[2:3]
	v_cndmask_b32_e32 v7, 1.0, v11, vcc
	s_nor_b64 s[4:5], vcc, s[0:1]
	v_cndmask_b32_e32 v11, 0, v12, vcc
	s_and_saveexec_b64 s[2:3], s[4:5]
	s_cbranch_execz .LBB47_111
; %bb.108:
	v_mbcnt_lo_u32_b32 v7, exec_lo, 0
	v_mbcnt_hi_u32_b32 v7, exec_hi, v7
	v_cmp_eq_u32_e32 vcc, 0, v7
	s_and_saveexec_b64 s[4:5], vcc
	s_cbranch_execz .LBB47_110
; %bb.109:
	v_mov_b32_e32 v7, 0
	v_mov_b32_e32 v11, s16
	global_atomic_smin v7, v11, s[14:15]
.LBB47_110:
	s_or_b64 exec, exec, s[4:5]
	v_mov_b32_e32 v11, 0
	v_mov_b32_e32 v7, 1.0
.LBB47_111:
	s_or_b64 exec, exec, s[2:3]
	v_cmp_lt_u32_e32 vcc, 4, v1
	s_and_saveexec_b64 s[2:3], vcc
	s_cbranch_execz .LBB47_113
; %bb.112:
	v_mul_f32_e32 v16, v11, v11
	v_fmac_f32_e32 v16, v7, v7
	v_div_scale_f32 v12, s[4:5], v16, v16, 1.0
	v_div_scale_f32 v13, vcc, 1.0, v16, 1.0
	v_rcp_f32_e32 v14, v12
	v_fma_f32 v15, -v12, v14, 1.0
	v_fmac_f32_e32 v14, v15, v14
	v_mul_f32_e32 v15, v13, v14
	v_fma_f32 v17, -v12, v15, v13
	v_fmac_f32_e32 v15, v17, v14
	v_fma_f32 v12, -v12, v15, v13
	v_div_fmas_f32 v17, v12, v14, v15
	ds_read_b64 v[12:13], v5 offset:32
	ds_read_b64 v[14:15], v10 offset:32
	s_waitcnt lgkmcnt(0)
	v_sub_f32_e32 v12, v12, v14
	v_sub_f32_e32 v13, v13, v15
	v_mul_f32_e32 v14, v11, v13
	v_mul_f32_e64 v15, v11, -v12
	v_fmac_f32_e32 v14, v12, v7
	v_fmac_f32_e32 v15, v13, v7
	v_div_fixup_f32 v7, v17, v16, 1.0
	v_mul_f32_e32 v11, v7, v14
	v_mul_f32_e32 v12, v7, v15
	ds_write_b64 v5, v[11:12] offset:32
	s_waitcnt lgkmcnt(0)
	ds_read_b64 v[13:14], v6 offset:32
	ds_read_b64 v[15:16], v8
	s_waitcnt lgkmcnt(0)
	v_fma_f32 v15, v11, v13, v15
	v_fmac_f32_e32 v16, v12, v13
	v_fmac_f32_e32 v15, v12, v14
	v_fma_f32 v16, v11, -v14, v16
	ds_write_b64 v8, v[15:16]
.LBB47_113:
	s_or_b64 exec, exec, s[2:3]
	v_cmp_eq_u32_e32 vcc, 5, v1
	s_waitcnt lgkmcnt(0)
	s_and_saveexec_b64 s[4:5], vcc
	s_cbranch_execz .LBB47_121
; %bb.114:
	s_movk_i32 s2, 0x400
	v_add_u32_e64 v7, s2, 0
	ds_read2_b64 v[13:16], v7 offset0:66 offset1:138
	v_mov_b32_e32 v12, 0
	s_waitcnt lgkmcnt(0)
	v_sub_f32_e32 v7, v13, v15
	v_sub_f32_e32 v13, v14, v16
	v_cmp_gt_f32_e32 vcc, 0, v7
	v_cndmask_b32_e64 v7, v7, -v7, vcc
	v_cmp_gt_f32_e32 vcc, 0, v13
	v_cndmask_b32_e64 v11, v13, -v13, vcc
	v_cmp_gt_f32_e32 vcc, v7, v11
	s_cbranch_vccnz .LBB47_118
; %bb.115:
	v_cmp_eq_f32_e32 vcc, 0, v13
	s_cbranch_vccnz .LBB47_117
; %bb.116:
	v_div_scale_f32 v12, s[2:3], v11, v11, v7
	v_div_scale_f32 v13, vcc, v7, v11, v7
	s_mov_b32 s2, 0xf800000
	v_rcp_f32_e32 v14, v12
	v_fma_f32 v15, -v12, v14, 1.0
	v_fmac_f32_e32 v14, v15, v14
	v_mul_f32_e32 v15, v13, v14
	v_fma_f32 v16, -v12, v15, v13
	v_fmac_f32_e32 v15, v16, v14
	v_fma_f32 v12, -v12, v15, v13
	v_div_fmas_f32 v12, v12, v14, v15
	v_mov_b32_e32 v14, 0x260
	v_div_fixup_f32 v12, v12, v11, v7
	v_fma_f32 v12, v12, v12, 1.0
	v_mul_f32_e32 v13, 0x4f800000, v12
	v_cmp_gt_f32_e32 vcc, s2, v12
	v_cndmask_b32_e32 v12, v12, v13, vcc
	v_sqrt_f32_e32 v13, v12
	v_add_u32_e32 v15, -1, v13
	v_add_u32_e32 v16, 1, v13
	v_fma_f32 v17, -v15, v13, v12
	v_fma_f32 v18, -v16, v13, v12
	v_cmp_ge_f32_e64 s[2:3], 0, v17
	v_cndmask_b32_e64 v13, v13, v15, s[2:3]
	v_cmp_lt_f32_e64 s[2:3], 0, v18
	v_cndmask_b32_e64 v13, v13, v16, s[2:3]
	v_mul_f32_e32 v15, 0x37800000, v13
	v_cndmask_b32_e32 v13, v13, v15, vcc
	v_cmp_class_f32_e32 vcc, v12, v14
	v_cndmask_b32_e32 v12, v13, v12, vcc
	v_mul_f32_e32 v12, v11, v12
.LBB47_117:
	s_cbranch_execz .LBB47_119
	s_branch .LBB47_120
.LBB47_118:
                                        ; implicit-def: $vgpr12
.LBB47_119:
	v_div_scale_f32 v12, s[2:3], v7, v7, v11
	v_div_scale_f32 v13, vcc, v11, v7, v11
	s_mov_b32 s2, 0xf800000
	v_rcp_f32_e32 v14, v12
	v_fma_f32 v15, -v12, v14, 1.0
	v_fmac_f32_e32 v14, v15, v14
	v_mul_f32_e32 v15, v13, v14
	v_fma_f32 v16, -v12, v15, v13
	v_fmac_f32_e32 v15, v16, v14
	v_fma_f32 v12, -v12, v15, v13
	v_div_fmas_f32 v12, v12, v14, v15
	v_mov_b32_e32 v13, 0x260
	v_div_fixup_f32 v11, v12, v7, v11
	v_fma_f32 v11, v11, v11, 1.0
	v_mul_f32_e32 v12, 0x4f800000, v11
	v_cmp_gt_f32_e32 vcc, s2, v11
	v_cndmask_b32_e32 v11, v11, v12, vcc
	v_sqrt_f32_e32 v12, v11
	v_add_u32_e32 v14, -1, v12
	v_add_u32_e32 v15, 1, v12
	v_fma_f32 v16, -v14, v12, v11
	v_fma_f32 v17, -v15, v12, v11
	v_cmp_ge_f32_e64 s[2:3], 0, v16
	v_cndmask_b32_e64 v12, v12, v14, s[2:3]
	v_cmp_lt_f32_e64 s[2:3], 0, v17
	v_cndmask_b32_e64 v12, v12, v15, s[2:3]
	v_mul_f32_e32 v14, 0x37800000, v12
	v_cndmask_b32_e32 v12, v12, v14, vcc
	v_cmp_class_f32_e32 vcc, v11, v13
	v_cndmask_b32_e32 v11, v12, v11, vcc
	v_mul_f32_e32 v12, v7, v11
.LBB47_120:
	s_mov_b32 s2, 0xf800000
	v_mul_f32_e32 v7, 0x4f800000, v12
	v_cmp_gt_f32_e32 vcc, s2, v12
	v_cndmask_b32_e32 v7, v12, v7, vcc
	v_sqrt_f32_e32 v11, v7
	v_add_u32_e32 v12, -1, v11
	v_fma_f32 v13, -v12, v11, v7
	v_cmp_ge_f32_e64 s[2:3], 0, v13
	v_add_u32_e32 v13, 1, v11
	v_cndmask_b32_e64 v12, v11, v12, s[2:3]
	v_fma_f32 v11, -v13, v11, v7
	v_cmp_lt_f32_e64 s[2:3], 0, v11
	v_cndmask_b32_e64 v11, v12, v13, s[2:3]
	v_mul_f32_e32 v12, 0x37800000, v11
	v_cndmask_b32_e32 v11, v11, v12, vcc
	v_mov_b32_e32 v12, 0x260
	v_cmp_class_f32_e32 vcc, v7, v12
	v_cndmask_b32_e32 v11, v11, v7, vcc
	v_mov_b32_e32 v12, 0
	ds_write_b64 v12, v[11:12] offset:1552
.LBB47_121:
	s_or_b64 exec, exec, s[4:5]
	v_mov_b32_e32 v7, 0
	s_waitcnt lgkmcnt(0)
	ds_read_b64 v[11:12], v7 offset:1552
	s_waitcnt lgkmcnt(0)
	v_cmp_neq_f32_e32 vcc, 0, v11
	v_cmp_neq_f32_e64 s[2:3], 0, v12
	s_or_b64 vcc, vcc, s[2:3]
	v_cndmask_b32_e32 v7, 1.0, v11, vcc
	s_nor_b64 s[4:5], vcc, s[0:1]
	v_cndmask_b32_e32 v11, 0, v12, vcc
	s_and_saveexec_b64 s[2:3], s[4:5]
	s_cbranch_execz .LBB47_125
; %bb.122:
	v_mbcnt_lo_u32_b32 v7, exec_lo, 0
	v_mbcnt_hi_u32_b32 v7, exec_hi, v7
	v_cmp_eq_u32_e32 vcc, 0, v7
	s_and_saveexec_b64 s[4:5], vcc
	s_cbranch_execz .LBB47_124
; %bb.123:
	v_mov_b32_e32 v7, 0
	v_mov_b32_e32 v11, s16
	global_atomic_smin v7, v11, s[14:15]
.LBB47_124:
	s_or_b64 exec, exec, s[4:5]
	v_mov_b32_e32 v11, 0
	v_mov_b32_e32 v7, 1.0
.LBB47_125:
	s_or_b64 exec, exec, s[2:3]
	v_cmp_lt_u32_e32 vcc, 5, v1
	s_and_saveexec_b64 s[2:3], vcc
	s_cbranch_execz .LBB47_127
; %bb.126:
	v_mul_f32_e32 v16, v11, v11
	v_fmac_f32_e32 v16, v7, v7
	v_div_scale_f32 v12, s[4:5], v16, v16, 1.0
	v_div_scale_f32 v13, vcc, 1.0, v16, 1.0
	v_rcp_f32_e32 v14, v12
	v_fma_f32 v15, -v12, v14, 1.0
	v_fmac_f32_e32 v14, v15, v14
	v_mul_f32_e32 v15, v13, v14
	v_fma_f32 v17, -v12, v15, v13
	v_fmac_f32_e32 v15, v17, v14
	v_fma_f32 v12, -v12, v15, v13
	v_div_fmas_f32 v17, v12, v14, v15
	ds_read_b64 v[12:13], v5 offset:40
	ds_read_b64 v[14:15], v10 offset:40
	s_waitcnt lgkmcnt(0)
	v_sub_f32_e32 v12, v12, v14
	v_sub_f32_e32 v13, v13, v15
	v_mul_f32_e32 v14, v11, v13
	v_mul_f32_e64 v15, v11, -v12
	v_fmac_f32_e32 v14, v12, v7
	v_fmac_f32_e32 v15, v13, v7
	v_div_fixup_f32 v7, v17, v16, 1.0
	v_mul_f32_e32 v11, v7, v14
	v_mul_f32_e32 v12, v7, v15
	ds_write_b64 v5, v[11:12] offset:40
	s_waitcnt lgkmcnt(0)
	ds_read_b64 v[13:14], v6 offset:40
	ds_read_b64 v[15:16], v8
	s_waitcnt lgkmcnt(0)
	v_fma_f32 v15, v11, v13, v15
	v_fmac_f32_e32 v16, v12, v13
	v_fmac_f32_e32 v15, v12, v14
	v_fma_f32 v16, v11, -v14, v16
	ds_write_b64 v8, v[15:16]
.LBB47_127:
	s_or_b64 exec, exec, s[2:3]
	v_cmp_eq_u32_e32 vcc, 6, v1
	s_waitcnt lgkmcnt(0)
	s_and_saveexec_b64 s[4:5], vcc
	s_cbranch_execz .LBB47_135
; %bb.128:
	s_movk_i32 s2, 0x400
	v_add_u32_e64 v7, s2, 0
	ds_read2_b64 v[13:16], v7 offset0:76 offset1:148
	v_mov_b32_e32 v12, 0
	s_waitcnt lgkmcnt(0)
	v_sub_f32_e32 v7, v13, v15
	v_sub_f32_e32 v13, v14, v16
	v_cmp_gt_f32_e32 vcc, 0, v7
	v_cndmask_b32_e64 v7, v7, -v7, vcc
	v_cmp_gt_f32_e32 vcc, 0, v13
	v_cndmask_b32_e64 v11, v13, -v13, vcc
	v_cmp_gt_f32_e32 vcc, v7, v11
	s_cbranch_vccnz .LBB47_132
; %bb.129:
	v_cmp_eq_f32_e32 vcc, 0, v13
	s_cbranch_vccnz .LBB47_131
; %bb.130:
	v_div_scale_f32 v12, s[2:3], v11, v11, v7
	v_div_scale_f32 v13, vcc, v7, v11, v7
	s_mov_b32 s2, 0xf800000
	v_rcp_f32_e32 v14, v12
	v_fma_f32 v15, -v12, v14, 1.0
	v_fmac_f32_e32 v14, v15, v14
	v_mul_f32_e32 v15, v13, v14
	v_fma_f32 v16, -v12, v15, v13
	v_fmac_f32_e32 v15, v16, v14
	v_fma_f32 v12, -v12, v15, v13
	v_div_fmas_f32 v12, v12, v14, v15
	v_mov_b32_e32 v14, 0x260
	v_div_fixup_f32 v12, v12, v11, v7
	v_fma_f32 v12, v12, v12, 1.0
	v_mul_f32_e32 v13, 0x4f800000, v12
	v_cmp_gt_f32_e32 vcc, s2, v12
	v_cndmask_b32_e32 v12, v12, v13, vcc
	v_sqrt_f32_e32 v13, v12
	v_add_u32_e32 v15, -1, v13
	v_add_u32_e32 v16, 1, v13
	v_fma_f32 v17, -v15, v13, v12
	v_fma_f32 v18, -v16, v13, v12
	v_cmp_ge_f32_e64 s[2:3], 0, v17
	v_cndmask_b32_e64 v13, v13, v15, s[2:3]
	v_cmp_lt_f32_e64 s[2:3], 0, v18
	v_cndmask_b32_e64 v13, v13, v16, s[2:3]
	v_mul_f32_e32 v15, 0x37800000, v13
	v_cndmask_b32_e32 v13, v13, v15, vcc
	v_cmp_class_f32_e32 vcc, v12, v14
	v_cndmask_b32_e32 v12, v13, v12, vcc
	v_mul_f32_e32 v12, v11, v12
.LBB47_131:
	s_cbranch_execz .LBB47_133
	s_branch .LBB47_134
.LBB47_132:
                                        ; implicit-def: $vgpr12
.LBB47_133:
	v_div_scale_f32 v12, s[2:3], v7, v7, v11
	v_div_scale_f32 v13, vcc, v11, v7, v11
	s_mov_b32 s2, 0xf800000
	v_rcp_f32_e32 v14, v12
	v_fma_f32 v15, -v12, v14, 1.0
	v_fmac_f32_e32 v14, v15, v14
	v_mul_f32_e32 v15, v13, v14
	v_fma_f32 v16, -v12, v15, v13
	v_fmac_f32_e32 v15, v16, v14
	v_fma_f32 v12, -v12, v15, v13
	v_div_fmas_f32 v12, v12, v14, v15
	v_mov_b32_e32 v13, 0x260
	v_div_fixup_f32 v11, v12, v7, v11
	v_fma_f32 v11, v11, v11, 1.0
	v_mul_f32_e32 v12, 0x4f800000, v11
	v_cmp_gt_f32_e32 vcc, s2, v11
	v_cndmask_b32_e32 v11, v11, v12, vcc
	v_sqrt_f32_e32 v12, v11
	v_add_u32_e32 v14, -1, v12
	v_add_u32_e32 v15, 1, v12
	v_fma_f32 v16, -v14, v12, v11
	v_fma_f32 v17, -v15, v12, v11
	v_cmp_ge_f32_e64 s[2:3], 0, v16
	v_cndmask_b32_e64 v12, v12, v14, s[2:3]
	v_cmp_lt_f32_e64 s[2:3], 0, v17
	v_cndmask_b32_e64 v12, v12, v15, s[2:3]
	v_mul_f32_e32 v14, 0x37800000, v12
	v_cndmask_b32_e32 v12, v12, v14, vcc
	v_cmp_class_f32_e32 vcc, v11, v13
	v_cndmask_b32_e32 v11, v12, v11, vcc
	v_mul_f32_e32 v12, v7, v11
.LBB47_134:
	s_mov_b32 s2, 0xf800000
	v_mul_f32_e32 v7, 0x4f800000, v12
	v_cmp_gt_f32_e32 vcc, s2, v12
	v_cndmask_b32_e32 v7, v12, v7, vcc
	v_sqrt_f32_e32 v11, v7
	v_add_u32_e32 v12, -1, v11
	v_fma_f32 v13, -v12, v11, v7
	v_cmp_ge_f32_e64 s[2:3], 0, v13
	v_add_u32_e32 v13, 1, v11
	v_cndmask_b32_e64 v12, v11, v12, s[2:3]
	v_fma_f32 v11, -v13, v11, v7
	v_cmp_lt_f32_e64 s[2:3], 0, v11
	v_cndmask_b32_e64 v11, v12, v13, s[2:3]
	v_mul_f32_e32 v12, 0x37800000, v11
	v_cndmask_b32_e32 v11, v11, v12, vcc
	v_mov_b32_e32 v12, 0x260
	v_cmp_class_f32_e32 vcc, v7, v12
	v_cndmask_b32_e32 v11, v11, v7, vcc
	v_mov_b32_e32 v12, 0
	ds_write_b64 v12, v[11:12] offset:1632
.LBB47_135:
	s_or_b64 exec, exec, s[4:5]
	v_mov_b32_e32 v7, 0
	s_waitcnt lgkmcnt(0)
	ds_read_b64 v[11:12], v7 offset:1632
	s_waitcnt lgkmcnt(0)
	v_cmp_neq_f32_e32 vcc, 0, v11
	v_cmp_neq_f32_e64 s[2:3], 0, v12
	s_or_b64 vcc, vcc, s[2:3]
	v_cndmask_b32_e32 v7, 1.0, v11, vcc
	s_nor_b64 s[4:5], vcc, s[0:1]
	v_cndmask_b32_e32 v11, 0, v12, vcc
	s_and_saveexec_b64 s[2:3], s[4:5]
	s_cbranch_execz .LBB47_139
; %bb.136:
	v_mbcnt_lo_u32_b32 v7, exec_lo, 0
	v_mbcnt_hi_u32_b32 v7, exec_hi, v7
	v_cmp_eq_u32_e32 vcc, 0, v7
	s_and_saveexec_b64 s[4:5], vcc
	s_cbranch_execz .LBB47_138
; %bb.137:
	v_mov_b32_e32 v7, 0
	v_mov_b32_e32 v11, s16
	global_atomic_smin v7, v11, s[14:15]
.LBB47_138:
	s_or_b64 exec, exec, s[4:5]
	v_mov_b32_e32 v11, 0
	v_mov_b32_e32 v7, 1.0
.LBB47_139:
	s_or_b64 exec, exec, s[2:3]
	v_cmp_lt_u32_e32 vcc, 6, v1
	s_and_saveexec_b64 s[2:3], vcc
	s_cbranch_execz .LBB47_141
; %bb.140:
	v_mul_f32_e32 v16, v11, v11
	v_fmac_f32_e32 v16, v7, v7
	v_div_scale_f32 v12, s[4:5], v16, v16, 1.0
	v_div_scale_f32 v13, vcc, 1.0, v16, 1.0
	v_rcp_f32_e32 v14, v12
	v_fma_f32 v15, -v12, v14, 1.0
	v_fmac_f32_e32 v14, v15, v14
	v_mul_f32_e32 v15, v13, v14
	v_fma_f32 v17, -v12, v15, v13
	v_fmac_f32_e32 v15, v17, v14
	v_fma_f32 v12, -v12, v15, v13
	v_div_fmas_f32 v17, v12, v14, v15
	ds_read_b64 v[12:13], v5 offset:48
	ds_read_b64 v[14:15], v10 offset:48
	s_waitcnt lgkmcnt(0)
	v_sub_f32_e32 v12, v12, v14
	v_sub_f32_e32 v13, v13, v15
	v_mul_f32_e32 v14, v11, v13
	v_mul_f32_e64 v15, v11, -v12
	v_fmac_f32_e32 v14, v12, v7
	v_fmac_f32_e32 v15, v13, v7
	v_div_fixup_f32 v7, v17, v16, 1.0
	v_mul_f32_e32 v11, v7, v14
	v_mul_f32_e32 v12, v7, v15
	ds_write_b64 v5, v[11:12] offset:48
	s_waitcnt lgkmcnt(0)
	ds_read_b64 v[13:14], v6 offset:48
	ds_read_b64 v[15:16], v8
	s_waitcnt lgkmcnt(0)
	v_fma_f32 v15, v11, v13, v15
	v_fmac_f32_e32 v16, v12, v13
	v_fmac_f32_e32 v15, v12, v14
	v_fma_f32 v16, v11, -v14, v16
	ds_write_b64 v8, v[15:16]
.LBB47_141:
	s_or_b64 exec, exec, s[2:3]
	v_cmp_eq_u32_e32 vcc, 7, v1
	s_waitcnt lgkmcnt(0)
	s_and_saveexec_b64 s[4:5], vcc
	s_cbranch_execz .LBB47_149
; %bb.142:
	s_movk_i32 s2, 0x400
	v_add_u32_e64 v7, s2, 0
	ds_read2_b64 v[13:16], v7 offset0:86 offset1:158
	v_mov_b32_e32 v12, 0
	s_waitcnt lgkmcnt(0)
	v_sub_f32_e32 v7, v13, v15
	v_sub_f32_e32 v13, v14, v16
	v_cmp_gt_f32_e32 vcc, 0, v7
	v_cndmask_b32_e64 v7, v7, -v7, vcc
	v_cmp_gt_f32_e32 vcc, 0, v13
	v_cndmask_b32_e64 v11, v13, -v13, vcc
	v_cmp_gt_f32_e32 vcc, v7, v11
	s_cbranch_vccnz .LBB47_146
; %bb.143:
	v_cmp_eq_f32_e32 vcc, 0, v13
	s_cbranch_vccnz .LBB47_145
; %bb.144:
	v_div_scale_f32 v12, s[2:3], v11, v11, v7
	v_div_scale_f32 v13, vcc, v7, v11, v7
	s_mov_b32 s2, 0xf800000
	v_rcp_f32_e32 v14, v12
	v_fma_f32 v15, -v12, v14, 1.0
	v_fmac_f32_e32 v14, v15, v14
	v_mul_f32_e32 v15, v13, v14
	v_fma_f32 v16, -v12, v15, v13
	v_fmac_f32_e32 v15, v16, v14
	v_fma_f32 v12, -v12, v15, v13
	v_div_fmas_f32 v12, v12, v14, v15
	v_mov_b32_e32 v14, 0x260
	v_div_fixup_f32 v12, v12, v11, v7
	v_fma_f32 v12, v12, v12, 1.0
	v_mul_f32_e32 v13, 0x4f800000, v12
	v_cmp_gt_f32_e32 vcc, s2, v12
	v_cndmask_b32_e32 v12, v12, v13, vcc
	v_sqrt_f32_e32 v13, v12
	v_add_u32_e32 v15, -1, v13
	v_add_u32_e32 v16, 1, v13
	v_fma_f32 v17, -v15, v13, v12
	v_fma_f32 v18, -v16, v13, v12
	v_cmp_ge_f32_e64 s[2:3], 0, v17
	v_cndmask_b32_e64 v13, v13, v15, s[2:3]
	v_cmp_lt_f32_e64 s[2:3], 0, v18
	v_cndmask_b32_e64 v13, v13, v16, s[2:3]
	v_mul_f32_e32 v15, 0x37800000, v13
	v_cndmask_b32_e32 v13, v13, v15, vcc
	v_cmp_class_f32_e32 vcc, v12, v14
	v_cndmask_b32_e32 v12, v13, v12, vcc
	v_mul_f32_e32 v12, v11, v12
.LBB47_145:
	s_cbranch_execz .LBB47_147
	s_branch .LBB47_148
.LBB47_146:
                                        ; implicit-def: $vgpr12
.LBB47_147:
	v_div_scale_f32 v12, s[2:3], v7, v7, v11
	v_div_scale_f32 v13, vcc, v11, v7, v11
	s_mov_b32 s2, 0xf800000
	v_rcp_f32_e32 v14, v12
	v_fma_f32 v15, -v12, v14, 1.0
	v_fmac_f32_e32 v14, v15, v14
	v_mul_f32_e32 v15, v13, v14
	v_fma_f32 v16, -v12, v15, v13
	v_fmac_f32_e32 v15, v16, v14
	v_fma_f32 v12, -v12, v15, v13
	v_div_fmas_f32 v12, v12, v14, v15
	v_mov_b32_e32 v13, 0x260
	v_div_fixup_f32 v11, v12, v7, v11
	v_fma_f32 v11, v11, v11, 1.0
	v_mul_f32_e32 v12, 0x4f800000, v11
	v_cmp_gt_f32_e32 vcc, s2, v11
	v_cndmask_b32_e32 v11, v11, v12, vcc
	v_sqrt_f32_e32 v12, v11
	v_add_u32_e32 v14, -1, v12
	v_add_u32_e32 v15, 1, v12
	v_fma_f32 v16, -v14, v12, v11
	v_fma_f32 v17, -v15, v12, v11
	v_cmp_ge_f32_e64 s[2:3], 0, v16
	v_cndmask_b32_e64 v12, v12, v14, s[2:3]
	v_cmp_lt_f32_e64 s[2:3], 0, v17
	v_cndmask_b32_e64 v12, v12, v15, s[2:3]
	v_mul_f32_e32 v14, 0x37800000, v12
	v_cndmask_b32_e32 v12, v12, v14, vcc
	v_cmp_class_f32_e32 vcc, v11, v13
	v_cndmask_b32_e32 v11, v12, v11, vcc
	v_mul_f32_e32 v12, v7, v11
.LBB47_148:
	s_mov_b32 s2, 0xf800000
	v_mul_f32_e32 v7, 0x4f800000, v12
	v_cmp_gt_f32_e32 vcc, s2, v12
	v_cndmask_b32_e32 v7, v12, v7, vcc
	v_sqrt_f32_e32 v11, v7
	v_add_u32_e32 v12, -1, v11
	v_fma_f32 v13, -v12, v11, v7
	v_cmp_ge_f32_e64 s[2:3], 0, v13
	v_add_u32_e32 v13, 1, v11
	v_cndmask_b32_e64 v12, v11, v12, s[2:3]
	v_fma_f32 v11, -v13, v11, v7
	v_cmp_lt_f32_e64 s[2:3], 0, v11
	v_cndmask_b32_e64 v11, v12, v13, s[2:3]
	v_mul_f32_e32 v12, 0x37800000, v11
	v_cndmask_b32_e32 v11, v11, v12, vcc
	v_mov_b32_e32 v12, 0x260
	v_cmp_class_f32_e32 vcc, v7, v12
	v_cndmask_b32_e32 v11, v11, v7, vcc
	v_mov_b32_e32 v12, 0
	ds_write_b64 v12, v[11:12] offset:1712
.LBB47_149:
	s_or_b64 exec, exec, s[4:5]
	v_mov_b32_e32 v7, 0
	s_waitcnt lgkmcnt(0)
	ds_read_b64 v[11:12], v7 offset:1712
	s_waitcnt lgkmcnt(0)
	v_cmp_neq_f32_e32 vcc, 0, v11
	v_cmp_neq_f32_e64 s[2:3], 0, v12
	s_or_b64 vcc, vcc, s[2:3]
	v_cndmask_b32_e32 v7, 1.0, v11, vcc
	s_nor_b64 s[2:3], vcc, s[0:1]
	v_cndmask_b32_e32 v11, 0, v12, vcc
	s_and_saveexec_b64 s[0:1], s[2:3]
	s_cbranch_execz .LBB47_153
; %bb.150:
	v_mbcnt_lo_u32_b32 v7, exec_lo, 0
	v_mbcnt_hi_u32_b32 v7, exec_hi, v7
	v_cmp_eq_u32_e32 vcc, 0, v7
	s_and_saveexec_b64 s[2:3], vcc
	s_cbranch_execz .LBB47_152
; %bb.151:
	v_mov_b32_e32 v7, 0
	v_mov_b32_e32 v11, s16
	global_atomic_smin v7, v11, s[14:15]
.LBB47_152:
	s_or_b64 exec, exec, s[2:3]
	v_mov_b32_e32 v11, 0
	v_mov_b32_e32 v7, 1.0
.LBB47_153:
	s_or_b64 exec, exec, s[0:1]
	v_cmp_lt_u32_e32 vcc, 7, v1
	s_and_saveexec_b64 s[0:1], vcc
	s_cbranch_execz .LBB47_155
; %bb.154:
	v_mul_f32_e32 v16, v11, v11
	v_fmac_f32_e32 v16, v7, v7
	v_div_scale_f32 v12, s[2:3], v16, v16, 1.0
	v_div_scale_f32 v13, vcc, 1.0, v16, 1.0
	v_rcp_f32_e32 v14, v12
	v_fma_f32 v15, -v12, v14, 1.0
	v_fmac_f32_e32 v14, v15, v14
	v_mul_f32_e32 v15, v13, v14
	v_fma_f32 v17, -v12, v15, v13
	v_fmac_f32_e32 v15, v17, v14
	v_fma_f32 v12, -v12, v15, v13
	v_div_fmas_f32 v17, v12, v14, v15
	ds_read_b64 v[12:13], v5 offset:56
	ds_read_b64 v[14:15], v10 offset:56
	s_waitcnt lgkmcnt(0)
	v_sub_f32_e32 v10, v12, v14
	v_sub_f32_e32 v12, v13, v15
	v_mul_f32_e32 v13, v11, v12
	v_mul_f32_e64 v11, v11, -v10
	v_fmac_f32_e32 v13, v10, v7
	v_fmac_f32_e32 v11, v12, v7
	v_div_fixup_f32 v7, v17, v16, 1.0
	v_mul_f32_e32 v10, v7, v13
	v_mul_f32_e32 v11, v7, v11
	ds_write_b64 v5, v[10:11] offset:56
	s_waitcnt lgkmcnt(0)
	ds_read_b64 v[5:6], v6 offset:56
	ds_read_b64 v[12:13], v8
	s_waitcnt lgkmcnt(0)
	v_fma_f32 v12, v10, v5, v12
	v_fmac_f32_e32 v13, v11, v5
	v_fmac_f32_e32 v12, v11, v6
	v_fma_f32 v13, v10, -v6, v13
	ds_write_b64 v8, v[12:13]
.LBB47_155:
	s_or_b64 exec, exec, s[0:1]
	s_waitcnt lgkmcnt(0)
	ds_read_b64 v[4:5], v4
	v_cmp_eq_u32_e32 vcc, 0, v9
	s_waitcnt lgkmcnt(0)
	global_store_dwordx2 v[2:3], v[4:5], off
	s_and_saveexec_b64 s[0:1], vcc
	s_cbranch_execz .LBB47_157
; %bb.156:
	s_add_u32 s2, s10, s6
	s_addc_u32 s3, s11, s7
	v_mov_b32_e32 v2, 0
	v_mov_b32_e32 v3, 1
	s_waitcnt vmcnt(0)
	global_store_dword v2, v3, s[2:3]
.LBB47_157:
	s_or_b64 exec, exec, s[0:1]
	s_branch .LBB47_7
.LBB47_158:
	v_or_b32_e32 v0, v0, v1
	v_cmp_eq_u32_e32 vcc, 0, v0
	s_and_saveexec_b64 s[0:1], vcc
	s_cbranch_execz .LBB47_7
; %bb.159:
	v_mbcnt_lo_u32_b32 v0, exec_lo, 0
	v_mbcnt_hi_u32_b32 v0, exec_hi, v0
	v_cmp_eq_u32_e32 vcc, 0, v0
	s_and_saveexec_b64 s[0:1], vcc
	s_cbranch_execz .LBB47_161
; %bb.160:
	s_add_i32 s2, s12, s13
	v_mov_b32_e32 v0, 0
	v_mov_b32_e32 v1, s2
	global_atomic_smin v0, v1, s[14:15]
.LBB47_161:
	s_or_b64 exec, exec, s[0:1]
	s_add_u32 s0, s10, s6
	s_addc_u32 s1, s11, s7
	v_mov_b32_e32 v0, 0
	v_mov_b32_e32 v1, 1
	s_waitcnt vmcnt(0)
	global_store_dword v0, v1, s[0:1]
	s_endpgm
	.section	.rodata,"a",@progbits
	.p2align	6, 0x0
	.amdhsa_kernel _ZN9rocsparseL26bsric0_2_8_unrolled_kernelILi64ELi32ELi8E21rocsparse_complex_numIfEEEv20rocsparse_direction_iiPKiS5_PT2_S5_PiS5_S8_21rocsparse_index_base_
		.amdhsa_group_segment_fixed_size 2688
		.amdhsa_private_segment_fixed_size 0
		.amdhsa_kernarg_size 76
		.amdhsa_user_sgpr_count 6
		.amdhsa_user_sgpr_private_segment_buffer 1
		.amdhsa_user_sgpr_dispatch_ptr 0
		.amdhsa_user_sgpr_queue_ptr 0
		.amdhsa_user_sgpr_kernarg_segment_ptr 1
		.amdhsa_user_sgpr_dispatch_id 0
		.amdhsa_user_sgpr_flat_scratch_init 0
		.amdhsa_user_sgpr_private_segment_size 0
		.amdhsa_uses_dynamic_stack 0
		.amdhsa_system_sgpr_private_segment_wavefront_offset 0
		.amdhsa_system_sgpr_workgroup_id_x 1
		.amdhsa_system_sgpr_workgroup_id_y 0
		.amdhsa_system_sgpr_workgroup_id_z 0
		.amdhsa_system_sgpr_workgroup_info 0
		.amdhsa_system_vgpr_workitem_id 1
		.amdhsa_next_free_vgpr 60
		.amdhsa_next_free_sgpr 93
		.amdhsa_reserve_vcc 1
		.amdhsa_reserve_flat_scratch 0
		.amdhsa_float_round_mode_32 0
		.amdhsa_float_round_mode_16_64 0
		.amdhsa_float_denorm_mode_32 3
		.amdhsa_float_denorm_mode_16_64 3
		.amdhsa_dx10_clamp 1
		.amdhsa_ieee_mode 1
		.amdhsa_fp16_overflow 0
		.amdhsa_exception_fp_ieee_invalid_op 0
		.amdhsa_exception_fp_denorm_src 0
		.amdhsa_exception_fp_ieee_div_zero 0
		.amdhsa_exception_fp_ieee_overflow 0
		.amdhsa_exception_fp_ieee_underflow 0
		.amdhsa_exception_fp_ieee_inexact 0
		.amdhsa_exception_int_div_zero 0
	.end_amdhsa_kernel
	.section	.text._ZN9rocsparseL26bsric0_2_8_unrolled_kernelILi64ELi32ELi8E21rocsparse_complex_numIfEEEv20rocsparse_direction_iiPKiS5_PT2_S5_PiS5_S8_21rocsparse_index_base_,"axG",@progbits,_ZN9rocsparseL26bsric0_2_8_unrolled_kernelILi64ELi32ELi8E21rocsparse_complex_numIfEEEv20rocsparse_direction_iiPKiS5_PT2_S5_PiS5_S8_21rocsparse_index_base_,comdat
.Lfunc_end47:
	.size	_ZN9rocsparseL26bsric0_2_8_unrolled_kernelILi64ELi32ELi8E21rocsparse_complex_numIfEEEv20rocsparse_direction_iiPKiS5_PT2_S5_PiS5_S8_21rocsparse_index_base_, .Lfunc_end47-_ZN9rocsparseL26bsric0_2_8_unrolled_kernelILi64ELi32ELi8E21rocsparse_complex_numIfEEEv20rocsparse_direction_iiPKiS5_PT2_S5_PiS5_S8_21rocsparse_index_base_
                                        ; -- End function
	.set _ZN9rocsparseL26bsric0_2_8_unrolled_kernelILi64ELi32ELi8E21rocsparse_complex_numIfEEEv20rocsparse_direction_iiPKiS5_PT2_S5_PiS5_S8_21rocsparse_index_base_.num_vgpr, 60
	.set _ZN9rocsparseL26bsric0_2_8_unrolled_kernelILi64ELi32ELi8E21rocsparse_complex_numIfEEEv20rocsparse_direction_iiPKiS5_PT2_S5_PiS5_S8_21rocsparse_index_base_.num_agpr, 0
	.set _ZN9rocsparseL26bsric0_2_8_unrolled_kernelILi64ELi32ELi8E21rocsparse_complex_numIfEEEv20rocsparse_direction_iiPKiS5_PT2_S5_PiS5_S8_21rocsparse_index_base_.numbered_sgpr, 40
	.set _ZN9rocsparseL26bsric0_2_8_unrolled_kernelILi64ELi32ELi8E21rocsparse_complex_numIfEEEv20rocsparse_direction_iiPKiS5_PT2_S5_PiS5_S8_21rocsparse_index_base_.num_named_barrier, 0
	.set _ZN9rocsparseL26bsric0_2_8_unrolled_kernelILi64ELi32ELi8E21rocsparse_complex_numIfEEEv20rocsparse_direction_iiPKiS5_PT2_S5_PiS5_S8_21rocsparse_index_base_.private_seg_size, 0
	.set _ZN9rocsparseL26bsric0_2_8_unrolled_kernelILi64ELi32ELi8E21rocsparse_complex_numIfEEEv20rocsparse_direction_iiPKiS5_PT2_S5_PiS5_S8_21rocsparse_index_base_.uses_vcc, 1
	.set _ZN9rocsparseL26bsric0_2_8_unrolled_kernelILi64ELi32ELi8E21rocsparse_complex_numIfEEEv20rocsparse_direction_iiPKiS5_PT2_S5_PiS5_S8_21rocsparse_index_base_.uses_flat_scratch, 0
	.set _ZN9rocsparseL26bsric0_2_8_unrolled_kernelILi64ELi32ELi8E21rocsparse_complex_numIfEEEv20rocsparse_direction_iiPKiS5_PT2_S5_PiS5_S8_21rocsparse_index_base_.has_dyn_sized_stack, 0
	.set _ZN9rocsparseL26bsric0_2_8_unrolled_kernelILi64ELi32ELi8E21rocsparse_complex_numIfEEEv20rocsparse_direction_iiPKiS5_PT2_S5_PiS5_S8_21rocsparse_index_base_.has_recursion, 0
	.set _ZN9rocsparseL26bsric0_2_8_unrolled_kernelILi64ELi32ELi8E21rocsparse_complex_numIfEEEv20rocsparse_direction_iiPKiS5_PT2_S5_PiS5_S8_21rocsparse_index_base_.has_indirect_call, 0
	.section	.AMDGPU.csdata,"",@progbits
; Kernel info:
; codeLenInByte = 10544
; TotalNumSgprs: 44
; NumVgprs: 60
; ScratchSize: 0
; MemoryBound: 0
; FloatMode: 240
; IeeeMode: 1
; LDSByteSize: 2688 bytes/workgroup (compile time only)
; SGPRBlocks: 12
; VGPRBlocks: 14
; NumSGPRsForWavesPerEU: 97
; NumVGPRsForWavesPerEU: 60
; Occupancy: 4
; WaveLimiterHint : 1
; COMPUTE_PGM_RSRC2:SCRATCH_EN: 0
; COMPUTE_PGM_RSRC2:USER_SGPR: 6
; COMPUTE_PGM_RSRC2:TRAP_HANDLER: 0
; COMPUTE_PGM_RSRC2:TGID_X_EN: 1
; COMPUTE_PGM_RSRC2:TGID_Y_EN: 0
; COMPUTE_PGM_RSRC2:TGID_Z_EN: 0
; COMPUTE_PGM_RSRC2:TIDIG_COMP_CNT: 1
	.section	.text._ZN9rocsparseL18bsric0_9_16_kernelILi64ELi32ELi16E21rocsparse_complex_numIfEEEv20rocsparse_direction_iiPKiS5_PT2_S5_PiS5_S8_21rocsparse_index_base_,"axG",@progbits,_ZN9rocsparseL18bsric0_9_16_kernelILi64ELi32ELi16E21rocsparse_complex_numIfEEEv20rocsparse_direction_iiPKiS5_PT2_S5_PiS5_S8_21rocsparse_index_base_,comdat
	.globl	_ZN9rocsparseL18bsric0_9_16_kernelILi64ELi32ELi16E21rocsparse_complex_numIfEEEv20rocsparse_direction_iiPKiS5_PT2_S5_PiS5_S8_21rocsparse_index_base_ ; -- Begin function _ZN9rocsparseL18bsric0_9_16_kernelILi64ELi32ELi16E21rocsparse_complex_numIfEEEv20rocsparse_direction_iiPKiS5_PT2_S5_PiS5_S8_21rocsparse_index_base_
	.p2align	8
	.type	_ZN9rocsparseL18bsric0_9_16_kernelILi64ELi32ELi16E21rocsparse_complex_numIfEEEv20rocsparse_direction_iiPKiS5_PT2_S5_PiS5_S8_21rocsparse_index_base_,@function
_ZN9rocsparseL18bsric0_9_16_kernelILi64ELi32ELi16E21rocsparse_complex_numIfEEEv20rocsparse_direction_iiPKiS5_PT2_S5_PiS5_S8_21rocsparse_index_base_: ; @_ZN9rocsparseL18bsric0_9_16_kernelILi64ELi32ELi16E21rocsparse_complex_numIfEEEv20rocsparse_direction_iiPKiS5_PT2_S5_PiS5_S8_21rocsparse_index_base_
; %bb.0:
	s_load_dwordx8 s[8:15], s[4:5], 0x28
	s_mov_b32 s7, 0
	s_lshl_b64 s[0:1], s[6:7], 2
	s_waitcnt lgkmcnt(0)
	s_add_u32 s0, s12, s0
	s_addc_u32 s1, s13, s1
	s_load_dword s20, s[0:1], 0x0
	s_waitcnt lgkmcnt(0)
	s_ashr_i32 s21, s20, 31
	s_lshl_b64 s[12:13], s[20:21], 2
	s_add_u32 s0, s8, s12
	s_addc_u32 s1, s9, s13
	s_load_dword s33, s[0:1], 0x0
	s_load_dword s21, s[4:5], 0x48
	s_waitcnt lgkmcnt(0)
	s_cmp_lg_u32 s33, -1
	s_cbranch_scc0 .LBB48_134
; %bb.1:
	s_load_dwordx4 s[16:19], s[4:5], 0x10
	s_load_dwordx2 s[22:23], s[4:5], 0x20
	v_lshlrev_b32_e32 v2, 2, v1
	s_waitcnt lgkmcnt(0)
	s_add_u32 s0, s16, s12
	s_addc_u32 s1, s17, s13
	s_load_dword s0, s[0:1], 0x0
	s_waitcnt lgkmcnt(0)
	s_sub_i32 s46, s0, s21
	v_add3_u32 v2, v2, v0, s46
	v_cmp_ge_i32_e32 vcc, s33, v2
	s_and_saveexec_b64 s[0:1], vcc
	s_cbranch_execz .LBB48_4
; %bb.2:
	v_lshlrev_b32_e32 v3, 4, v1
	v_lshlrev_b32_e32 v4, 2, v0
	s_movk_i32 s2, 0x2300
	v_add3_u32 v4, v3, v4, s2
	s_mov_b64 s[2:3], 0
	v_mov_b32_e32 v5, s19
.LBB48_3:                               ; =>This Inner Loop Header: Depth=1
	v_ashrrev_i32_e32 v3, 31, v2
	v_lshlrev_b64 v[6:7], 2, v[2:3]
	v_add_u32_e32 v2, 64, v2
	v_add_co_u32_e32 v6, vcc, s18, v6
	v_addc_co_u32_e32 v7, vcc, v5, v7, vcc
	global_load_dword v3, v[6:7], off
	v_cmp_lt_i32_e32 vcc, s33, v2
	s_or_b64 s[2:3], vcc, s[2:3]
	s_waitcnt vmcnt(0)
	v_subrev_u32_e32 v3, s21, v3
	ds_write_b32 v4, v3
	v_add_u32_e32 v4, 0x100, v4
	s_andn2_b64 exec, exec, s[2:3]
	s_cbranch_execnz .LBB48_3
.LBB48_4:
	s_or_b64 exec, exec, s[0:1]
	v_cmp_gt_u32_e32 vcc, 16, v0
	v_lshlrev_b32_e32 v11, 3, v0
	s_and_saveexec_b64 s[0:1], vcc
	s_cbranch_execz .LBB48_7
; %bb.5:
	v_mul_u32_u24_e32 v2, 0x88, v1
	s_movk_i32 s2, 0x1980
	v_add3_u32 v5, v2, v11, s2
	v_mov_b32_e32 v2, 0
	v_add_u32_e32 v4, -4, v0
	s_mov_b64 s[2:3], 0
	v_mov_b32_e32 v3, v2
.LBB48_6:                               ; =>This Inner Loop Header: Depth=1
	v_add_u32_e32 v4, 4, v4
	v_cmp_lt_u32_e32 vcc, 11, v4
	ds_write_b64 v5, v[2:3]
	s_or_b64 s[2:3], vcc, s[2:3]
	v_add_u32_e32 v5, 32, v5
	s_andn2_b64 exec, exec, s[2:3]
	s_cbranch_execnz .LBB48_6
.LBB48_7:
	s_or_b64 exec, exec, s[0:1]
	s_load_dword s44, s[4:5], 0x8
	s_load_dword s45, s[4:5], 0x0
	s_cmp_ge_i32 s46, s33
	s_waitcnt lgkmcnt(0)
	v_cmp_gt_i32_e64 s[0:1], s44, v0
	s_cbranch_scc1 .LBB48_89
; %bb.8:
	s_movk_i32 s6, 0x88
	v_mov_b32_e32 v3, 0x880
	v_mad_u32_u24 v13, v1, s6, v3
	v_or_b32_e32 v3, v0, v1
	s_mul_i32 s7, s44, s46
	v_cmp_ne_u32_e64 s[4:5], 0, v3
	v_add_u32_e32 v3, s7, v1
	v_mul_lo_u32 v14, s44, v1
	v_mul_lo_u32 v18, s44, v3
	;; [unrolled: 1-line block ×3, first 2 shown]
	s_cmp_lg_u32 s45, 0
	s_cselect_b64 s[24:25], -1, 0
	v_mov_b32_e32 v2, 0x1100
	s_cmp_gt_i32 s44, 0
	v_mad_u32_u24 v15, v1, s6, v11
	v_cmp_gt_i32_e64 s[2:3], s44, v1
	v_mad_u32_u24 v12, v1, s6, v2
	s_mul_i32 s47, s44, s44
	s_cselect_b64 s[26:27], -1, 0
	v_add_u32_e32 v16, 0x880, v15
	s_lshl_b32 s48, s44, 2
	v_add_u32_e32 v19, 0x1980, v15
	v_mad_u32_u24 v20, v0, s6, v2
	v_add_u32_e32 v21, 0x1100, v15
	v_mov_b32_e32 v2, 0
	s_mov_b32 s28, s46
	s_branch .LBB48_10
.LBB48_9:                               ;   in Loop: Header=BB48_10 Depth=1
	s_or_b64 exec, exec, s[6:7]
	s_add_i32 s28, s28, 1
	s_cmp_ge_i32 s28, s33
	s_waitcnt vmcnt(0)
	buffer_wbinvl1_vol
	v_add_u32_e32 v18, s47, v18
	s_cselect_b64 s[6:7], -1, 0
	s_and_b64 vcc, exec, s[6:7]
	s_cbranch_vccnz .LBB48_89
.LBB48_10:                              ; =>This Loop Header: Depth=1
                                        ;     Child Loop BB48_14 Depth 2
                                        ;     Child Loop BB48_26 Depth 2
	;; [unrolled: 1-line block ×5, first 2 shown]
                                        ;       Child Loop BB48_56 Depth 3
                                        ;     Child Loop BB48_70 Depth 2
                                        ;       Child Loop BB48_75 Depth 3
                                        ;       Child Loop BB48_78 Depth 3
                                        ;     Child Loop BB48_84 Depth 2
	s_ashr_i32 s29, s28, 31
	s_lshl_b64 s[6:7], s[28:29], 2
	s_add_u32 s6, s18, s6
	s_addc_u32 s7, s19, s7
	s_load_dword s49, s[6:7], 0x0
	s_waitcnt lgkmcnt(0)
	s_sub_i32 s30, s49, s21
	s_ashr_i32 s31, s30, 31
	s_lshl_b64 s[6:7], s[30:31], 2
	s_add_u32 s34, s8, s6
	s_addc_u32 s35, s9, s7
	s_load_dword s31, s[34:35], 0x0
	s_waitcnt lgkmcnt(0)
	s_cmp_eq_u32 s31, -1
	s_cbranch_scc1 .LBB48_88
; %bb.11:                               ;   in Loop: Header=BB48_10 Depth=1
	s_add_u32 s34, s16, s6
	s_addc_u32 s35, s17, s7
	s_load_dword s50, s[34:35], 0x0
	s_mul_i32 s29, s28, s44
	s_and_saveexec_b64 s[34:35], s[0:1]
	s_cbranch_execz .LBB48_24
; %bb.12:                               ;   in Loop: Header=BB48_10 Depth=1
	s_mov_b64 s[36:37], 0
	v_mov_b32_e32 v6, v16
	v_mov_b32_e32 v7, v0
	s_branch .LBB48_14
.LBB48_13:                              ;   in Loop: Header=BB48_14 Depth=2
	s_or_b64 exec, exec, s[40:41]
	v_add_u32_e32 v7, 4, v7
	v_mov_b32_e32 v3, v2
	v_cmp_le_i32_e32 vcc, s44, v7
	s_waitcnt vmcnt(0)
	ds_write_b64 v6, v[4:5] offset:2176
	ds_write_b64 v6, v[2:3]
	s_or_b64 s[36:37], vcc, s[36:37]
	v_add_u32_e32 v6, 32, v6
	s_andn2_b64 exec, exec, s[36:37]
	s_cbranch_execz .LBB48_24
.LBB48_14:                              ;   Parent Loop BB48_10 Depth=1
                                        ; =>  This Inner Loop Header: Depth=2
	s_and_b64 vcc, exec, s[24:25]
	s_cbranch_vccz .LBB48_21
; %bb.15:                               ;   in Loop: Header=BB48_14 Depth=2
	s_mov_b64 s[40:41], 0
	s_mov_b64 s[38:39], 0
                                        ; implicit-def: $vgpr3
	s_and_saveexec_b64 s[42:43], s[2:3]
	s_xor_b64 s[42:43], exec, s[42:43]
; %bb.16:                               ;   in Loop: Header=BB48_14 Depth=2
	v_add_u32_e32 v3, s29, v7
	s_mov_b64 s[38:39], exec
	v_mad_u64_u32 v[3:4], s[52:53], v3, s44, v[1:2]
; %bb.17:                               ;   in Loop: Header=BB48_14 Depth=2
	s_or_b64 exec, exec, s[42:43]
	s_and_b64 vcc, exec, s[40:41]
	s_cbranch_vccz .LBB48_22
.LBB48_18:                              ;   in Loop: Header=BB48_14 Depth=2
                                        ; implicit-def: $vgpr3
	s_and_saveexec_b64 s[40:41], s[2:3]
; %bb.19:                               ;   in Loop: Header=BB48_14 Depth=2
	v_add_u32_e32 v3, v18, v7
	s_or_b64 s[38:39], s[38:39], exec
; %bb.20:                               ;   in Loop: Header=BB48_14 Depth=2
	s_or_b64 exec, exec, s[40:41]
	v_mov_b32_e32 v4, 0
	v_mov_b32_e32 v5, 0
	s_and_saveexec_b64 s[40:41], s[38:39]
	s_cbranch_execz .LBB48_13
	s_branch .LBB48_23
.LBB48_21:                              ;   in Loop: Header=BB48_14 Depth=2
	s_mov_b64 s[38:39], 0
                                        ; implicit-def: $vgpr3
	s_cbranch_execnz .LBB48_18
.LBB48_22:                              ;   in Loop: Header=BB48_14 Depth=2
	v_mov_b32_e32 v4, 0
	v_mov_b32_e32 v5, 0
	s_and_saveexec_b64 s[40:41], s[38:39]
	s_cbranch_execz .LBB48_13
.LBB48_23:                              ;   in Loop: Header=BB48_14 Depth=2
	v_ashrrev_i32_e32 v4, 31, v3
	v_lshlrev_b64 v[3:4], 3, v[3:4]
	v_mov_b32_e32 v5, s23
	v_add_co_u32_e32 v3, vcc, s22, v3
	v_addc_co_u32_e32 v4, vcc, v5, v4, vcc
	global_load_dwordx2 v[4:5], v[3:4], off
	s_branch .LBB48_13
.LBB48_24:                              ;   in Loop: Header=BB48_10 Depth=1
	s_or_b64 exec, exec, s[34:35]
	ds_read_b32 v3, v2 offset:8960
	s_waitcnt lgkmcnt(0)
	s_sub_i32 s34, s50, s21
	s_cmp_le_i32 s34, s31
	s_cselect_b64 s[36:37], -1, 0
	s_mov_b32 s40, 0
	v_cmp_ge_i32_e32 vcc, s30, v3
	s_and_b64 s[36:37], s[36:37], vcc
	s_andn2_b64 vcc, exec, s[36:37]
	s_cbranch_vccnz .LBB48_36
; %bb.25:                               ;   in Loop: Header=BB48_10 Depth=1
	s_mov_b32 s38, 0
	s_mov_b32 s39, 0
.LBB48_26:                              ;   Parent Loop BB48_10 Depth=1
                                        ; =>  This Inner Loop Header: Depth=2
	s_ashr_i32 s35, s34, 31
	s_lshl_b64 s[36:37], s[34:35], 2
	s_add_u32 s36, s18, s36
	s_addc_u32 s37, s19, s37
	s_load_dword s35, s[36:37], 0x0
	s_lshl_b32 s36, s39, 2
	v_mov_b32_e32 v3, s36
	ds_read_b32 v3, v3 offset:8960
	s_mov_b64 s[36:37], -1
	s_waitcnt lgkmcnt(0)
	s_sub_i32 s43, s35, s21
                                        ; implicit-def: $sgpr40
                                        ; implicit-def: $sgpr42
                                        ; implicit-def: $sgpr41
	v_cmp_ge_i32_e32 vcc, s43, v3
	v_readfirstlane_b32 s35, v3
	s_cbranch_vccz .LBB48_32
; %bb.27:                               ;   in Loop: Header=BB48_26 Depth=2
	s_cmp_le_i32 s43, s35
                                        ; implicit-def: $sgpr40
                                        ; implicit-def: $sgpr42
                                        ; implicit-def: $sgpr41
	s_cbranch_scc0 .LBB48_29
; %bb.28:                               ;   in Loop: Header=BB48_26 Depth=2
	s_add_i32 s36, s39, s46
	s_mul_i32 s36, s36, s47
	s_lshl_b32 s37, s38, 2
	v_mov_b32_e32 v3, s37
	v_mov_b32_e32 v4, s36
	s_mul_i32 s36, s34, s47
	v_mov_b32_e32 v5, s36
	v_add_u32_e32 v3, 0x2000, v3
	ds_write2_b32 v3, v5, v4 offset0:128 offset1:160
	s_add_i32 s41, s39, 1
	s_add_i32 s42, s34, 1
	;; [unrolled: 1-line block ×3, first 2 shown]
	s_mov_b64 s[36:37], 0
.LBB48_29:                              ;   in Loop: Header=BB48_26 Depth=2
	s_andn2_b64 vcc, exec, s[36:37]
	s_cbranch_vccnz .LBB48_31
; %bb.30:                               ;   in Loop: Header=BB48_26 Depth=2
	s_add_i32 s41, s39, 1
	s_mov_b32 s40, s38
	s_mov_b32 s42, s34
.LBB48_31:                              ;   in Loop: Header=BB48_26 Depth=2
	s_mov_b64 s[36:37], 0
.LBB48_32:                              ;   in Loop: Header=BB48_26 Depth=2
	s_andn2_b64 vcc, exec, s[36:37]
	s_cbranch_vccnz .LBB48_34
; %bb.33:                               ;   in Loop: Header=BB48_26 Depth=2
	s_add_i32 s42, s34, 1
	s_mov_b32 s41, s39
	s_mov_b32 s40, s38
.LBB48_34:                              ;   in Loop: Header=BB48_26 Depth=2
	s_cmp_le_i32 s42, s31
	s_cselect_b64 s[36:37], -1, 0
	s_cmp_le_i32 s35, s30
	s_cselect_b64 s[34:35], -1, 0
	s_and_b64 s[34:35], s[36:37], s[34:35]
	s_and_b64 vcc, exec, s[34:35]
	s_cbranch_vccz .LBB48_36
; %bb.35:                               ;   in Loop: Header=BB48_26 Depth=2
	s_mov_b32 s38, s40
	s_mov_b32 s34, s42
	;; [unrolled: 1-line block ×3, first 2 shown]
	s_branch .LBB48_26
.LBB48_36:                              ;   in Loop: Header=BB48_10 Depth=1
	s_add_u32 s6, s10, s6
	s_addc_u32 s7, s11, s7
	s_waitcnt lgkmcnt(0)
.LBB48_37:                              ;   Parent Loop BB48_10 Depth=1
                                        ; =>  This Inner Loop Header: Depth=2
	global_load_dword v3, v2, s[6:7] glc
	s_waitcnt vmcnt(0)
	v_cmp_eq_u32_e32 vcc, 0, v3
	s_cbranch_vccnz .LBB48_37
; %bb.38:                               ;   in Loop: Header=BB48_10 Depth=1
	buffer_wbinvl1_vol
	s_and_saveexec_b64 s[6:7], s[0:1]
	s_cbranch_execz .LBB48_51
; %bb.39:                               ;   in Loop: Header=BB48_10 Depth=1
	s_mul_i32 s41, s31, s44
	v_add_u32_e32 v3, s41, v1
	v_mul_lo_u32 v6, v3, s44
	s_mov_b64 s[30:31], 0
	v_mov_b32_e32 v7, v15
	v_mov_b32_e32 v8, v0
	s_branch .LBB48_41
.LBB48_40:                              ;   in Loop: Header=BB48_41 Depth=2
	s_or_b64 exec, exec, s[36:37]
	v_add_u32_e32 v8, 4, v8
	v_cmp_le_i32_e32 vcc, s44, v8
	s_waitcnt vmcnt(0)
	ds_write_b64 v7, v[4:5]
	s_or_b64 s[30:31], vcc, s[30:31]
	v_add_u32_e32 v7, 32, v7
	s_andn2_b64 exec, exec, s[30:31]
	s_cbranch_execz .LBB48_51
.LBB48_41:                              ;   Parent Loop BB48_10 Depth=1
                                        ; =>  This Inner Loop Header: Depth=2
	s_and_b64 vcc, exec, s[24:25]
	s_cbranch_vccz .LBB48_48
; %bb.42:                               ;   in Loop: Header=BB48_41 Depth=2
	s_mov_b64 s[36:37], 0
	s_mov_b64 s[34:35], 0
                                        ; implicit-def: $vgpr3
	s_and_saveexec_b64 s[38:39], s[2:3]
	s_xor_b64 s[38:39], exec, s[38:39]
; %bb.43:                               ;   in Loop: Header=BB48_41 Depth=2
	v_add_u32_e32 v3, s41, v8
	s_mov_b64 s[34:35], exec
	v_mad_u64_u32 v[3:4], s[42:43], v3, s44, v[1:2]
; %bb.44:                               ;   in Loop: Header=BB48_41 Depth=2
	s_or_b64 exec, exec, s[38:39]
	s_and_b64 vcc, exec, s[36:37]
	s_cbranch_vccz .LBB48_49
.LBB48_45:                              ;   in Loop: Header=BB48_41 Depth=2
                                        ; implicit-def: $vgpr3
	s_and_saveexec_b64 s[36:37], s[2:3]
; %bb.46:                               ;   in Loop: Header=BB48_41 Depth=2
	v_add_u32_e32 v3, v6, v8
	s_or_b64 s[34:35], s[34:35], exec
; %bb.47:                               ;   in Loop: Header=BB48_41 Depth=2
	s_or_b64 exec, exec, s[36:37]
	v_mov_b32_e32 v4, 0
	v_mov_b32_e32 v5, 0
	s_and_saveexec_b64 s[36:37], s[34:35]
	s_cbranch_execz .LBB48_40
	s_branch .LBB48_50
.LBB48_48:                              ;   in Loop: Header=BB48_41 Depth=2
	s_mov_b64 s[34:35], 0
                                        ; implicit-def: $vgpr3
	s_cbranch_execnz .LBB48_45
.LBB48_49:                              ;   in Loop: Header=BB48_41 Depth=2
	v_mov_b32_e32 v4, 0
	v_mov_b32_e32 v5, 0
	s_and_saveexec_b64 s[36:37], s[34:35]
	s_cbranch_execz .LBB48_40
.LBB48_50:                              ;   in Loop: Header=BB48_41 Depth=2
	v_ashrrev_i32_e32 v4, 31, v3
	v_lshlrev_b64 v[3:4], 3, v[3:4]
	v_mov_b32_e32 v5, s23
	v_add_co_u32_e32 v3, vcc, s22, v3
	v_addc_co_u32_e32 v4, vcc, v5, v4, vcc
	global_load_dwordx2 v[4:5], v[3:4], off
	s_branch .LBB48_40
.LBB48_51:                              ;   in Loop: Header=BB48_10 Depth=1
	s_or_b64 exec, exec, s[6:7]
	s_cmp_lt_i32 s40, 2
	s_cbranch_scc1 .LBB48_67
; %bb.52:                               ;   in Loop: Header=BB48_10 Depth=1
	s_add_i32 s36, s40, -2
	s_mov_b32 s37, 0
	s_branch .LBB48_54
.LBB48_53:                              ;   in Loop: Header=BB48_54 Depth=2
	s_or_b64 exec, exec, s[6:7]
	s_add_i32 s6, s37, 1
	s_cmp_eq_u32 s37, s36
	s_mov_b32 s37, s6
	s_cbranch_scc1 .LBB48_67
.LBB48_54:                              ;   Parent Loop BB48_10 Depth=1
                                        ; =>  This Loop Header: Depth=2
                                        ;       Child Loop BB48_56 Depth 3
	s_and_saveexec_b64 s[6:7], s[0:1]
	s_cbranch_execz .LBB48_53
; %bb.55:                               ;   in Loop: Header=BB48_54 Depth=2
	s_lshl_b32 s30, s37, 2
	v_mov_b32_e32 v3, s30
	v_add_u32_e32 v3, 0x2000, v3
	ds_read2_b32 v[3:4], v3 offset0:128 offset1:160
	s_mov_b64 s[30:31], 0
	v_mov_b32_e32 v26, v0
	s_waitcnt lgkmcnt(0)
	v_add_u32_e32 v22, v4, v14
	v_add_u32_e32 v23, v1, v4
	;; [unrolled: 1-line block ×4, first 2 shown]
.LBB48_56:                              ;   Parent Loop BB48_10 Depth=1
                                        ;     Parent Loop BB48_54 Depth=2
                                        ; =>    This Inner Loop Header: Depth=3
	v_mov_b32_e32 v27, 0
	s_mov_b32 s38, 0
	v_mov_b32_e32 v3, v24
	v_mov_b32_e32 v5, v23
	v_mov_b32_e32 v28, 0
	s_and_b64 vcc, exec, s[24:25]
	s_cbranch_vccnz .LBB48_59
	s_branch .LBB48_58
.LBB48_57:                              ;   in Loop: Header=BB48_56 Depth=3
	v_mov_b32_e32 v27, v6
	v_mov_b32_e32 v28, v4
	s_and_b64 vcc, exec, s[24:25]
	s_cbranch_vccnz .LBB48_59
.LBB48_58:                              ;   in Loop: Header=BB48_56 Depth=3
                                        ; implicit-def: $vgpr6
                                        ; implicit-def: $vgpr4
	s_cbranch_execz .LBB48_65
	s_branch .LBB48_62
.LBB48_59:                              ;   in Loop: Header=BB48_56 Depth=3
	v_ashrrev_i32_e32 v4, 31, v3
	v_lshlrev_b64 v[6:7], 3, v[3:4]
	v_mov_b32_e32 v4, s23
	v_add_co_u32_e32 v6, vcc, s22, v6
	v_addc_co_u32_e32 v7, vcc, v4, v7, vcc
	global_load_dwordx2 v[7:8], v[6:7], off
	v_mov_b32_e32 v9, 0
	v_mov_b32_e32 v10, 0
	s_and_saveexec_b64 s[34:35], s[2:3]
	s_cbranch_execz .LBB48_61
; %bb.60:                               ;   in Loop: Header=BB48_56 Depth=3
	v_ashrrev_i32_e32 v6, 31, v5
	v_lshlrev_b64 v[9:10], 3, v[5:6]
	v_mov_b32_e32 v4, s23
	v_add_co_u32_e32 v9, vcc, s22, v9
	v_addc_co_u32_e32 v10, vcc, v4, v10, vcc
	global_load_dwordx2 v[9:10], v[9:10], off
.LBB48_61:                              ;   in Loop: Header=BB48_56 Depth=3
	s_or_b64 exec, exec, s[34:35]
	s_waitcnt vmcnt(0)
	v_fma_f32 v4, v7, v9, v28
	v_fma_f32 v6, v8, v9, v27
	v_fmac_f32_e32 v4, v8, v10
	v_fma_f32 v6, v7, -v10, v6
	s_branch .LBB48_65
.LBB48_62:                              ;   in Loop: Header=BB48_56 Depth=3
	v_add_u32_e32 v6, s38, v25
	v_ashrrev_i32_e32 v7, 31, v6
	v_lshlrev_b64 v[6:7], 3, v[6:7]
	v_mov_b32_e32 v4, s23
	v_add_co_u32_e32 v6, vcc, s22, v6
	v_addc_co_u32_e32 v7, vcc, v4, v7, vcc
	global_load_dwordx2 v[6:7], v[6:7], off
	v_mov_b32_e32 v8, 0
	v_mov_b32_e32 v9, 0
	s_and_saveexec_b64 s[34:35], s[2:3]
	s_cbranch_execz .LBB48_64
; %bb.63:                               ;   in Loop: Header=BB48_56 Depth=3
	v_add_u32_e32 v8, s38, v22
	v_ashrrev_i32_e32 v9, 31, v8
	v_lshlrev_b64 v[8:9], 3, v[8:9]
	v_mov_b32_e32 v4, s23
	v_add_co_u32_e32 v8, vcc, s22, v8
	v_addc_co_u32_e32 v9, vcc, v4, v9, vcc
	global_load_dwordx2 v[8:9], v[8:9], off
.LBB48_64:                              ;   in Loop: Header=BB48_56 Depth=3
	s_or_b64 exec, exec, s[34:35]
	s_waitcnt vmcnt(0)
	v_fmac_f32_e32 v28, v6, v8
	v_fmac_f32_e32 v28, v7, v9
	;; [unrolled: 1-line block ×3, first 2 shown]
	v_fma_f32 v6, v6, -v9, v27
	v_mov_b32_e32 v4, v28
.LBB48_65:                              ;   in Loop: Header=BB48_56 Depth=3
	s_add_i32 s38, s38, 1
	v_add_u32_e32 v5, s44, v5
	s_cmp_eq_u32 s44, s38
	v_add_u32_e32 v3, s44, v3
	s_cbranch_scc0 .LBB48_57
; %bb.66:                               ;   in Loop: Header=BB48_56 Depth=3
	v_lshl_add_u32 v5, v26, 3, v13
	ds_read_b64 v[7:8], v5
	v_add_u32_e32 v26, 4, v26
	v_cmp_le_i32_e32 vcc, s44, v26
	v_add_u32_e32 v24, 4, v24
	s_or_b64 s[30:31], vcc, s[30:31]
	s_waitcnt lgkmcnt(0)
	v_add_f32_e32 v3, v4, v7
	v_add_f32_e32 v4, v6, v8
	v_add_u32_e32 v25, s48, v25
	ds_write_b64 v5, v[3:4]
	s_andn2_b64 exec, exec, s[30:31]
	s_cbranch_execnz .LBB48_56
	s_branch .LBB48_53
.LBB48_67:                              ;   in Loop: Header=BB48_10 Depth=1
	s_andn2_b64 vcc, exec, s[26:27]
	s_waitcnt lgkmcnt(0)
	s_cbranch_vccnz .LBB48_79
; %bb.68:                               ;   in Loop: Header=BB48_10 Depth=1
	s_mov_b32 s34, 0
	v_mov_b32_e32 v7, v20
	s_mov_b32 s35, 0
	s_branch .LBB48_70
.LBB48_69:                              ;   in Loop: Header=BB48_70 Depth=2
	s_or_b64 exec, exec, s[6:7]
	s_add_i32 s35, s35, 1
	s_addk_i32 s34, 0x88
	s_cmp_eq_u32 s35, s44
	v_add_u32_e32 v7, 8, v7
	s_waitcnt lgkmcnt(0)
	s_cbranch_scc1 .LBB48_79
.LBB48_70:                              ;   Parent Loop BB48_10 Depth=1
                                        ; =>  This Loop Header: Depth=2
                                        ;       Child Loop BB48_75 Depth 3
                                        ;       Child Loop BB48_78 Depth 3
	s_lshl_b32 s6, s35, 3
	s_mul_i32 s7, s35, 0x88
	s_add_i32 s7, s7, s6
	v_mov_b32_e32 v3, s7
	ds_read_b64 v[5:6], v3
	v_add_u32_e32 v8, s6, v12
	ds_read_b64 v[3:4], v8
	s_waitcnt lgkmcnt(1)
	v_cmp_neq_f32_e32 vcc, 0, v5
	v_cmp_neq_f32_e64 s[6:7], 0, v6
	s_or_b64 vcc, vcc, s[6:7]
	v_cndmask_b32_e32 v9, 1.0, v5, vcc
	s_nor_b64 s[30:31], vcc, s[4:5]
	v_cndmask_b32_e32 v10, 0, v6, vcc
	s_and_saveexec_b64 s[6:7], s[30:31]
	s_cbranch_execz .LBB48_74
; %bb.71:                               ;   in Loop: Header=BB48_70 Depth=2
	v_mbcnt_lo_u32_b32 v5, exec_lo, 0
	v_mbcnt_hi_u32_b32 v5, exec_hi, v5
	v_cmp_eq_u32_e32 vcc, 0, v5
	s_and_saveexec_b64 s[30:31], vcc
	s_cbranch_execz .LBB48_73
; %bb.72:                               ;   in Loop: Header=BB48_70 Depth=2
	v_mov_b32_e32 v5, s49
	global_atomic_smin v2, v5, s[14:15]
.LBB48_73:                              ;   in Loop: Header=BB48_70 Depth=2
	s_or_b64 exec, exec, s[30:31]
	v_mov_b32_e32 v10, 0
	v_mov_b32_e32 v9, 1.0
.LBB48_74:                              ;   in Loop: Header=BB48_70 Depth=2
	s_or_b64 exec, exec, s[6:7]
	v_lshl_add_u32 v5, s35, 3, v13
	ds_read_b64 v[5:6], v5
	s_cmp_eq_u32 s35, 0
	v_mov_b32_e32 v22, v12
	s_mov_b32 s6, s34
	s_mov_b32 s7, s35
	s_cbranch_scc1 .LBB48_76
.LBB48_75:                              ;   Parent Loop BB48_10 Depth=1
                                        ;     Parent Loop BB48_70 Depth=2
                                        ; =>    This Inner Loop Header: Depth=3
	v_mov_b32_e32 v25, s6
	ds_read_b64 v[23:24], v22
	ds_read_b64 v[25:26], v25
	s_add_i32 s7, s7, -1
	s_add_i32 s6, s6, 8
	v_add_u32_e32 v22, 8, v22
	s_cmp_eq_u32 s7, 0
	s_waitcnt lgkmcnt(0)
	v_fmac_f32_e32 v5, v25, v23
	v_fmac_f32_e32 v6, v26, v23
	;; [unrolled: 1-line block ×3, first 2 shown]
	v_fma_f32 v6, v25, -v24, v6
	s_cbranch_scc0 .LBB48_75
.LBB48_76:                              ;   in Loop: Header=BB48_70 Depth=2
	v_mul_f32_e32 v22, v10, v10
	v_fmac_f32_e32 v22, v9, v9
	v_div_scale_f32 v23, s[6:7], v22, v22, 1.0
	v_div_scale_f32 v24, vcc, 1.0, v22, 1.0
	s_waitcnt lgkmcnt(0)
	v_sub_f32_e32 v3, v3, v5
	v_sub_f32_e32 v4, v4, v6
	v_mul_f32_e32 v5, v10, v4
	v_mul_f32_e64 v6, v10, -v3
	v_fmac_f32_e32 v5, v3, v9
	v_fmac_f32_e32 v6, v4, v9
	v_rcp_f32_e32 v25, v23
	v_fma_f32 v26, -v23, v25, 1.0
	v_fmac_f32_e32 v25, v26, v25
	v_mul_f32_e32 v26, v24, v25
	v_fma_f32 v27, -v23, v26, v24
	v_fmac_f32_e32 v26, v27, v25
	v_fma_f32 v23, -v23, v26, v24
	v_div_fmas_f32 v23, v23, v25, v26
	v_div_fixup_f32 v4, v23, v22, 1.0
	v_mul_f32_e32 v3, v4, v5
	v_mul_f32_e32 v4, v4, v6
	ds_write_b64 v8, v[3:4]
	s_waitcnt lgkmcnt(0)
	s_and_saveexec_b64 s[6:7], s[0:1]
	s_cbranch_execz .LBB48_69
; %bb.77:                               ;   in Loop: Header=BB48_70 Depth=2
	s_mov_b64 s[30:31], 0
	v_mov_b32_e32 v5, v7
	v_mov_b32_e32 v6, v19
	;; [unrolled: 1-line block ×3, first 2 shown]
.LBB48_78:                              ;   Parent Loop BB48_10 Depth=1
                                        ;     Parent Loop BB48_70 Depth=2
                                        ; =>    This Inner Loop Header: Depth=3
	ds_read_b64 v[9:10], v5
	ds_read_b64 v[22:23], v6
	v_add_u32_e32 v8, 4, v8
	v_cmp_le_i32_e32 vcc, s44, v8
	s_or_b64 s[30:31], vcc, s[30:31]
	v_add_u32_e32 v5, 0x220, v5
	s_waitcnt lgkmcnt(0)
	v_fma_f32 v22, v3, v9, v22
	v_fmac_f32_e32 v23, v4, v9
	v_fmac_f32_e32 v22, v4, v10
	v_fma_f32 v23, v3, -v10, v23
	ds_write_b64 v6, v[22:23]
	v_add_u32_e32 v6, 32, v6
	s_andn2_b64 exec, exec, s[30:31]
	s_cbranch_execnz .LBB48_78
	s_branch .LBB48_69
.LBB48_79:                              ;   in Loop: Header=BB48_10 Depth=1
	s_and_saveexec_b64 s[6:7], s[0:1]
	s_cbranch_execz .LBB48_9
; %bb.80:                               ;   in Loop: Header=BB48_10 Depth=1
	s_mov_b64 s[30:31], 0
	v_mov_b32_e32 v5, v21
	v_mov_b32_e32 v6, v0
	s_branch .LBB48_84
.LBB48_81:                              ;   in Loop: Header=BB48_84 Depth=2
	v_add_u32_e32 v3, v18, v6
.LBB48_82:                              ;   in Loop: Header=BB48_84 Depth=2
	v_ashrrev_i32_e32 v4, 31, v3
	ds_read_b64 v[7:8], v5
	v_lshlrev_b64 v[3:4], 3, v[3:4]
	v_mov_b32_e32 v9, s23
	v_add_co_u32_e32 v3, vcc, s22, v3
	v_addc_co_u32_e32 v4, vcc, v9, v4, vcc
	s_waitcnt lgkmcnt(0)
	global_store_dwordx2 v[3:4], v[7:8], off
.LBB48_83:                              ;   in Loop: Header=BB48_84 Depth=2
	s_or_b64 exec, exec, s[34:35]
	v_add_u32_e32 v6, 4, v6
	v_cmp_le_i32_e32 vcc, s44, v6
	s_or_b64 s[30:31], vcc, s[30:31]
	v_add_u32_e32 v5, 32, v5
	s_andn2_b64 exec, exec, s[30:31]
	s_cbranch_execz .LBB48_9
.LBB48_84:                              ;   Parent Loop BB48_10 Depth=1
                                        ; =>  This Inner Loop Header: Depth=2
	s_and_saveexec_b64 s[34:35], s[2:3]
	s_cbranch_execz .LBB48_83
; %bb.85:                               ;   in Loop: Header=BB48_84 Depth=2
	s_and_b64 vcc, exec, s[24:25]
	s_cbranch_vccz .LBB48_87
; %bb.86:                               ;   in Loop: Header=BB48_84 Depth=2
	v_add_u32_e32 v3, s29, v6
	v_mad_u64_u32 v[3:4], s[36:37], v3, s44, v[1:2]
	s_cbranch_execnz .LBB48_82
	s_branch .LBB48_81
.LBB48_87:                              ;   in Loop: Header=BB48_84 Depth=2
                                        ; implicit-def: $vgpr3
	s_branch .LBB48_81
.LBB48_88:                              ;   in Loop: Header=BB48_10 Depth=1
                                        ; implicit-def: $sgpr28
                                        ; implicit-def: $vgpr18
	s_cbranch_execz .LBB48_10
.LBB48_89:
	v_cmp_gt_i32_e64 s[0:1], s44, v0
	s_and_saveexec_b64 s[4:5], s[0:1]
	s_cbranch_execz .LBB48_102
; %bb.90:
	s_mul_i32 s26, s33, s44
	v_add_u32_e32 v2, s26, v1
	v_mul_lo_u32 v5, v2, s44
	s_cmp_lg_u32 s45, 0
	v_mul_u32_u24_e32 v2, 0x88, v1
	s_movk_i32 s8, 0x1100
	s_cselect_b64 s[6:7], -1, 0
	v_cmp_gt_i32_e64 s[2:3], s44, v1
	v_add3_u32 v6, v2, v11, s8
	s_mov_b64 s[8:9], 0
	v_mov_b32_e32 v7, v0
	s_branch .LBB48_92
.LBB48_91:                              ;   in Loop: Header=BB48_92 Depth=1
	s_or_b64 exec, exec, s[18:19]
	v_add_u32_e32 v7, 4, v7
	v_cmp_le_i32_e32 vcc, s44, v7
	s_waitcnt vmcnt(0)
	ds_write_b64 v6, v[3:4]
	s_or_b64 s[8:9], vcc, s[8:9]
	v_add_u32_e32 v6, 32, v6
	s_andn2_b64 exec, exec, s[8:9]
	s_cbranch_execz .LBB48_102
.LBB48_92:                              ; =>This Inner Loop Header: Depth=1
	s_and_b64 vcc, exec, s[6:7]
	s_cbranch_vccz .LBB48_99
; %bb.93:                               ;   in Loop: Header=BB48_92 Depth=1
	s_mov_b64 s[18:19], 0
	s_mov_b64 s[16:17], 0
                                        ; implicit-def: $vgpr2
	s_and_saveexec_b64 s[24:25], s[2:3]
	s_xor_b64 s[24:25], exec, s[24:25]
; %bb.94:                               ;   in Loop: Header=BB48_92 Depth=1
	v_add_u32_e32 v2, s26, v7
	s_mov_b64 s[16:17], exec
	v_mad_u64_u32 v[2:3], s[28:29], v2, s44, v[1:2]
; %bb.95:                               ;   in Loop: Header=BB48_92 Depth=1
	s_or_b64 exec, exec, s[24:25]
	s_and_b64 vcc, exec, s[18:19]
	s_cbranch_vccz .LBB48_100
.LBB48_96:                              ;   in Loop: Header=BB48_92 Depth=1
                                        ; implicit-def: $vgpr2
	s_and_saveexec_b64 s[18:19], s[2:3]
; %bb.97:                               ;   in Loop: Header=BB48_92 Depth=1
	v_add_u32_e32 v2, v5, v7
	s_or_b64 s[16:17], s[16:17], exec
; %bb.98:                               ;   in Loop: Header=BB48_92 Depth=1
	s_or_b64 exec, exec, s[18:19]
	v_mov_b32_e32 v3, 0
	v_mov_b32_e32 v4, 0
	s_and_saveexec_b64 s[18:19], s[16:17]
	s_cbranch_execz .LBB48_91
	s_branch .LBB48_101
.LBB48_99:                              ;   in Loop: Header=BB48_92 Depth=1
	s_mov_b64 s[16:17], 0
                                        ; implicit-def: $vgpr2
	s_cbranch_execnz .LBB48_96
.LBB48_100:                             ;   in Loop: Header=BB48_92 Depth=1
	v_mov_b32_e32 v3, 0
	v_mov_b32_e32 v4, 0
	s_and_saveexec_b64 s[18:19], s[16:17]
	s_cbranch_execz .LBB48_91
.LBB48_101:                             ;   in Loop: Header=BB48_92 Depth=1
	v_ashrrev_i32_e32 v3, 31, v2
	v_lshlrev_b64 v[2:3], 3, v[2:3]
	v_mov_b32_e32 v4, s23
	v_add_co_u32_e32 v2, vcc, s22, v2
	v_addc_co_u32_e32 v3, vcc, v4, v3, vcc
	global_load_dwordx2 v[3:4], v[2:3], off
	s_branch .LBB48_91
.LBB48_102:
	s_or_b64 exec, exec, s[4:5]
	s_cmp_lt_i32 s44, 1
	s_waitcnt lgkmcnt(0)
	s_cbranch_scc1 .LBB48_121
; %bb.103:
	v_or_b32_e32 v4, v0, v1
	s_movk_i32 s4, 0x88
	v_mov_b32_e32 v2, 0x1100
	v_cmp_ne_u32_e64 s[2:3], 0, v4
	v_mov_b32_e32 v4, 0x1980
	v_mad_u32_u24 v6, v1, s4, v2
	v_mul_u32_u24_e32 v3, 0x88, v1
	s_movk_i32 s5, 0x1980
	v_mad_u32_u24 v7, v1, s4, v4
	v_lshlrev_b32_e32 v4, 3, v1
	s_mov_b32 s18, 0
	s_add_i32 s19, s20, s21
	v_add_u32_e32 v8, v6, v4
	v_add_u32_e32 v9, v7, v4
	v_add3_u32 v10, v3, v11, s5
	v_mad_u32_u24 v12, v0, s4, v2
	s_mov_b32 s24, 0xf800000
	v_mov_b32_e32 v13, 0x260
	v_mov_b32_e32 v3, 0
	s_branch .LBB48_105
.LBB48_104:                             ;   in Loop: Header=BB48_105 Depth=1
	s_or_b64 exec, exec, s[4:5]
	s_add_i32 s18, s18, 1
	s_cmp_eq_u32 s18, s44
	v_add_u32_e32 v12, 8, v12
	s_waitcnt lgkmcnt(0)
	s_cbranch_scc1 .LBB48_121
.LBB48_105:                             ; =>This Loop Header: Depth=1
                                        ;     Child Loop BB48_120 Depth 2
	v_cmp_eq_u32_e32 vcc, s18, v1
	s_and_saveexec_b64 s[6:7], vcc
	s_cbranch_execz .LBB48_113
; %bb.106:                              ;   in Loop: Header=BB48_105 Depth=1
	ds_read_b64 v[4:5], v8
	ds_read_b64 v[14:15], v9
	s_waitcnt lgkmcnt(0)
	v_sub_f32_e32 v2, v4, v14
	v_sub_f32_e32 v14, v5, v15
	v_cmp_gt_f32_e32 vcc, 0, v2
	v_cndmask_b32_e64 v2, v2, -v2, vcc
	v_cmp_gt_f32_e32 vcc, 0, v14
	v_cndmask_b32_e64 v4, v14, -v14, vcc
	v_cmp_ngt_f32_e32 vcc, v2, v4
                                        ; implicit-def: $vgpr5
	s_and_saveexec_b64 s[4:5], vcc
	s_xor_b64 s[8:9], exec, s[4:5]
	s_cbranch_execz .LBB48_110
; %bb.107:                              ;   in Loop: Header=BB48_105 Depth=1
	v_mov_b32_e32 v5, 0
	v_cmp_neq_f32_e32 vcc, 0, v14
	s_and_saveexec_b64 s[16:17], vcc
	s_cbranch_execz .LBB48_109
; %bb.108:                              ;   in Loop: Header=BB48_105 Depth=1
	v_div_scale_f32 v5, s[4:5], v4, v4, v2
	v_div_scale_f32 v14, vcc, v2, v4, v2
	v_rcp_f32_e32 v15, v5
	v_fma_f32 v16, -v5, v15, 1.0
	v_fmac_f32_e32 v15, v16, v15
	v_mul_f32_e32 v16, v14, v15
	v_fma_f32 v17, -v5, v16, v14
	v_fmac_f32_e32 v16, v17, v15
	v_fma_f32 v5, -v5, v16, v14
	v_div_fmas_f32 v5, v5, v15, v16
	v_div_fixup_f32 v2, v5, v4, v2
	v_fma_f32 v2, v2, v2, 1.0
	v_mul_f32_e32 v5, 0x4f800000, v2
	v_cmp_gt_f32_e32 vcc, s24, v2
	v_cndmask_b32_e32 v2, v2, v5, vcc
	v_sqrt_f32_e32 v5, v2
	v_add_u32_e32 v14, -1, v5
	v_add_u32_e32 v15, 1, v5
	v_fma_f32 v16, -v14, v5, v2
	v_fma_f32 v17, -v15, v5, v2
	v_cmp_ge_f32_e64 s[4:5], 0, v16
	v_cndmask_b32_e64 v5, v5, v14, s[4:5]
	v_cmp_lt_f32_e64 s[4:5], 0, v17
	v_cndmask_b32_e64 v5, v5, v15, s[4:5]
	v_mul_f32_e32 v14, 0x37800000, v5
	v_cndmask_b32_e32 v5, v5, v14, vcc
	v_cmp_class_f32_e32 vcc, v2, v13
	v_cndmask_b32_e32 v2, v5, v2, vcc
	v_mul_f32_e32 v5, v4, v2
.LBB48_109:                             ;   in Loop: Header=BB48_105 Depth=1
	s_or_b64 exec, exec, s[16:17]
                                        ; implicit-def: $vgpr2
                                        ; implicit-def: $vgpr4
.LBB48_110:                             ;   in Loop: Header=BB48_105 Depth=1
	s_andn2_saveexec_b64 s[8:9], s[8:9]
	s_cbranch_execz .LBB48_112
; %bb.111:                              ;   in Loop: Header=BB48_105 Depth=1
	v_div_scale_f32 v5, s[4:5], v2, v2, v4
	v_div_scale_f32 v14, vcc, v4, v2, v4
	v_rcp_f32_e32 v15, v5
	v_fma_f32 v16, -v5, v15, 1.0
	v_fmac_f32_e32 v15, v16, v15
	v_mul_f32_e32 v16, v14, v15
	v_fma_f32 v17, -v5, v16, v14
	v_fmac_f32_e32 v16, v17, v15
	v_fma_f32 v5, -v5, v16, v14
	v_div_fmas_f32 v5, v5, v15, v16
	v_div_fixup_f32 v4, v5, v2, v4
	v_fma_f32 v4, v4, v4, 1.0
	v_mul_f32_e32 v5, 0x4f800000, v4
	v_cmp_gt_f32_e32 vcc, s24, v4
	v_cndmask_b32_e32 v4, v4, v5, vcc
	v_sqrt_f32_e32 v5, v4
	v_add_u32_e32 v14, -1, v5
	v_add_u32_e32 v15, 1, v5
	v_fma_f32 v16, -v14, v5, v4
	v_fma_f32 v17, -v15, v5, v4
	v_cmp_ge_f32_e64 s[4:5], 0, v16
	v_cndmask_b32_e64 v5, v5, v14, s[4:5]
	v_cmp_lt_f32_e64 s[4:5], 0, v17
	v_cndmask_b32_e64 v5, v5, v15, s[4:5]
	v_mul_f32_e32 v14, 0x37800000, v5
	v_cndmask_b32_e32 v5, v5, v14, vcc
	v_cmp_class_f32_e32 vcc, v4, v13
	v_cndmask_b32_e32 v4, v5, v4, vcc
	v_mul_f32_e32 v5, v2, v4
.LBB48_112:                             ;   in Loop: Header=BB48_105 Depth=1
	s_or_b64 exec, exec, s[8:9]
	v_mul_f32_e32 v2, 0x4f800000, v5
	v_cmp_gt_f32_e32 vcc, s24, v5
	v_cndmask_b32_e32 v2, v5, v2, vcc
	v_sqrt_f32_e32 v4, v2
	v_add_u32_e32 v5, -1, v4
	v_fma_f32 v15, -v5, v4, v2
	v_add_u32_e32 v14, 1, v4
	v_cmp_ge_f32_e64 s[4:5], 0, v15
	v_cndmask_b32_e64 v5, v4, v5, s[4:5]
	v_fma_f32 v4, -v14, v4, v2
	v_cmp_lt_f32_e64 s[4:5], 0, v4
	v_cndmask_b32_e64 v4, v5, v14, s[4:5]
	v_mul_f32_e32 v5, 0x37800000, v4
	v_cndmask_b32_e32 v4, v4, v5, vcc
	v_cmp_class_f32_e32 vcc, v2, v13
	v_cndmask_b32_e32 v2, v4, v2, vcc
	ds_write_b64 v8, v[2:3]
.LBB48_113:                             ;   in Loop: Header=BB48_105 Depth=1
	s_or_b64 exec, exec, s[6:7]
	s_lshl_b32 s4, s18, 3
	s_mul_i32 s5, s18, 0x88
	s_add_i32 s5, s5, s4
	v_mov_b32_e32 v2, s5
	s_waitcnt lgkmcnt(0)
	ds_read_b64 v[14:15], v2 offset:4352
	v_add_u32_e32 v2, s4, v6
	ds_read_b64 v[4:5], v2
	s_waitcnt lgkmcnt(1)
	v_cmp_neq_f32_e32 vcc, 0, v14
	v_cmp_neq_f32_e64 s[4:5], 0, v15
	s_or_b64 vcc, vcc, s[4:5]
	v_cndmask_b32_e32 v15, 0, v15, vcc
	s_nor_b64 s[6:7], vcc, s[2:3]
	v_cndmask_b32_e32 v14, 1.0, v14, vcc
	s_and_saveexec_b64 s[4:5], s[6:7]
	s_cbranch_execz .LBB48_117
; %bb.114:                              ;   in Loop: Header=BB48_105 Depth=1
	v_mbcnt_lo_u32_b32 v14, exec_lo, 0
	v_mbcnt_hi_u32_b32 v14, exec_hi, v14
	v_cmp_eq_u32_e32 vcc, 0, v14
	s_and_saveexec_b64 s[6:7], vcc
	s_cbranch_execz .LBB48_116
; %bb.115:                              ;   in Loop: Header=BB48_105 Depth=1
	v_mov_b32_e32 v14, s19
	global_atomic_smin v3, v14, s[14:15]
.LBB48_116:                             ;   in Loop: Header=BB48_105 Depth=1
	s_or_b64 exec, exec, s[6:7]
	v_mov_b32_e32 v14, 1.0
	v_mov_b32_e32 v15, 0
.LBB48_117:                             ;   in Loop: Header=BB48_105 Depth=1
	s_or_b64 exec, exec, s[4:5]
	v_cmp_lt_u32_e32 vcc, s18, v1
	s_and_saveexec_b64 s[4:5], vcc
	s_cbranch_execz .LBB48_104
; %bb.118:                              ;   in Loop: Header=BB48_105 Depth=1
	v_mul_f32_e32 v18, v15, v15
	v_fmac_f32_e32 v18, v14, v14
	v_div_scale_f32 v16, s[6:7], v18, v18, 1.0
	v_div_scale_f32 v17, vcc, 1.0, v18, 1.0
	v_rcp_f32_e32 v19, v16
	v_fma_f32 v20, -v16, v19, 1.0
	v_fmac_f32_e32 v19, v20, v19
	v_mul_f32_e32 v20, v17, v19
	v_fma_f32 v21, -v16, v20, v17
	v_fmac_f32_e32 v20, v21, v19
	v_fma_f32 v16, -v16, v20, v17
	v_div_fmas_f32 v19, v16, v19, v20
	v_lshl_add_u32 v16, s18, 3, v7
	ds_read_b64 v[16:17], v16
	s_waitcnt lgkmcnt(0)
	v_sub_f32_e32 v4, v4, v16
	v_sub_f32_e32 v5, v5, v17
	v_mul_f32_e32 v16, v15, v5
	v_mul_f32_e64 v15, v15, -v4
	v_fmac_f32_e32 v16, v4, v14
	v_fmac_f32_e32 v15, v5, v14
	v_div_fixup_f32 v5, v19, v18, 1.0
	v_mul_f32_e32 v4, v5, v16
	v_mul_f32_e32 v5, v5, v15
	ds_write_b64 v2, v[4:5]
	s_waitcnt lgkmcnt(0)
	s_and_b64 exec, exec, s[0:1]
	s_cbranch_execz .LBB48_104
; %bb.119:                              ;   in Loop: Header=BB48_105 Depth=1
	s_mov_b64 s[6:7], 0
	v_mov_b32_e32 v2, v12
	v_mov_b32_e32 v14, v10
	;; [unrolled: 1-line block ×3, first 2 shown]
.LBB48_120:                             ;   Parent Loop BB48_105 Depth=1
                                        ; =>  This Inner Loop Header: Depth=2
	ds_read_b64 v[16:17], v2
	ds_read_b64 v[18:19], v14
	v_add_u32_e32 v15, 4, v15
	v_cmp_le_i32_e32 vcc, s44, v15
	s_or_b64 s[6:7], vcc, s[6:7]
	v_add_u32_e32 v2, 0x220, v2
	s_waitcnt lgkmcnt(0)
	v_fma_f32 v18, v4, v16, v18
	v_fmac_f32_e32 v19, v5, v16
	v_fmac_f32_e32 v18, v5, v17
	v_fma_f32 v19, v4, -v17, v19
	ds_write_b64 v14, v[18:19]
	v_add_u32_e32 v14, 32, v14
	s_andn2_b64 exec, exec, s[6:7]
	s_cbranch_execnz .LBB48_120
	s_branch .LBB48_104
.LBB48_121:
	s_and_saveexec_b64 s[2:3], s[0:1]
	s_cbranch_execz .LBB48_130
; %bb.122:
	s_mul_i32 s33, s33, s44
	v_add_u32_e32 v2, s33, v1
	v_mul_lo_u32 v4, v2, s44
	s_cmp_lg_u32 s45, 0
	v_mul_u32_u24_e32 v2, 0x88, v1
	s_movk_i32 s6, 0x1100
	v_cmp_gt_i32_e64 s[0:1], s44, v1
	s_cselect_b64 s[4:5], -1, 0
	v_add3_u32 v5, v2, v11, s6
	s_mov_b64 s[6:7], 0
	v_mov_b32_e32 v6, v0
	s_branch .LBB48_126
.LBB48_123:                             ;   in Loop: Header=BB48_126 Depth=1
	v_add_u32_e32 v2, v4, v6
.LBB48_124:                             ;   in Loop: Header=BB48_126 Depth=1
	v_ashrrev_i32_e32 v3, 31, v2
	ds_read_b64 v[7:8], v5
	v_lshlrev_b64 v[2:3], 3, v[2:3]
	v_mov_b32_e32 v9, s23
	v_add_co_u32_e32 v2, vcc, s22, v2
	v_addc_co_u32_e32 v3, vcc, v9, v3, vcc
	s_waitcnt lgkmcnt(0)
	global_store_dwordx2 v[2:3], v[7:8], off
.LBB48_125:                             ;   in Loop: Header=BB48_126 Depth=1
	s_or_b64 exec, exec, s[8:9]
	v_add_u32_e32 v6, 4, v6
	v_cmp_le_i32_e32 vcc, s44, v6
	s_or_b64 s[6:7], vcc, s[6:7]
	v_add_u32_e32 v5, 32, v5
	s_andn2_b64 exec, exec, s[6:7]
	s_cbranch_execz .LBB48_130
.LBB48_126:                             ; =>This Inner Loop Header: Depth=1
	s_and_saveexec_b64 s[8:9], s[0:1]
	s_cbranch_execz .LBB48_125
; %bb.127:                              ;   in Loop: Header=BB48_126 Depth=1
	s_and_b64 vcc, exec, s[4:5]
	s_cbranch_vccz .LBB48_129
; %bb.128:                              ;   in Loop: Header=BB48_126 Depth=1
	v_add_u32_e32 v2, s33, v6
	v_mad_u64_u32 v[2:3], s[16:17], v2, s44, v[1:2]
	s_cbranch_execnz .LBB48_124
	s_branch .LBB48_123
.LBB48_129:                             ;   in Loop: Header=BB48_126 Depth=1
                                        ; implicit-def: $vgpr2
	s_branch .LBB48_123
.LBB48_130:
	s_or_b64 exec, exec, s[2:3]
	v_or_b32_e32 v2, v0, v1
	v_cmp_eq_u32_e32 vcc, 0, v2
	s_and_saveexec_b64 s[0:1], vcc
	s_cbranch_execz .LBB48_132
; %bb.131:
	s_add_u32 s2, s10, s12
	s_addc_u32 s3, s11, s13
	v_mov_b32_e32 v2, 0
	v_mov_b32_e32 v3, 1
	s_waitcnt vmcnt(0)
	global_store_dword v2, v3, s[2:3]
.LBB48_132:
	s_or_b64 exec, exec, s[0:1]
.LBB48_133:
	s_endpgm
.LBB48_134:
	s_cbranch_execz .LBB48_133
; %bb.135:
	v_or_b32_e32 v0, v0, v1
	v_cmp_eq_u32_e32 vcc, 0, v0
	s_and_saveexec_b64 s[0:1], vcc
	s_cbranch_execz .LBB48_133
; %bb.136:
	v_mbcnt_lo_u32_b32 v0, exec_lo, 0
	v_mbcnt_hi_u32_b32 v0, exec_hi, v0
	v_cmp_eq_u32_e32 vcc, 0, v0
	s_and_saveexec_b64 s[0:1], vcc
	s_cbranch_execz .LBB48_138
; %bb.137:
	s_add_i32 s2, s20, s21
	v_mov_b32_e32 v0, 0
	v_mov_b32_e32 v1, s2
	global_atomic_smin v0, v1, s[14:15]
.LBB48_138:
	s_or_b64 exec, exec, s[0:1]
	s_add_u32 s0, s10, s12
	s_addc_u32 s1, s11, s13
	v_mov_b32_e32 v0, 0
	v_mov_b32_e32 v1, 1
	s_waitcnt vmcnt(0)
	global_store_dword v0, v1, s[0:1]
	s_endpgm
	.section	.rodata,"a",@progbits
	.p2align	6, 0x0
	.amdhsa_kernel _ZN9rocsparseL18bsric0_9_16_kernelILi64ELi32ELi16E21rocsparse_complex_numIfEEEv20rocsparse_direction_iiPKiS5_PT2_S5_PiS5_S8_21rocsparse_index_base_
		.amdhsa_group_segment_fixed_size 9088
		.amdhsa_private_segment_fixed_size 0
		.amdhsa_kernarg_size 76
		.amdhsa_user_sgpr_count 6
		.amdhsa_user_sgpr_private_segment_buffer 1
		.amdhsa_user_sgpr_dispatch_ptr 0
		.amdhsa_user_sgpr_queue_ptr 0
		.amdhsa_user_sgpr_kernarg_segment_ptr 1
		.amdhsa_user_sgpr_dispatch_id 0
		.amdhsa_user_sgpr_flat_scratch_init 0
		.amdhsa_user_sgpr_private_segment_size 0
		.amdhsa_uses_dynamic_stack 0
		.amdhsa_system_sgpr_private_segment_wavefront_offset 0
		.amdhsa_system_sgpr_workgroup_id_x 1
		.amdhsa_system_sgpr_workgroup_id_y 0
		.amdhsa_system_sgpr_workgroup_id_z 0
		.amdhsa_system_sgpr_workgroup_info 0
		.amdhsa_system_vgpr_workitem_id 1
		.amdhsa_next_free_vgpr 85
		.amdhsa_next_free_sgpr 98
		.amdhsa_reserve_vcc 1
		.amdhsa_reserve_flat_scratch 0
		.amdhsa_float_round_mode_32 0
		.amdhsa_float_round_mode_16_64 0
		.amdhsa_float_denorm_mode_32 3
		.amdhsa_float_denorm_mode_16_64 3
		.amdhsa_dx10_clamp 1
		.amdhsa_ieee_mode 1
		.amdhsa_fp16_overflow 0
		.amdhsa_exception_fp_ieee_invalid_op 0
		.amdhsa_exception_fp_denorm_src 0
		.amdhsa_exception_fp_ieee_div_zero 0
		.amdhsa_exception_fp_ieee_overflow 0
		.amdhsa_exception_fp_ieee_underflow 0
		.amdhsa_exception_fp_ieee_inexact 0
		.amdhsa_exception_int_div_zero 0
	.end_amdhsa_kernel
	.section	.text._ZN9rocsparseL18bsric0_9_16_kernelILi64ELi32ELi16E21rocsparse_complex_numIfEEEv20rocsparse_direction_iiPKiS5_PT2_S5_PiS5_S8_21rocsparse_index_base_,"axG",@progbits,_ZN9rocsparseL18bsric0_9_16_kernelILi64ELi32ELi16E21rocsparse_complex_numIfEEEv20rocsparse_direction_iiPKiS5_PT2_S5_PiS5_S8_21rocsparse_index_base_,comdat
.Lfunc_end48:
	.size	_ZN9rocsparseL18bsric0_9_16_kernelILi64ELi32ELi16E21rocsparse_complex_numIfEEEv20rocsparse_direction_iiPKiS5_PT2_S5_PiS5_S8_21rocsparse_index_base_, .Lfunc_end48-_ZN9rocsparseL18bsric0_9_16_kernelILi64ELi32ELi16E21rocsparse_complex_numIfEEEv20rocsparse_direction_iiPKiS5_PT2_S5_PiS5_S8_21rocsparse_index_base_
                                        ; -- End function
	.set _ZN9rocsparseL18bsric0_9_16_kernelILi64ELi32ELi16E21rocsparse_complex_numIfEEEv20rocsparse_direction_iiPKiS5_PT2_S5_PiS5_S8_21rocsparse_index_base_.num_vgpr, 29
	.set _ZN9rocsparseL18bsric0_9_16_kernelILi64ELi32ELi16E21rocsparse_complex_numIfEEEv20rocsparse_direction_iiPKiS5_PT2_S5_PiS5_S8_21rocsparse_index_base_.num_agpr, 0
	.set _ZN9rocsparseL18bsric0_9_16_kernelILi64ELi32ELi16E21rocsparse_complex_numIfEEEv20rocsparse_direction_iiPKiS5_PT2_S5_PiS5_S8_21rocsparse_index_base_.numbered_sgpr, 54
	.set _ZN9rocsparseL18bsric0_9_16_kernelILi64ELi32ELi16E21rocsparse_complex_numIfEEEv20rocsparse_direction_iiPKiS5_PT2_S5_PiS5_S8_21rocsparse_index_base_.num_named_barrier, 0
	.set _ZN9rocsparseL18bsric0_9_16_kernelILi64ELi32ELi16E21rocsparse_complex_numIfEEEv20rocsparse_direction_iiPKiS5_PT2_S5_PiS5_S8_21rocsparse_index_base_.private_seg_size, 0
	.set _ZN9rocsparseL18bsric0_9_16_kernelILi64ELi32ELi16E21rocsparse_complex_numIfEEEv20rocsparse_direction_iiPKiS5_PT2_S5_PiS5_S8_21rocsparse_index_base_.uses_vcc, 1
	.set _ZN9rocsparseL18bsric0_9_16_kernelILi64ELi32ELi16E21rocsparse_complex_numIfEEEv20rocsparse_direction_iiPKiS5_PT2_S5_PiS5_S8_21rocsparse_index_base_.uses_flat_scratch, 0
	.set _ZN9rocsparseL18bsric0_9_16_kernelILi64ELi32ELi16E21rocsparse_complex_numIfEEEv20rocsparse_direction_iiPKiS5_PT2_S5_PiS5_S8_21rocsparse_index_base_.has_dyn_sized_stack, 0
	.set _ZN9rocsparseL18bsric0_9_16_kernelILi64ELi32ELi16E21rocsparse_complex_numIfEEEv20rocsparse_direction_iiPKiS5_PT2_S5_PiS5_S8_21rocsparse_index_base_.has_recursion, 0
	.set _ZN9rocsparseL18bsric0_9_16_kernelILi64ELi32ELi16E21rocsparse_complex_numIfEEEv20rocsparse_direction_iiPKiS5_PT2_S5_PiS5_S8_21rocsparse_index_base_.has_indirect_call, 0
	.section	.AMDGPU.csdata,"",@progbits
; Kernel info:
; codeLenInByte = 4376
; TotalNumSgprs: 58
; NumVgprs: 29
; ScratchSize: 0
; MemoryBound: 0
; FloatMode: 240
; IeeeMode: 1
; LDSByteSize: 9088 bytes/workgroup (compile time only)
; SGPRBlocks: 12
; VGPRBlocks: 21
; NumSGPRsForWavesPerEU: 102
; NumVGPRsForWavesPerEU: 85
; Occupancy: 2
; WaveLimiterHint : 1
; COMPUTE_PGM_RSRC2:SCRATCH_EN: 0
; COMPUTE_PGM_RSRC2:USER_SGPR: 6
; COMPUTE_PGM_RSRC2:TRAP_HANDLER: 0
; COMPUTE_PGM_RSRC2:TGID_X_EN: 1
; COMPUTE_PGM_RSRC2:TGID_Y_EN: 0
; COMPUTE_PGM_RSRC2:TGID_Z_EN: 0
; COMPUTE_PGM_RSRC2:TIDIG_COMP_CNT: 1
	.section	.text._ZN9rocsparseL19bsric0_17_32_kernelILi64ELi32ELi32E21rocsparse_complex_numIfEEEv20rocsparse_direction_iiPKiS5_PT2_S5_PiS5_S8_21rocsparse_index_base_,"axG",@progbits,_ZN9rocsparseL19bsric0_17_32_kernelILi64ELi32ELi32E21rocsparse_complex_numIfEEEv20rocsparse_direction_iiPKiS5_PT2_S5_PiS5_S8_21rocsparse_index_base_,comdat
	.globl	_ZN9rocsparseL19bsric0_17_32_kernelILi64ELi32ELi32E21rocsparse_complex_numIfEEEv20rocsparse_direction_iiPKiS5_PT2_S5_PiS5_S8_21rocsparse_index_base_ ; -- Begin function _ZN9rocsparseL19bsric0_17_32_kernelILi64ELi32ELi32E21rocsparse_complex_numIfEEEv20rocsparse_direction_iiPKiS5_PT2_S5_PiS5_S8_21rocsparse_index_base_
	.p2align	8
	.type	_ZN9rocsparseL19bsric0_17_32_kernelILi64ELi32ELi32E21rocsparse_complex_numIfEEEv20rocsparse_direction_iiPKiS5_PT2_S5_PiS5_S8_21rocsparse_index_base_,@function
_ZN9rocsparseL19bsric0_17_32_kernelILi64ELi32ELi32E21rocsparse_complex_numIfEEEv20rocsparse_direction_iiPKiS5_PT2_S5_PiS5_S8_21rocsparse_index_base_: ; @_ZN9rocsparseL19bsric0_17_32_kernelILi64ELi32ELi32E21rocsparse_complex_numIfEEEv20rocsparse_direction_iiPKiS5_PT2_S5_PiS5_S8_21rocsparse_index_base_
; %bb.0:
	s_load_dwordx8 s[8:15], s[4:5], 0x28
	s_mov_b32 s7, 0
	s_lshl_b64 s[0:1], s[6:7], 2
	s_waitcnt lgkmcnt(0)
	s_add_u32 s0, s12, s0
	s_addc_u32 s1, s13, s1
	s_load_dword s20, s[0:1], 0x0
	s_waitcnt lgkmcnt(0)
	s_ashr_i32 s21, s20, 31
	s_lshl_b64 s[12:13], s[20:21], 2
	s_add_u32 s0, s8, s12
	s_addc_u32 s1, s9, s13
	s_load_dword s33, s[0:1], 0x0
	s_load_dword s21, s[4:5], 0x48
	s_waitcnt lgkmcnt(0)
	s_cmp_lg_u32 s33, -1
	s_cbranch_scc0 .LBB49_124
; %bb.1:
	s_load_dwordx4 s[16:19], s[4:5], 0x10
	s_load_dwordx2 s[22:23], s[4:5], 0x20
	v_lshlrev_b32_e32 v2, 1, v1
	s_waitcnt lgkmcnt(0)
	s_add_u32 s0, s16, s12
	s_addc_u32 s1, s17, s13
	s_load_dword s0, s[0:1], 0x0
	s_waitcnt lgkmcnt(0)
	s_sub_i32 s48, s0, s21
	v_add3_u32 v2, v2, v0, s48
	v_cmp_ge_i32_e32 vcc, s33, v2
	s_and_saveexec_b64 s[0:1], vcc
	s_cbranch_execz .LBB49_4
; %bb.2:
	v_lshlrev_b32_e32 v3, 2, v0
	v_lshl_add_u32 v3, v1, 3, v3
	v_or_b32_e32 v4, 0x6400, v3
	s_mov_b64 s[2:3], 0
	v_mov_b32_e32 v5, s19
.LBB49_3:                               ; =>This Inner Loop Header: Depth=1
	v_ashrrev_i32_e32 v3, 31, v2
	v_lshlrev_b64 v[6:7], 2, v[2:3]
	v_add_u32_e32 v2, 64, v2
	v_add_co_u32_e32 v6, vcc, s18, v6
	v_addc_co_u32_e32 v7, vcc, v5, v7, vcc
	global_load_dword v3, v[6:7], off
	v_cmp_lt_i32_e32 vcc, s33, v2
	s_or_b64 s[2:3], vcc, s[2:3]
	s_waitcnt vmcnt(0)
	v_subrev_u32_e32 v3, s21, v3
	ds_write_b32 v4, v3
	v_add_u32_e32 v4, 0x100, v4
	s_andn2_b64 exec, exec, s[2:3]
	s_cbranch_execnz .LBB49_3
.LBB49_4:
	s_or_b64 exec, exec, s[0:1]
	v_cmp_gt_u32_e32 vcc, 32, v0
	v_lshlrev_b32_e32 v11, 3, v0
	s_and_saveexec_b64 s[0:1], vcc
	s_cbranch_execz .LBB49_7
; %bb.5:
	v_mul_u32_u24_e32 v2, 0x108, v1
	s_movk_i32 s2, 0x4200
	v_add3_u32 v5, v2, v11, s2
	v_mov_b32_e32 v2, 0
	v_add_u32_e32 v4, -2, v0
	s_mov_b64 s[2:3], 0
	v_mov_b32_e32 v3, v2
.LBB49_6:                               ; =>This Inner Loop Header: Depth=1
	v_add_u32_e32 v4, 2, v4
	v_cmp_lt_u32_e32 vcc, 29, v4
	ds_write_b64 v5, v[2:3]
	s_or_b64 s[2:3], vcc, s[2:3]
	v_add_u32_e32 v5, 16, v5
	s_andn2_b64 exec, exec, s[2:3]
	s_cbranch_execnz .LBB49_6
.LBB49_7:
	s_or_b64 exec, exec, s[0:1]
	s_load_dword s46, s[4:5], 0x8
	s_load_dword s47, s[4:5], 0x0
	s_cmp_ge_i32 s48, s33
	s_waitcnt lgkmcnt(0)
	v_cmp_gt_i32_e64 s[0:1], s46, v0
	s_cbranch_scc1 .LBB49_79
; %bb.8:
	v_or_b32_e32 v3, v0, v1
	s_mul_i32 s7, s46, s48
	v_cmp_ne_u32_e64 s[4:5], 0, v3
	v_add_u32_e32 v3, s7, v1
	s_cmp_eq_u32 s47, 0
	v_mul_lo_u32 v14, s46, v1
	v_mul_lo_u32 v17, s46, v3
	;; [unrolled: 1-line block ×3, first 2 shown]
	s_cselect_b64 s[24:25], -1, 0
	s_cmp_lg_u32 s47, 0
	s_movk_i32 s6, 0x108
	s_cselect_b64 s[26:27], -1, 0
	v_mov_b32_e32 v2, 0x2100
	s_cmp_gt_i32 s46, 0
	v_mad_u32_u24 v15, v1, s6, v11
	s_mul_i32 s49, s46, s46
	v_cmp_gt_i32_e64 s[2:3], s46, v1
	v_mul_u32_u24_e32 v12, 0x108, v1
	v_mad_u32_u24 v13, v1, s6, v2
	s_cselect_b64 s[28:29], -1, 0
	s_lshl_b32 s50, s46, 1
	v_add_u32_e32 v18, 0x4200, v15
	v_mad_u32_u24 v19, v0, s6, v2
	v_add_u32_e32 v20, 0x2100, v15
	v_mov_b32_e32 v2, 0
	s_mov_b32 s30, s48
	s_branch .LBB49_10
.LBB49_9:                               ;   in Loop: Header=BB49_10 Depth=1
	s_or_b64 exec, exec, s[6:7]
	s_add_i32 s30, s30, 1
	s_cmp_ge_i32 s30, s33
	s_waitcnt vmcnt(0)
	buffer_wbinvl1_vol
	v_add_u32_e32 v17, s49, v17
	s_cselect_b64 s[6:7], -1, 0
	s_and_b64 vcc, exec, s[6:7]
	s_cbranch_vccnz .LBB49_79
.LBB49_10:                              ; =>This Loop Header: Depth=1
                                        ;     Child Loop BB49_14 Depth 2
                                        ;     Child Loop BB49_26 Depth 2
	;; [unrolled: 1-line block ×4, first 2 shown]
                                        ;       Child Loop BB49_43 Depth 3
                                        ;         Child Loop BB49_48 Depth 4
                                        ;     Child Loop BB49_57 Depth 2
                                        ;       Child Loop BB49_64 Depth 3
                                        ;       Child Loop BB49_68 Depth 3
                                        ;     Child Loop BB49_73 Depth 2
	s_ashr_i32 s31, s30, 31
	s_lshl_b64 s[6:7], s[30:31], 2
	s_add_u32 s6, s18, s6
	s_addc_u32 s7, s19, s7
	s_load_dword s51, s[6:7], 0x0
	s_waitcnt lgkmcnt(0)
	s_sub_i32 s34, s51, s21
	s_ashr_i32 s35, s34, 31
	s_lshl_b64 s[6:7], s[34:35], 2
	s_add_u32 s36, s8, s6
	s_addc_u32 s37, s9, s7
	s_load_dword s52, s[36:37], 0x0
	s_waitcnt lgkmcnt(0)
	s_cmp_eq_u32 s52, -1
	s_cbranch_scc1 .LBB49_78
; %bb.11:                               ;   in Loop: Header=BB49_10 Depth=1
	s_add_u32 s36, s16, s6
	s_addc_u32 s37, s17, s7
	s_load_dword s35, s[36:37], 0x0
	s_mul_i32 s31, s30, s46
	s_and_saveexec_b64 s[36:37], s[0:1]
	s_cbranch_execz .LBB49_24
; %bb.12:                               ;   in Loop: Header=BB49_10 Depth=1
	s_mov_b64 s[38:39], 0
	v_mov_b32_e32 v6, v15
	v_mov_b32_e32 v7, v0
	s_branch .LBB49_14
.LBB49_13:                              ;   in Loop: Header=BB49_14 Depth=2
	s_or_b64 exec, exec, s[42:43]
	v_add_u32_e32 v7, 2, v7
	v_mov_b32_e32 v3, v2
	v_cmp_le_i32_e32 vcc, s46, v7
	s_waitcnt vmcnt(0)
	ds_write_b64 v6, v[4:5] offset:8448
	ds_write_b64 v6, v[2:3]
	s_or_b64 s[38:39], vcc, s[38:39]
	v_add_u32_e32 v6, 16, v6
	s_andn2_b64 exec, exec, s[38:39]
	s_cbranch_execz .LBB49_24
.LBB49_14:                              ;   Parent Loop BB49_10 Depth=1
                                        ; =>  This Inner Loop Header: Depth=2
	s_mov_b64 s[42:43], -1
	s_and_b64 vcc, exec, s[26:27]
	s_mov_b64 s[40:41], 0
                                        ; implicit-def: $vgpr3
	s_cbranch_vccz .LBB49_19
; %bb.15:                               ;   in Loop: Header=BB49_14 Depth=2
	s_mov_b64 s[42:43], 0
                                        ; implicit-def: $vgpr3
	s_and_saveexec_b64 s[44:45], s[2:3]
	s_xor_b64 s[44:45], exec, s[44:45]
; %bb.16:                               ;   in Loop: Header=BB49_14 Depth=2
	v_add_u32_e32 v3, s31, v7
	v_mad_u64_u32 v[3:4], s[54:55], v3, s46, v[1:2]
	s_mov_b64 s[40:41], exec
; %bb.17:                               ;   in Loop: Header=BB49_14 Depth=2
	s_or_b64 exec, exec, s[44:45]
	s_and_b64 vcc, exec, s[42:43]
	s_cbranch_vccnz .LBB49_20
.LBB49_18:                              ;   in Loop: Header=BB49_14 Depth=2
	v_mov_b32_e32 v4, 0
	v_mov_b32_e32 v5, 0
	s_and_saveexec_b64 s[42:43], s[40:41]
	s_cbranch_execz .LBB49_13
	s_branch .LBB49_23
.LBB49_19:                              ;   in Loop: Header=BB49_14 Depth=2
	s_and_b64 vcc, exec, s[42:43]
	s_cbranch_vccz .LBB49_18
.LBB49_20:                              ;   in Loop: Header=BB49_14 Depth=2
                                        ; implicit-def: $vgpr3
	s_and_saveexec_b64 s[42:43], s[2:3]
; %bb.21:                               ;   in Loop: Header=BB49_14 Depth=2
	v_add_u32_e32 v3, v17, v7
	s_or_b64 s[40:41], s[40:41], exec
; %bb.22:                               ;   in Loop: Header=BB49_14 Depth=2
	s_or_b64 exec, exec, s[42:43]
	v_mov_b32_e32 v4, 0
	v_mov_b32_e32 v5, 0
	s_and_saveexec_b64 s[42:43], s[40:41]
	s_cbranch_execz .LBB49_13
.LBB49_23:                              ;   in Loop: Header=BB49_14 Depth=2
	v_ashrrev_i32_e32 v4, 31, v3
	v_lshlrev_b64 v[3:4], 3, v[3:4]
	v_mov_b32_e32 v5, s23
	v_add_co_u32_e32 v3, vcc, s22, v3
	v_addc_co_u32_e32 v4, vcc, v5, v4, vcc
	global_load_dwordx2 v[4:5], v[3:4], off
	s_branch .LBB49_13
.LBB49_24:                              ;   in Loop: Header=BB49_10 Depth=1
	s_or_b64 exec, exec, s[36:37]
	ds_read_b32 v3, v2 offset:25600
	s_waitcnt lgkmcnt(0)
	s_sub_i32 s36, s35, s21
	s_cmp_le_i32 s36, s52
	s_cselect_b64 s[38:39], -1, 0
	s_mov_b32 s37, 0
	v_cmp_ge_i32_e32 vcc, s34, v3
	s_and_b64 s[38:39], s[38:39], vcc
	s_andn2_b64 vcc, exec, s[38:39]
	s_cbranch_vccnz .LBB49_36
; %bb.25:                               ;   in Loop: Header=BB49_10 Depth=1
	s_mov_b32 s35, 0
	s_mov_b32 s40, 0
.LBB49_26:                              ;   Parent Loop BB49_10 Depth=1
                                        ; =>  This Inner Loop Header: Depth=2
	s_ashr_i32 s37, s36, 31
	s_lshl_b64 s[38:39], s[36:37], 2
	s_add_u32 s38, s18, s38
	s_addc_u32 s39, s19, s39
	s_load_dword s37, s[38:39], 0x0
	s_lshl_b32 s38, s40, 2
	v_mov_b32_e32 v3, s38
	ds_read_b32 v3, v3 offset:25600
	s_mov_b64 s[38:39], -1
	s_waitcnt lgkmcnt(0)
	s_sub_i32 s44, s37, s21
                                        ; implicit-def: $sgpr37
                                        ; implicit-def: $sgpr43
                                        ; implicit-def: $sgpr42
	v_cmp_ge_i32_e32 vcc, s44, v3
	v_readfirstlane_b32 s41, v3
	s_cbranch_vccz .LBB49_32
; %bb.27:                               ;   in Loop: Header=BB49_26 Depth=2
	s_cmp_le_i32 s44, s41
                                        ; implicit-def: $sgpr37
                                        ; implicit-def: $sgpr43
                                        ; implicit-def: $sgpr42
	s_cbranch_scc0 .LBB49_29
; %bb.28:                               ;   in Loop: Header=BB49_26 Depth=2
	s_add_i32 s37, s40, s48
	s_mul_i32 s37, s37, s49
	s_lshl_b32 s38, s35, 2
	v_mov_b32_e32 v3, s38
	v_mov_b32_e32 v4, s37
	s_mul_i32 s37, s36, s49
	v_mov_b32_e32 v5, s37
	v_add_u32_e32 v3, 0x6000, v3
	ds_write2_b32 v3, v5, v4 offset0:192 offset1:224
	s_add_i32 s42, s40, 1
	s_add_i32 s43, s36, 1
	;; [unrolled: 1-line block ×3, first 2 shown]
	s_mov_b64 s[38:39], 0
.LBB49_29:                              ;   in Loop: Header=BB49_26 Depth=2
	s_andn2_b64 vcc, exec, s[38:39]
	s_cbranch_vccnz .LBB49_31
; %bb.30:                               ;   in Loop: Header=BB49_26 Depth=2
	s_add_i32 s42, s40, 1
	s_mov_b32 s37, s35
	s_mov_b32 s43, s36
.LBB49_31:                              ;   in Loop: Header=BB49_26 Depth=2
	s_mov_b64 s[38:39], 0
.LBB49_32:                              ;   in Loop: Header=BB49_26 Depth=2
	s_andn2_b64 vcc, exec, s[38:39]
	s_cbranch_vccnz .LBB49_34
; %bb.33:                               ;   in Loop: Header=BB49_26 Depth=2
	s_add_i32 s43, s36, 1
	s_mov_b32 s42, s40
	s_mov_b32 s37, s35
.LBB49_34:                              ;   in Loop: Header=BB49_26 Depth=2
	s_cmp_le_i32 s43, s52
	s_cselect_b64 s[38:39], -1, 0
	s_cmp_le_i32 s41, s34
	s_cselect_b64 s[40:41], -1, 0
	s_and_b64 s[38:39], s[38:39], s[40:41]
	s_and_b64 vcc, exec, s[38:39]
	s_cbranch_vccz .LBB49_36
; %bb.35:                               ;   in Loop: Header=BB49_26 Depth=2
	s_mov_b32 s35, s37
	s_mov_b32 s36, s43
	;; [unrolled: 1-line block ×3, first 2 shown]
	s_branch .LBB49_26
.LBB49_36:                              ;   in Loop: Header=BB49_10 Depth=1
	s_add_u32 s6, s10, s6
	s_addc_u32 s7, s11, s7
	s_waitcnt lgkmcnt(0)
.LBB49_37:                              ;   Parent Loop BB49_10 Depth=1
                                        ; =>  This Inner Loop Header: Depth=2
	global_load_dword v3, v2, s[6:7] glc
	s_waitcnt vmcnt(0)
	v_cmp_eq_u32_e32 vcc, 0, v3
	s_cbranch_vccnz .LBB49_37
; %bb.38:                               ;   in Loop: Header=BB49_10 Depth=1
	s_cmp_lt_i32 s37, 2
	buffer_wbinvl1_vol
	s_cbranch_scc1 .LBB49_54
; %bb.39:                               ;   in Loop: Header=BB49_10 Depth=1
	s_add_i32 s38, s37, -2
	s_mov_b32 s39, 0
	s_branch .LBB49_41
.LBB49_40:                              ;   in Loop: Header=BB49_41 Depth=2
	s_or_b64 exec, exec, s[6:7]
	s_add_i32 s6, s39, 1
	s_cmp_eq_u32 s39, s38
	s_mov_b32 s39, s6
	s_cbranch_scc1 .LBB49_54
.LBB49_41:                              ;   Parent Loop BB49_10 Depth=1
                                        ; =>  This Loop Header: Depth=2
                                        ;       Child Loop BB49_43 Depth 3
                                        ;         Child Loop BB49_48 Depth 4
	s_and_saveexec_b64 s[6:7], s[0:1]
	s_cbranch_execz .LBB49_40
; %bb.42:                               ;   in Loop: Header=BB49_41 Depth=2
	s_lshl_b32 s34, s39, 2
	v_mov_b32_e32 v3, s34
	v_add_u32_e32 v3, 0x6000, v3
	ds_read2_b32 v[3:4], v3 offset0:192 offset1:224
	s_mov_b64 s[34:35], 0
	v_mov_b32_e32 v25, v0
	s_waitcnt lgkmcnt(0)
	v_add_u32_e32 v21, v4, v14
	v_add_u32_e32 v22, v1, v4
	;; [unrolled: 1-line block ×4, first 2 shown]
.LBB49_43:                              ;   Parent Loop BB49_10 Depth=1
                                        ;     Parent Loop BB49_41 Depth=2
                                        ; =>    This Loop Header: Depth=3
                                        ;         Child Loop BB49_48 Depth 4
	v_mov_b32_e32 v26, 0
	s_mov_b32 s40, 0
	v_mov_b32_e32 v3, v23
	v_mov_b32_e32 v5, v22
	;; [unrolled: 1-line block ×3, first 2 shown]
	s_mov_b64 s[36:37], -1
	s_and_b64 vcc, exec, s[26:27]
                                        ; implicit-def: $vgpr6
                                        ; implicit-def: $vgpr4
	s_cbranch_vccz .LBB49_48
	s_branch .LBB49_45
.LBB49_44:                              ;   in Loop: Header=BB49_48 Depth=4
	v_mov_b32_e32 v26, v6
	v_mov_b32_e32 v27, v4
	s_mov_b64 s[36:37], -1
	s_and_b64 vcc, exec, s[26:27]
                                        ; implicit-def: $vgpr6
                                        ; implicit-def: $vgpr4
	s_cbranch_vccz .LBB49_48
.LBB49_45:                              ;   in Loop: Header=BB49_43 Depth=3
	v_ashrrev_i32_e32 v4, 31, v3
	v_lshlrev_b64 v[6:7], 3, v[3:4]
	v_mov_b32_e32 v4, s23
	v_add_co_u32_e32 v6, vcc, s22, v6
	v_addc_co_u32_e32 v7, vcc, v4, v7, vcc
	global_load_dwordx2 v[7:8], v[6:7], off
	v_mov_b32_e32 v9, 0
	v_mov_b32_e32 v10, 0
	s_and_saveexec_b64 s[36:37], s[2:3]
	s_cbranch_execz .LBB49_47
; %bb.46:                               ;   in Loop: Header=BB49_43 Depth=3
	v_ashrrev_i32_e32 v6, 31, v5
	v_lshlrev_b64 v[9:10], 3, v[5:6]
	v_mov_b32_e32 v4, s23
	v_add_co_u32_e32 v9, vcc, s22, v9
	v_addc_co_u32_e32 v10, vcc, v4, v10, vcc
	global_load_dwordx2 v[9:10], v[9:10], off
.LBB49_47:                              ;   in Loop: Header=BB49_43 Depth=3
	s_or_b64 exec, exec, s[36:37]
	s_waitcnt vmcnt(0)
	v_fma_f32 v4, v7, v9, v27
	v_fma_f32 v6, v8, v9, v26
	v_fmac_f32_e32 v4, v8, v10
	v_fma_f32 v6, v7, -v10, v6
	s_mov_b64 s[36:37], 0
.LBB49_48:                              ;   Parent Loop BB49_10 Depth=1
                                        ;     Parent Loop BB49_41 Depth=2
                                        ;       Parent Loop BB49_43 Depth=3
                                        ; =>      This Inner Loop Header: Depth=4
	s_and_b64 vcc, exec, s[36:37]
	s_cbranch_vccz .LBB49_52
; %bb.49:                               ;   in Loop: Header=BB49_48 Depth=4
	v_add_u32_e32 v6, s40, v24
	v_ashrrev_i32_e32 v7, 31, v6
	v_lshlrev_b64 v[6:7], 3, v[6:7]
	v_mov_b32_e32 v4, s23
	v_add_co_u32_e32 v6, vcc, s22, v6
	v_addc_co_u32_e32 v7, vcc, v4, v7, vcc
	global_load_dwordx2 v[6:7], v[6:7], off
	v_mov_b32_e32 v8, 0
	v_mov_b32_e32 v9, 0
	s_and_saveexec_b64 s[36:37], s[2:3]
	s_cbranch_execz .LBB49_51
; %bb.50:                               ;   in Loop: Header=BB49_48 Depth=4
	v_add_u32_e32 v8, s40, v21
	v_ashrrev_i32_e32 v9, 31, v8
	v_lshlrev_b64 v[8:9], 3, v[8:9]
	v_mov_b32_e32 v4, s23
	v_add_co_u32_e32 v8, vcc, s22, v8
	v_addc_co_u32_e32 v9, vcc, v4, v9, vcc
	global_load_dwordx2 v[8:9], v[8:9], off
.LBB49_51:                              ;   in Loop: Header=BB49_48 Depth=4
	s_or_b64 exec, exec, s[36:37]
	s_waitcnt vmcnt(0)
	v_fmac_f32_e32 v27, v6, v8
	v_fmac_f32_e32 v27, v7, v9
	;; [unrolled: 1-line block ×3, first 2 shown]
	v_fma_f32 v6, v6, -v9, v26
	v_mov_b32_e32 v4, v27
.LBB49_52:                              ;   in Loop: Header=BB49_48 Depth=4
	s_add_i32 s40, s40, 1
	v_add_u32_e32 v5, s46, v5
	s_cmp_eq_u32 s46, s40
	v_add_u32_e32 v3, s46, v3
	s_cbranch_scc0 .LBB49_44
; %bb.53:                               ;   in Loop: Header=BB49_43 Depth=3
	v_lshl_add_u32 v5, v25, 3, v12
	ds_read_b64 v[7:8], v5
	v_add_u32_e32 v25, 2, v25
	v_cmp_le_i32_e32 vcc, s46, v25
	v_add_u32_e32 v23, 2, v23
	s_or_b64 s[34:35], vcc, s[34:35]
	s_waitcnt lgkmcnt(0)
	v_add_f32_e32 v3, v4, v7
	v_add_f32_e32 v4, v6, v8
	v_add_u32_e32 v24, s50, v24
	ds_write_b64 v5, v[3:4]
	s_andn2_b64 exec, exec, s[34:35]
	s_cbranch_execnz .LBB49_43
	s_branch .LBB49_40
.LBB49_54:                              ;   in Loop: Header=BB49_10 Depth=1
	s_andn2_b64 vcc, exec, s[28:29]
	s_waitcnt lgkmcnt(0)
	s_cbranch_vccnz .LBB49_69
; %bb.55:                               ;   in Loop: Header=BB49_10 Depth=1
	s_mul_i32 s36, s49, s52
	s_mov_b32 s37, 0
	v_mov_b32_e32 v7, v19
	s_mov_b32 s38, s36
	s_branch .LBB49_57
.LBB49_56:                              ;   in Loop: Header=BB49_57 Depth=2
	s_or_b64 exec, exec, s[6:7]
	s_add_i32 s37, s37, 1
	s_add_i32 s38, s38, 1
	s_cmp_eq_u32 s37, s46
	v_add_u32_e32 v7, 8, v7
	s_waitcnt lgkmcnt(0)
	s_cbranch_scc1 .LBB49_69
.LBB49_57:                              ;   Parent Loop BB49_10 Depth=1
                                        ; =>  This Loop Header: Depth=2
                                        ;       Child Loop BB49_64 Depth 3
                                        ;       Child Loop BB49_68 Depth 3
	s_mul_i32 s39, s37, s46
	s_add_i32 s39, s39, s36
	s_add_i32 s6, s39, s37
	s_ashr_i32 s7, s6, 31
	s_lshl_b64 s[6:7], s[6:7], 3
	s_add_u32 s6, s22, s6
	s_addc_u32 s7, s23, s7
	global_load_dwordx2 v[5:6], v2, s[6:7]
	v_lshl_add_u32 v8, s37, 3, v13
	ds_read_b64 v[3:4], v8
	s_waitcnt vmcnt(0)
	v_cmp_neq_f32_e32 vcc, 0, v5
	v_cmp_neq_f32_e64 s[6:7], 0, v6
	s_or_b64 vcc, vcc, s[6:7]
	v_cndmask_b32_e32 v9, 1.0, v5, vcc
	s_nor_b64 s[34:35], vcc, s[4:5]
	v_cndmask_b32_e32 v10, 0, v6, vcc
	s_and_saveexec_b64 s[6:7], s[34:35]
	s_cbranch_execz .LBB49_61
; %bb.58:                               ;   in Loop: Header=BB49_57 Depth=2
	v_mbcnt_lo_u32_b32 v5, exec_lo, 0
	v_mbcnt_hi_u32_b32 v5, exec_hi, v5
	v_cmp_eq_u32_e32 vcc, 0, v5
	s_and_saveexec_b64 s[34:35], vcc
	s_cbranch_execz .LBB49_60
; %bb.59:                               ;   in Loop: Header=BB49_57 Depth=2
	v_mov_b32_e32 v5, s51
	global_atomic_smin v2, v5, s[14:15]
.LBB49_60:                              ;   in Loop: Header=BB49_57 Depth=2
	s_or_b64 exec, exec, s[34:35]
	v_mov_b32_e32 v10, 0
	v_mov_b32_e32 v9, 1.0
.LBB49_61:                              ;   in Loop: Header=BB49_57 Depth=2
	s_or_b64 exec, exec, s[6:7]
	v_lshl_add_u32 v5, s37, 3, v12
	ds_read_b64 v[5:6], v5
	s_cmp_eq_u32 s37, 0
	s_cbranch_scc1 .LBB49_66
; %bb.62:                               ;   in Loop: Header=BB49_57 Depth=2
	s_mov_b32 s34, 0
	s_mov_b32 s35, s37
	;; [unrolled: 1-line block ×3, first 2 shown]
	v_mov_b32_e32 v21, v13
	s_branch .LBB49_64
.LBB49_63:                              ;   in Loop: Header=BB49_64 Depth=3
	s_ashr_i32 s7, s6, 31
	s_lshl_b64 s[6:7], s[6:7], 3
	s_add_u32 s6, s22, s6
	s_addc_u32 s7, s23, s7
	global_load_dwordx2 v[22:23], v2, s[6:7]
	ds_read_b64 v[24:25], v21
	s_add_i32 s34, s34, 1
	s_add_i32 s40, s40, s46
	s_add_i32 s35, s35, -1
	s_cmp_eq_u32 s35, 0
	v_add_u32_e32 v21, 8, v21
	s_waitcnt vmcnt(0) lgkmcnt(0)
	v_fmac_f32_e32 v5, v22, v24
	v_fmac_f32_e32 v6, v23, v24
	;; [unrolled: 1-line block ×3, first 2 shown]
	v_fma_f32 v6, v22, -v25, v6
	s_cbranch_scc1 .LBB49_66
.LBB49_64:                              ;   Parent Loop BB49_10 Depth=1
                                        ;     Parent Loop BB49_57 Depth=2
                                        ; =>    This Inner Loop Header: Depth=3
	s_andn2_b64 vcc, exec, s[24:25]
	s_mov_b32 s6, s40
	s_cbranch_vccnz .LBB49_63
; %bb.65:                               ;   in Loop: Header=BB49_64 Depth=3
	s_add_i32 s6, s34, s39
	s_branch .LBB49_63
.LBB49_66:                              ;   in Loop: Header=BB49_57 Depth=2
	v_mul_f32_e32 v21, v10, v10
	v_fmac_f32_e32 v21, v9, v9
	v_div_scale_f32 v22, s[6:7], v21, v21, 1.0
	v_div_scale_f32 v23, vcc, 1.0, v21, 1.0
	s_waitcnt lgkmcnt(0)
	v_sub_f32_e32 v3, v3, v5
	v_sub_f32_e32 v4, v4, v6
	v_mul_f32_e32 v5, v10, v4
	v_mul_f32_e64 v6, v10, -v3
	v_fmac_f32_e32 v5, v3, v9
	v_fmac_f32_e32 v6, v4, v9
	v_rcp_f32_e32 v24, v22
	v_fma_f32 v25, -v22, v24, 1.0
	v_fmac_f32_e32 v24, v25, v24
	v_mul_f32_e32 v25, v23, v24
	v_fma_f32 v26, -v22, v25, v23
	v_fmac_f32_e32 v25, v26, v24
	v_fma_f32 v22, -v22, v25, v23
	v_div_fmas_f32 v22, v22, v24, v25
	v_div_fixup_f32 v4, v22, v21, 1.0
	v_mul_f32_e32 v3, v4, v5
	v_mul_f32_e32 v4, v4, v6
	ds_write_b64 v8, v[3:4]
	s_waitcnt lgkmcnt(0)
	s_and_saveexec_b64 s[6:7], s[0:1]
	s_cbranch_execz .LBB49_56
; %bb.67:                               ;   in Loop: Header=BB49_57 Depth=2
	s_mov_b64 s[34:35], 0
	v_mov_b32_e32 v5, v7
	v_mov_b32_e32 v6, v18
	;; [unrolled: 1-line block ×3, first 2 shown]
.LBB49_68:                              ;   Parent Loop BB49_10 Depth=1
                                        ;     Parent Loop BB49_57 Depth=2
                                        ; =>    This Inner Loop Header: Depth=3
	ds_read_b64 v[9:10], v5
	ds_read_b64 v[21:22], v6
	v_add_u32_e32 v8, 2, v8
	v_cmp_le_i32_e32 vcc, s46, v8
	s_or_b64 s[34:35], vcc, s[34:35]
	v_add_u32_e32 v5, 0x210, v5
	s_waitcnt lgkmcnt(0)
	v_fma_f32 v21, v3, v9, v21
	v_fmac_f32_e32 v22, v4, v9
	v_fmac_f32_e32 v21, v4, v10
	v_fma_f32 v22, v3, -v10, v22
	ds_write_b64 v6, v[21:22]
	v_add_u32_e32 v6, 16, v6
	s_andn2_b64 exec, exec, s[34:35]
	s_cbranch_execnz .LBB49_68
	s_branch .LBB49_56
.LBB49_69:                              ;   in Loop: Header=BB49_10 Depth=1
	s_and_saveexec_b64 s[6:7], s[0:1]
	s_cbranch_execz .LBB49_9
; %bb.70:                               ;   in Loop: Header=BB49_10 Depth=1
	s_mov_b64 s[34:35], 0
	v_mov_b32_e32 v5, v20
	v_mov_b32_e32 v6, v0
	s_branch .LBB49_73
.LBB49_71:                              ;   in Loop: Header=BB49_73 Depth=2
	v_ashrrev_i32_e32 v4, 31, v3
	ds_read_b64 v[7:8], v5
	v_lshlrev_b64 v[3:4], 3, v[3:4]
	v_mov_b32_e32 v9, s23
	v_add_co_u32_e32 v3, vcc, s22, v3
	v_addc_co_u32_e32 v4, vcc, v9, v4, vcc
	s_waitcnt lgkmcnt(0)
	global_store_dwordx2 v[3:4], v[7:8], off
.LBB49_72:                              ;   in Loop: Header=BB49_73 Depth=2
	s_or_b64 exec, exec, s[36:37]
	v_add_u32_e32 v6, 2, v6
	v_cmp_le_i32_e32 vcc, s46, v6
	s_or_b64 s[34:35], vcc, s[34:35]
	v_add_u32_e32 v5, 16, v5
	s_andn2_b64 exec, exec, s[34:35]
	s_cbranch_execz .LBB49_9
.LBB49_73:                              ;   Parent Loop BB49_10 Depth=1
                                        ; =>  This Inner Loop Header: Depth=2
	s_and_saveexec_b64 s[36:37], s[2:3]
	s_cbranch_execz .LBB49_72
; %bb.74:                               ;   in Loop: Header=BB49_73 Depth=2
	s_mov_b64 s[38:39], -1
	s_and_b64 vcc, exec, s[26:27]
                                        ; implicit-def: $vgpr3
	s_cbranch_vccz .LBB49_76
; %bb.75:                               ;   in Loop: Header=BB49_73 Depth=2
	v_add_u32_e32 v3, s31, v6
	v_mad_u64_u32 v[3:4], s[38:39], v3, s46, v[1:2]
	s_mov_b64 s[38:39], 0
.LBB49_76:                              ;   in Loop: Header=BB49_73 Depth=2
	s_andn2_b64 vcc, exec, s[38:39]
	s_cbranch_vccnz .LBB49_71
; %bb.77:                               ;   in Loop: Header=BB49_73 Depth=2
	v_add_u32_e32 v3, v17, v6
	s_branch .LBB49_71
.LBB49_78:                              ;   in Loop: Header=BB49_10 Depth=1
                                        ; implicit-def: $sgpr30
                                        ; implicit-def: $vgpr17
	s_cbranch_execz .LBB49_10
.LBB49_79:
	v_cmp_gt_i32_e64 s[0:1], s46, v0
	s_and_saveexec_b64 s[4:5], s[0:1]
	s_cbranch_execz .LBB49_92
; %bb.80:
	s_mul_i32 s26, s33, s46
	v_add_u32_e32 v2, s26, v1
	v_mul_lo_u32 v5, v2, s46
	s_cmp_lg_u32 s47, 0
	v_mul_u32_u24_e32 v2, 0x108, v1
	s_movk_i32 s8, 0x2100
	s_cselect_b64 s[6:7], -1, 0
	v_cmp_gt_i32_e64 s[2:3], s46, v1
	v_add3_u32 v6, v2, v11, s8
	s_mov_b64 s[8:9], 0
	v_mov_b32_e32 v7, v0
	s_branch .LBB49_82
.LBB49_81:                              ;   in Loop: Header=BB49_82 Depth=1
	s_or_b64 exec, exec, s[18:19]
	v_add_u32_e32 v7, 2, v7
	v_cmp_le_i32_e32 vcc, s46, v7
	s_waitcnt vmcnt(0)
	ds_write_b64 v6, v[3:4]
	s_or_b64 s[8:9], vcc, s[8:9]
	v_add_u32_e32 v6, 16, v6
	s_andn2_b64 exec, exec, s[8:9]
	s_cbranch_execz .LBB49_92
.LBB49_82:                              ; =>This Inner Loop Header: Depth=1
	s_and_b64 vcc, exec, s[6:7]
	s_cbranch_vccz .LBB49_89
; %bb.83:                               ;   in Loop: Header=BB49_82 Depth=1
	s_mov_b64 s[18:19], 0
	s_mov_b64 s[16:17], 0
                                        ; implicit-def: $vgpr2
	s_and_saveexec_b64 s[24:25], s[2:3]
	s_xor_b64 s[24:25], exec, s[24:25]
; %bb.84:                               ;   in Loop: Header=BB49_82 Depth=1
	v_add_u32_e32 v2, s26, v7
	s_mov_b64 s[16:17], exec
	v_mad_u64_u32 v[2:3], s[28:29], v2, s46, v[1:2]
; %bb.85:                               ;   in Loop: Header=BB49_82 Depth=1
	s_or_b64 exec, exec, s[24:25]
	s_and_b64 vcc, exec, s[18:19]
	s_cbranch_vccz .LBB49_90
.LBB49_86:                              ;   in Loop: Header=BB49_82 Depth=1
                                        ; implicit-def: $vgpr2
	s_and_saveexec_b64 s[18:19], s[2:3]
; %bb.87:                               ;   in Loop: Header=BB49_82 Depth=1
	v_add_u32_e32 v2, v5, v7
	s_or_b64 s[16:17], s[16:17], exec
; %bb.88:                               ;   in Loop: Header=BB49_82 Depth=1
	s_or_b64 exec, exec, s[18:19]
	v_mov_b32_e32 v3, 0
	v_mov_b32_e32 v4, 0
	s_and_saveexec_b64 s[18:19], s[16:17]
	s_cbranch_execz .LBB49_81
	s_branch .LBB49_91
.LBB49_89:                              ;   in Loop: Header=BB49_82 Depth=1
	s_mov_b64 s[16:17], 0
                                        ; implicit-def: $vgpr2
	s_cbranch_execnz .LBB49_86
.LBB49_90:                              ;   in Loop: Header=BB49_82 Depth=1
	v_mov_b32_e32 v3, 0
	v_mov_b32_e32 v4, 0
	s_and_saveexec_b64 s[18:19], s[16:17]
	s_cbranch_execz .LBB49_81
.LBB49_91:                              ;   in Loop: Header=BB49_82 Depth=1
	v_ashrrev_i32_e32 v3, 31, v2
	v_lshlrev_b64 v[2:3], 3, v[2:3]
	v_mov_b32_e32 v4, s23
	v_add_co_u32_e32 v2, vcc, s22, v2
	v_addc_co_u32_e32 v3, vcc, v4, v3, vcc
	global_load_dwordx2 v[3:4], v[2:3], off
	s_branch .LBB49_81
.LBB49_92:
	s_or_b64 exec, exec, s[4:5]
	s_cmp_lt_i32 s46, 1
	s_waitcnt lgkmcnt(0)
	s_cbranch_scc1 .LBB49_111
; %bb.93:
	v_or_b32_e32 v4, v0, v1
	s_movk_i32 s4, 0x108
	v_mov_b32_e32 v2, 0x2100
	v_cmp_ne_u32_e64 s[2:3], 0, v4
	v_mov_b32_e32 v4, 0x4200
	v_mad_u32_u24 v6, v1, s4, v2
	v_mul_u32_u24_e32 v3, 0x108, v1
	s_movk_i32 s5, 0x4200
	v_mad_u32_u24 v7, v1, s4, v4
	v_lshlrev_b32_e32 v4, 3, v1
	s_mov_b32 s18, 0
	s_add_i32 s19, s20, s21
	v_add_u32_e32 v8, v6, v4
	v_add_u32_e32 v9, v7, v4
	v_add3_u32 v10, v3, v11, s5
	v_mad_u32_u24 v12, v0, s4, v2
	s_mov_b32 s24, 0xf800000
	v_mov_b32_e32 v13, 0x260
	v_mov_b32_e32 v3, 0
	s_branch .LBB49_95
.LBB49_94:                              ;   in Loop: Header=BB49_95 Depth=1
	s_or_b64 exec, exec, s[4:5]
	s_add_i32 s18, s18, 1
	s_cmp_eq_u32 s18, s46
	v_add_u32_e32 v12, 8, v12
	s_waitcnt lgkmcnt(0)
	s_cbranch_scc1 .LBB49_111
.LBB49_95:                              ; =>This Loop Header: Depth=1
                                        ;     Child Loop BB49_110 Depth 2
	v_cmp_eq_u32_e32 vcc, s18, v1
	s_and_saveexec_b64 s[6:7], vcc
	s_cbranch_execz .LBB49_103
; %bb.96:                               ;   in Loop: Header=BB49_95 Depth=1
	ds_read_b64 v[4:5], v8
	ds_read_b64 v[14:15], v9
	s_waitcnt lgkmcnt(0)
	v_sub_f32_e32 v2, v4, v14
	v_sub_f32_e32 v14, v5, v15
	v_cmp_gt_f32_e32 vcc, 0, v2
	v_cndmask_b32_e64 v2, v2, -v2, vcc
	v_cmp_gt_f32_e32 vcc, 0, v14
	v_cndmask_b32_e64 v4, v14, -v14, vcc
	v_cmp_ngt_f32_e32 vcc, v2, v4
                                        ; implicit-def: $vgpr5
	s_and_saveexec_b64 s[4:5], vcc
	s_xor_b64 s[8:9], exec, s[4:5]
	s_cbranch_execz .LBB49_100
; %bb.97:                               ;   in Loop: Header=BB49_95 Depth=1
	v_mov_b32_e32 v5, 0
	v_cmp_neq_f32_e32 vcc, 0, v14
	s_and_saveexec_b64 s[16:17], vcc
	s_cbranch_execz .LBB49_99
; %bb.98:                               ;   in Loop: Header=BB49_95 Depth=1
	v_div_scale_f32 v5, s[4:5], v4, v4, v2
	v_div_scale_f32 v14, vcc, v2, v4, v2
	v_rcp_f32_e32 v15, v5
	v_fma_f32 v16, -v5, v15, 1.0
	v_fmac_f32_e32 v15, v16, v15
	v_mul_f32_e32 v16, v14, v15
	v_fma_f32 v17, -v5, v16, v14
	v_fmac_f32_e32 v16, v17, v15
	v_fma_f32 v5, -v5, v16, v14
	v_div_fmas_f32 v5, v5, v15, v16
	v_div_fixup_f32 v2, v5, v4, v2
	v_fma_f32 v2, v2, v2, 1.0
	v_mul_f32_e32 v5, 0x4f800000, v2
	v_cmp_gt_f32_e32 vcc, s24, v2
	v_cndmask_b32_e32 v2, v2, v5, vcc
	v_sqrt_f32_e32 v5, v2
	v_add_u32_e32 v14, -1, v5
	v_add_u32_e32 v15, 1, v5
	v_fma_f32 v16, -v14, v5, v2
	v_fma_f32 v17, -v15, v5, v2
	v_cmp_ge_f32_e64 s[4:5], 0, v16
	v_cndmask_b32_e64 v5, v5, v14, s[4:5]
	v_cmp_lt_f32_e64 s[4:5], 0, v17
	v_cndmask_b32_e64 v5, v5, v15, s[4:5]
	v_mul_f32_e32 v14, 0x37800000, v5
	v_cndmask_b32_e32 v5, v5, v14, vcc
	v_cmp_class_f32_e32 vcc, v2, v13
	v_cndmask_b32_e32 v2, v5, v2, vcc
	v_mul_f32_e32 v5, v4, v2
.LBB49_99:                              ;   in Loop: Header=BB49_95 Depth=1
	s_or_b64 exec, exec, s[16:17]
                                        ; implicit-def: $vgpr2
                                        ; implicit-def: $vgpr4
.LBB49_100:                             ;   in Loop: Header=BB49_95 Depth=1
	s_andn2_saveexec_b64 s[8:9], s[8:9]
	s_cbranch_execz .LBB49_102
; %bb.101:                              ;   in Loop: Header=BB49_95 Depth=1
	v_div_scale_f32 v5, s[4:5], v2, v2, v4
	v_div_scale_f32 v14, vcc, v4, v2, v4
	v_rcp_f32_e32 v15, v5
	v_fma_f32 v16, -v5, v15, 1.0
	v_fmac_f32_e32 v15, v16, v15
	v_mul_f32_e32 v16, v14, v15
	v_fma_f32 v17, -v5, v16, v14
	v_fmac_f32_e32 v16, v17, v15
	v_fma_f32 v5, -v5, v16, v14
	v_div_fmas_f32 v5, v5, v15, v16
	v_div_fixup_f32 v4, v5, v2, v4
	v_fma_f32 v4, v4, v4, 1.0
	v_mul_f32_e32 v5, 0x4f800000, v4
	v_cmp_gt_f32_e32 vcc, s24, v4
	v_cndmask_b32_e32 v4, v4, v5, vcc
	v_sqrt_f32_e32 v5, v4
	v_add_u32_e32 v14, -1, v5
	v_add_u32_e32 v15, 1, v5
	v_fma_f32 v16, -v14, v5, v4
	v_fma_f32 v17, -v15, v5, v4
	v_cmp_ge_f32_e64 s[4:5], 0, v16
	v_cndmask_b32_e64 v5, v5, v14, s[4:5]
	v_cmp_lt_f32_e64 s[4:5], 0, v17
	v_cndmask_b32_e64 v5, v5, v15, s[4:5]
	v_mul_f32_e32 v14, 0x37800000, v5
	v_cndmask_b32_e32 v5, v5, v14, vcc
	v_cmp_class_f32_e32 vcc, v4, v13
	v_cndmask_b32_e32 v4, v5, v4, vcc
	v_mul_f32_e32 v5, v2, v4
.LBB49_102:                             ;   in Loop: Header=BB49_95 Depth=1
	s_or_b64 exec, exec, s[8:9]
	v_mul_f32_e32 v2, 0x4f800000, v5
	v_cmp_gt_f32_e32 vcc, s24, v5
	v_cndmask_b32_e32 v2, v5, v2, vcc
	v_sqrt_f32_e32 v4, v2
	v_add_u32_e32 v5, -1, v4
	v_fma_f32 v15, -v5, v4, v2
	v_add_u32_e32 v14, 1, v4
	v_cmp_ge_f32_e64 s[4:5], 0, v15
	v_cndmask_b32_e64 v5, v4, v5, s[4:5]
	v_fma_f32 v4, -v14, v4, v2
	v_cmp_lt_f32_e64 s[4:5], 0, v4
	v_cndmask_b32_e64 v4, v5, v14, s[4:5]
	v_mul_f32_e32 v5, 0x37800000, v4
	v_cndmask_b32_e32 v4, v4, v5, vcc
	v_cmp_class_f32_e32 vcc, v2, v13
	v_cndmask_b32_e32 v2, v4, v2, vcc
	ds_write_b64 v8, v[2:3]
.LBB49_103:                             ;   in Loop: Header=BB49_95 Depth=1
	s_or_b64 exec, exec, s[6:7]
	s_lshl_b32 s4, s18, 3
	s_mul_i32 s5, s18, 0x108
	s_add_i32 s5, s5, s4
	v_mov_b32_e32 v2, s5
	s_waitcnt lgkmcnt(0)
	ds_read_b64 v[14:15], v2 offset:8448
	v_add_u32_e32 v2, s4, v6
	ds_read_b64 v[4:5], v2
	s_waitcnt lgkmcnt(1)
	v_cmp_neq_f32_e32 vcc, 0, v14
	v_cmp_neq_f32_e64 s[4:5], 0, v15
	s_or_b64 vcc, vcc, s[4:5]
	v_cndmask_b32_e32 v15, 0, v15, vcc
	s_nor_b64 s[6:7], vcc, s[2:3]
	v_cndmask_b32_e32 v14, 1.0, v14, vcc
	s_and_saveexec_b64 s[4:5], s[6:7]
	s_cbranch_execz .LBB49_107
; %bb.104:                              ;   in Loop: Header=BB49_95 Depth=1
	v_mbcnt_lo_u32_b32 v14, exec_lo, 0
	v_mbcnt_hi_u32_b32 v14, exec_hi, v14
	v_cmp_eq_u32_e32 vcc, 0, v14
	s_and_saveexec_b64 s[6:7], vcc
	s_cbranch_execz .LBB49_106
; %bb.105:                              ;   in Loop: Header=BB49_95 Depth=1
	v_mov_b32_e32 v14, s19
	global_atomic_smin v3, v14, s[14:15]
.LBB49_106:                             ;   in Loop: Header=BB49_95 Depth=1
	s_or_b64 exec, exec, s[6:7]
	v_mov_b32_e32 v14, 1.0
	v_mov_b32_e32 v15, 0
.LBB49_107:                             ;   in Loop: Header=BB49_95 Depth=1
	s_or_b64 exec, exec, s[4:5]
	v_cmp_lt_u32_e32 vcc, s18, v1
	s_and_saveexec_b64 s[4:5], vcc
	s_cbranch_execz .LBB49_94
; %bb.108:                              ;   in Loop: Header=BB49_95 Depth=1
	v_mul_f32_e32 v18, v15, v15
	v_fmac_f32_e32 v18, v14, v14
	v_div_scale_f32 v16, s[6:7], v18, v18, 1.0
	v_div_scale_f32 v17, vcc, 1.0, v18, 1.0
	v_rcp_f32_e32 v19, v16
	v_fma_f32 v20, -v16, v19, 1.0
	v_fmac_f32_e32 v19, v20, v19
	v_mul_f32_e32 v20, v17, v19
	v_fma_f32 v21, -v16, v20, v17
	v_fmac_f32_e32 v20, v21, v19
	v_fma_f32 v16, -v16, v20, v17
	v_div_fmas_f32 v19, v16, v19, v20
	v_lshl_add_u32 v16, s18, 3, v7
	ds_read_b64 v[16:17], v16
	s_waitcnt lgkmcnt(0)
	v_sub_f32_e32 v4, v4, v16
	v_sub_f32_e32 v5, v5, v17
	v_mul_f32_e32 v16, v15, v5
	v_mul_f32_e64 v15, v15, -v4
	v_fmac_f32_e32 v16, v4, v14
	v_fmac_f32_e32 v15, v5, v14
	v_div_fixup_f32 v5, v19, v18, 1.0
	v_mul_f32_e32 v4, v5, v16
	v_mul_f32_e32 v5, v5, v15
	ds_write_b64 v2, v[4:5]
	s_waitcnt lgkmcnt(0)
	s_and_b64 exec, exec, s[0:1]
	s_cbranch_execz .LBB49_94
; %bb.109:                              ;   in Loop: Header=BB49_95 Depth=1
	s_mov_b64 s[6:7], 0
	v_mov_b32_e32 v2, v12
	v_mov_b32_e32 v14, v10
	;; [unrolled: 1-line block ×3, first 2 shown]
.LBB49_110:                             ;   Parent Loop BB49_95 Depth=1
                                        ; =>  This Inner Loop Header: Depth=2
	ds_read_b64 v[16:17], v2
	ds_read_b64 v[18:19], v14
	v_add_u32_e32 v15, 2, v15
	v_cmp_le_i32_e32 vcc, s46, v15
	s_or_b64 s[6:7], vcc, s[6:7]
	v_add_u32_e32 v2, 0x210, v2
	s_waitcnt lgkmcnt(0)
	v_fma_f32 v18, v4, v16, v18
	v_fmac_f32_e32 v19, v5, v16
	v_fmac_f32_e32 v18, v5, v17
	v_fma_f32 v19, v4, -v17, v19
	ds_write_b64 v14, v[18:19]
	v_add_u32_e32 v14, 16, v14
	s_andn2_b64 exec, exec, s[6:7]
	s_cbranch_execnz .LBB49_110
	s_branch .LBB49_94
.LBB49_111:
	s_and_saveexec_b64 s[2:3], s[0:1]
	s_cbranch_execz .LBB49_120
; %bb.112:
	s_mul_i32 s33, s33, s46
	v_add_u32_e32 v2, s33, v1
	v_mul_lo_u32 v4, v2, s46
	s_cmp_lg_u32 s47, 0
	v_mul_u32_u24_e32 v2, 0x108, v1
	s_movk_i32 s6, 0x2100
	v_cmp_gt_i32_e64 s[0:1], s46, v1
	s_cselect_b64 s[4:5], -1, 0
	v_add3_u32 v5, v2, v11, s6
	s_mov_b64 s[6:7], 0
	v_mov_b32_e32 v6, v0
	s_branch .LBB49_116
.LBB49_113:                             ;   in Loop: Header=BB49_116 Depth=1
	v_add_u32_e32 v2, v4, v6
.LBB49_114:                             ;   in Loop: Header=BB49_116 Depth=1
	v_ashrrev_i32_e32 v3, 31, v2
	ds_read_b64 v[7:8], v5
	v_lshlrev_b64 v[2:3], 3, v[2:3]
	v_mov_b32_e32 v9, s23
	v_add_co_u32_e32 v2, vcc, s22, v2
	v_addc_co_u32_e32 v3, vcc, v9, v3, vcc
	s_waitcnt lgkmcnt(0)
	global_store_dwordx2 v[2:3], v[7:8], off
.LBB49_115:                             ;   in Loop: Header=BB49_116 Depth=1
	s_or_b64 exec, exec, s[8:9]
	v_add_u32_e32 v6, 2, v6
	v_cmp_le_i32_e32 vcc, s46, v6
	s_or_b64 s[6:7], vcc, s[6:7]
	v_add_u32_e32 v5, 16, v5
	s_andn2_b64 exec, exec, s[6:7]
	s_cbranch_execz .LBB49_120
.LBB49_116:                             ; =>This Inner Loop Header: Depth=1
	s_and_saveexec_b64 s[8:9], s[0:1]
	s_cbranch_execz .LBB49_115
; %bb.117:                              ;   in Loop: Header=BB49_116 Depth=1
	s_and_b64 vcc, exec, s[4:5]
	s_cbranch_vccz .LBB49_119
; %bb.118:                              ;   in Loop: Header=BB49_116 Depth=1
	v_add_u32_e32 v2, s33, v6
	v_mad_u64_u32 v[2:3], s[16:17], v2, s46, v[1:2]
	s_cbranch_execnz .LBB49_114
	s_branch .LBB49_113
.LBB49_119:                             ;   in Loop: Header=BB49_116 Depth=1
                                        ; implicit-def: $vgpr2
	s_branch .LBB49_113
.LBB49_120:
	s_or_b64 exec, exec, s[2:3]
	v_or_b32_e32 v2, v0, v1
	v_cmp_eq_u32_e32 vcc, 0, v2
	s_and_saveexec_b64 s[0:1], vcc
	s_cbranch_execz .LBB49_122
; %bb.121:
	s_add_u32 s2, s10, s12
	s_addc_u32 s3, s11, s13
	v_mov_b32_e32 v2, 0
	v_mov_b32_e32 v3, 1
	s_waitcnt vmcnt(0)
	global_store_dword v2, v3, s[2:3]
.LBB49_122:
	s_or_b64 exec, exec, s[0:1]
.LBB49_123:
	s_endpgm
.LBB49_124:
	s_cbranch_execz .LBB49_123
; %bb.125:
	v_or_b32_e32 v0, v0, v1
	v_cmp_eq_u32_e32 vcc, 0, v0
	s_and_saveexec_b64 s[0:1], vcc
	s_cbranch_execz .LBB49_123
; %bb.126:
	v_mbcnt_lo_u32_b32 v0, exec_lo, 0
	v_mbcnt_hi_u32_b32 v0, exec_hi, v0
	v_cmp_eq_u32_e32 vcc, 0, v0
	s_and_saveexec_b64 s[0:1], vcc
	s_cbranch_execz .LBB49_128
; %bb.127:
	s_add_i32 s2, s20, s21
	v_mov_b32_e32 v0, 0
	v_mov_b32_e32 v1, s2
	global_atomic_smin v0, v1, s[14:15]
.LBB49_128:
	s_or_b64 exec, exec, s[0:1]
	s_add_u32 s0, s10, s12
	s_addc_u32 s1, s11, s13
	v_mov_b32_e32 v0, 0
	v_mov_b32_e32 v1, 1
	s_waitcnt vmcnt(0)
	global_store_dword v0, v1, s[0:1]
	s_endpgm
	.section	.rodata,"a",@progbits
	.p2align	6, 0x0
	.amdhsa_kernel _ZN9rocsparseL19bsric0_17_32_kernelILi64ELi32ELi32E21rocsparse_complex_numIfEEEv20rocsparse_direction_iiPKiS5_PT2_S5_PiS5_S8_21rocsparse_index_base_
		.amdhsa_group_segment_fixed_size 25728
		.amdhsa_private_segment_fixed_size 0
		.amdhsa_kernarg_size 76
		.amdhsa_user_sgpr_count 6
		.amdhsa_user_sgpr_private_segment_buffer 1
		.amdhsa_user_sgpr_dispatch_ptr 0
		.amdhsa_user_sgpr_queue_ptr 0
		.amdhsa_user_sgpr_kernarg_segment_ptr 1
		.amdhsa_user_sgpr_dispatch_id 0
		.amdhsa_user_sgpr_flat_scratch_init 0
		.amdhsa_user_sgpr_private_segment_size 0
		.amdhsa_uses_dynamic_stack 0
		.amdhsa_system_sgpr_private_segment_wavefront_offset 0
		.amdhsa_system_sgpr_workgroup_id_x 1
		.amdhsa_system_sgpr_workgroup_id_y 0
		.amdhsa_system_sgpr_workgroup_id_z 0
		.amdhsa_system_sgpr_workgroup_info 0
		.amdhsa_system_vgpr_workitem_id 1
		.amdhsa_next_free_vgpr 129
		.amdhsa_next_free_sgpr 98
		.amdhsa_reserve_vcc 1
		.amdhsa_reserve_flat_scratch 0
		.amdhsa_float_round_mode_32 0
		.amdhsa_float_round_mode_16_64 0
		.amdhsa_float_denorm_mode_32 3
		.amdhsa_float_denorm_mode_16_64 3
		.amdhsa_dx10_clamp 1
		.amdhsa_ieee_mode 1
		.amdhsa_fp16_overflow 0
		.amdhsa_exception_fp_ieee_invalid_op 0
		.amdhsa_exception_fp_denorm_src 0
		.amdhsa_exception_fp_ieee_div_zero 0
		.amdhsa_exception_fp_ieee_overflow 0
		.amdhsa_exception_fp_ieee_underflow 0
		.amdhsa_exception_fp_ieee_inexact 0
		.amdhsa_exception_int_div_zero 0
	.end_amdhsa_kernel
	.section	.text._ZN9rocsparseL19bsric0_17_32_kernelILi64ELi32ELi32E21rocsparse_complex_numIfEEEv20rocsparse_direction_iiPKiS5_PT2_S5_PiS5_S8_21rocsparse_index_base_,"axG",@progbits,_ZN9rocsparseL19bsric0_17_32_kernelILi64ELi32ELi32E21rocsparse_complex_numIfEEEv20rocsparse_direction_iiPKiS5_PT2_S5_PiS5_S8_21rocsparse_index_base_,comdat
.Lfunc_end49:
	.size	_ZN9rocsparseL19bsric0_17_32_kernelILi64ELi32ELi32E21rocsparse_complex_numIfEEEv20rocsparse_direction_iiPKiS5_PT2_S5_PiS5_S8_21rocsparse_index_base_, .Lfunc_end49-_ZN9rocsparseL19bsric0_17_32_kernelILi64ELi32ELi32E21rocsparse_complex_numIfEEEv20rocsparse_direction_iiPKiS5_PT2_S5_PiS5_S8_21rocsparse_index_base_
                                        ; -- End function
	.set _ZN9rocsparseL19bsric0_17_32_kernelILi64ELi32ELi32E21rocsparse_complex_numIfEEEv20rocsparse_direction_iiPKiS5_PT2_S5_PiS5_S8_21rocsparse_index_base_.num_vgpr, 28
	.set _ZN9rocsparseL19bsric0_17_32_kernelILi64ELi32ELi32E21rocsparse_complex_numIfEEEv20rocsparse_direction_iiPKiS5_PT2_S5_PiS5_S8_21rocsparse_index_base_.num_agpr, 0
	.set _ZN9rocsparseL19bsric0_17_32_kernelILi64ELi32ELi32E21rocsparse_complex_numIfEEEv20rocsparse_direction_iiPKiS5_PT2_S5_PiS5_S8_21rocsparse_index_base_.numbered_sgpr, 56
	.set _ZN9rocsparseL19bsric0_17_32_kernelILi64ELi32ELi32E21rocsparse_complex_numIfEEEv20rocsparse_direction_iiPKiS5_PT2_S5_PiS5_S8_21rocsparse_index_base_.num_named_barrier, 0
	.set _ZN9rocsparseL19bsric0_17_32_kernelILi64ELi32ELi32E21rocsparse_complex_numIfEEEv20rocsparse_direction_iiPKiS5_PT2_S5_PiS5_S8_21rocsparse_index_base_.private_seg_size, 0
	.set _ZN9rocsparseL19bsric0_17_32_kernelILi64ELi32ELi32E21rocsparse_complex_numIfEEEv20rocsparse_direction_iiPKiS5_PT2_S5_PiS5_S8_21rocsparse_index_base_.uses_vcc, 1
	.set _ZN9rocsparseL19bsric0_17_32_kernelILi64ELi32ELi32E21rocsparse_complex_numIfEEEv20rocsparse_direction_iiPKiS5_PT2_S5_PiS5_S8_21rocsparse_index_base_.uses_flat_scratch, 0
	.set _ZN9rocsparseL19bsric0_17_32_kernelILi64ELi32ELi32E21rocsparse_complex_numIfEEEv20rocsparse_direction_iiPKiS5_PT2_S5_PiS5_S8_21rocsparse_index_base_.has_dyn_sized_stack, 0
	.set _ZN9rocsparseL19bsric0_17_32_kernelILi64ELi32ELi32E21rocsparse_complex_numIfEEEv20rocsparse_direction_iiPKiS5_PT2_S5_PiS5_S8_21rocsparse_index_base_.has_recursion, 0
	.set _ZN9rocsparseL19bsric0_17_32_kernelILi64ELi32ELi32E21rocsparse_complex_numIfEEEv20rocsparse_direction_iiPKiS5_PT2_S5_PiS5_S8_21rocsparse_index_base_.has_indirect_call, 0
	.section	.AMDGPU.csdata,"",@progbits
; Kernel info:
; codeLenInByte = 4216
; TotalNumSgprs: 60
; NumVgprs: 28
; ScratchSize: 0
; MemoryBound: 0
; FloatMode: 240
; IeeeMode: 1
; LDSByteSize: 25728 bytes/workgroup (compile time only)
; SGPRBlocks: 12
; VGPRBlocks: 32
; NumSGPRsForWavesPerEU: 102
; NumVGPRsForWavesPerEU: 129
; Occupancy: 1
; WaveLimiterHint : 1
; COMPUTE_PGM_RSRC2:SCRATCH_EN: 0
; COMPUTE_PGM_RSRC2:USER_SGPR: 6
; COMPUTE_PGM_RSRC2:TRAP_HANDLER: 0
; COMPUTE_PGM_RSRC2:TGID_X_EN: 1
; COMPUTE_PGM_RSRC2:TGID_Y_EN: 0
; COMPUTE_PGM_RSRC2:TGID_Z_EN: 0
; COMPUTE_PGM_RSRC2:TIDIG_COMP_CNT: 1
	.section	.text._ZN9rocsparseL23bsric0_binsearch_kernelILj64ELj64ELb0E21rocsparse_complex_numIfEEEv20rocsparse_direction_iiPKiS5_PT2_S5_PiS5_S8_21rocsparse_index_base_,"axG",@progbits,_ZN9rocsparseL23bsric0_binsearch_kernelILj64ELj64ELb0E21rocsparse_complex_numIfEEEv20rocsparse_direction_iiPKiS5_PT2_S5_PiS5_S8_21rocsparse_index_base_,comdat
	.globl	_ZN9rocsparseL23bsric0_binsearch_kernelILj64ELj64ELb0E21rocsparse_complex_numIfEEEv20rocsparse_direction_iiPKiS5_PT2_S5_PiS5_S8_21rocsparse_index_base_ ; -- Begin function _ZN9rocsparseL23bsric0_binsearch_kernelILj64ELj64ELb0E21rocsparse_complex_numIfEEEv20rocsparse_direction_iiPKiS5_PT2_S5_PiS5_S8_21rocsparse_index_base_
	.p2align	8
	.type	_ZN9rocsparseL23bsric0_binsearch_kernelILj64ELj64ELb0E21rocsparse_complex_numIfEEEv20rocsparse_direction_iiPKiS5_PT2_S5_PiS5_S8_21rocsparse_index_base_,@function
_ZN9rocsparseL23bsric0_binsearch_kernelILj64ELj64ELb0E21rocsparse_complex_numIfEEEv20rocsparse_direction_iiPKiS5_PT2_S5_PiS5_S8_21rocsparse_index_base_: ; @_ZN9rocsparseL23bsric0_binsearch_kernelILj64ELj64ELb0E21rocsparse_complex_numIfEEEv20rocsparse_direction_iiPKiS5_PT2_S5_PiS5_S8_21rocsparse_index_base_
; %bb.0:
	s_load_dwordx8 s[16:23], s[4:5], 0x28
	s_ashr_i32 s7, s6, 31
	s_lshl_b64 s[0:1], s[6:7], 2
	v_mov_b32_e32 v1, 0
	s_load_dword s33, s[4:5], 0x48
	s_waitcnt lgkmcnt(0)
	s_add_u32 s0, s20, s0
	s_addc_u32 s1, s21, s1
	global_load_dword v3, v1, s[0:1]
	v_mov_b32_e32 v5, s17
	s_waitcnt vmcnt(0)
	v_ashrrev_i32_e32 v4, 31, v3
	v_lshlrev_b64 v[1:2], 2, v[3:4]
	v_add_co_u32_e32 v4, vcc, s16, v1
	v_addc_co_u32_e32 v5, vcc, v5, v2, vcc
	global_load_dword v17, v[4:5], off
	s_waitcnt vmcnt(0)
	v_readfirstlane_b32 s0, v17
	s_cmp_lg_u32 s0, -1
	s_cselect_b64 s[0:1], -1, 0
	s_and_saveexec_b64 s[2:3], s[0:1]
	s_xor_b64 s[14:15], exec, s[2:3]
	s_cbranch_execz .LBB50_76
; %bb.1:
	s_load_dword s50, s[4:5], 0x8
	s_waitcnt lgkmcnt(0)
	v_cmp_gt_i32_e32 vcc, s50, v0
	s_and_saveexec_b64 s[20:21], vcc
	s_cbranch_execz .LBB50_73
; %bb.2:
	s_load_dwordx4 s[24:27], s[4:5], 0x10
	s_load_dword s6, s[4:5], 0x0
	s_mul_i32 s51, s50, s50
	s_load_dwordx2 s[28:29], s[4:5], 0x20
	v_mul_lo_u32 v20, v17, s51
	s_waitcnt lgkmcnt(0)
	v_mov_b32_e32 v5, s25
	v_add_co_u32_e32 v4, vcc, s24, v1
	v_addc_co_u32_e32 v5, vcc, v5, v2, vcc
	global_load_dwordx2 v[5:6], v[4:5], off
	s_cmp_eq_u32 s6, 0
	v_add_u32_e32 v18, s33, v3
	v_mov_b32_e32 v3, s27
	s_cselect_b64 s[2:3], -1, 0
	s_cmp_lg_u32 s6, 0
	v_cmp_ne_u32_e64 s[0:1], 0, v0
	s_mov_b64 s[30:31], 0
	v_mov_b32_e32 v4, 0
	s_mov_b32 s52, 0xf800000
	v_mov_b32_e32 v19, 0x260
	s_cselect_b64 s[34:35], -1, 0
	v_mov_b32_e32 v25, v0
	s_waitcnt vmcnt(0)
	v_subrev_u32_e32 v21, s33, v5
	v_xad_u32 v22, s33, -1, v6
	v_add_u32_e32 v5, v22, v21
	v_ashrrev_i32_e32 v5, 1, v5
	v_mul_lo_u32 v23, s51, v21
	v_ashrrev_i32_e32 v6, 31, v5
	v_lshlrev_b64 v[6:7], 2, v[5:6]
	v_cmp_lt_i32_e64 s[4:5], v21, v17
	v_add_co_u32_e32 v6, vcc, s26, v6
	v_cmp_ge_i32_e64 s[6:7], v21, v17
	v_cmp_lt_i32_e64 s[8:9], v21, v22
	v_add_u32_e32 v24, v23, v0
	v_addc_co_u32_e32 v7, vcc, v3, v7, vcc
	s_branch .LBB50_4
.LBB50_3:                               ;   in Loop: Header=BB50_4 Depth=1
	v_add_u32_e32 v25, 64, v25
	v_cmp_le_i32_e32 vcc, s50, v25
	s_or_b64 s[30:31], vcc, s[30:31]
	v_add_u32_e32 v24, 64, v24
	s_andn2_b64 exec, exec, s[30:31]
	s_cbranch_execz .LBB50_73
.LBB50_4:                               ; =>This Loop Header: Depth=1
                                        ;     Child Loop BB50_10 Depth 2
                                        ;       Child Loop BB50_13 Depth 3
                                        ;       Child Loop BB50_17 Depth 3
                                        ;         Child Loop BB50_19 Depth 4
                                        ;         Child Loop BB50_26 Depth 4
                                        ;           Child Loop BB50_28 Depth 5
                                        ;           Child Loop BB50_34 Depth 5
                                        ;     Child Loop BB50_41 Depth 2
                                        ;       Child Loop BB50_51 Depth 3
                                        ;       Child Loop BB50_59 Depth 3
                                        ;         Child Loop BB50_61 Depth 4
                                        ;       Child Loop BB50_69 Depth 3
	v_mul_lo_u32 v26, v25, s50
	s_and_saveexec_b64 s[10:11], s[6:7]
	s_xor_b64 s[10:11], exec, s[10:11]
; %bb.5:                                ;   in Loop: Header=BB50_4 Depth=1
	v_mul_lo_u32 v26, v25, s50
; %bb.6:                                ;   in Loop: Header=BB50_4 Depth=1
	s_or_saveexec_b64 s[36:37], s[10:11]
	v_mov_b32_e32 v27, 0
	v_mov_b32_e32 v28, 0
	s_xor_b64 exec, exec, s[36:37]
	s_cbranch_execz .LBB50_38
; %bb.7:                                ;   in Loop: Header=BB50_4 Depth=1
	v_mov_b32_e32 v27, 0
	s_mov_b64 s[38:39], 0
	v_mov_b32_e32 v8, v21
	v_mov_b32_e32 v28, 0
                                        ; implicit-def: $sgpr40_sgpr41
	s_branch .LBB50_10
.LBB50_8:                               ;   in Loop: Header=BB50_10 Depth=2
	v_add_u32_e32 v8, 1, v8
	v_cmp_ge_i32_e32 vcc, v8, v17
	s_andn2_b64 s[10:11], s[40:41], exec
	s_and_b64 s[12:13], vcc, exec
	s_or_b64 s[40:41], s[10:11], s[12:13]
.LBB50_9:                               ;   in Loop: Header=BB50_10 Depth=2
	s_or_b64 exec, exec, s[42:43]
	s_and_b64 s[10:11], exec, s[40:41]
	s_or_b64 s[38:39], s[10:11], s[38:39]
	s_andn2_b64 exec, exec, s[38:39]
	s_cbranch_execz .LBB50_37
.LBB50_10:                              ;   Parent Loop BB50_4 Depth=1
                                        ; =>  This Loop Header: Depth=2
                                        ;       Child Loop BB50_13 Depth 3
                                        ;       Child Loop BB50_17 Depth 3
                                        ;         Child Loop BB50_19 Depth 4
                                        ;         Child Loop BB50_26 Depth 4
                                        ;           Child Loop BB50_28 Depth 5
                                        ;           Child Loop BB50_34 Depth 5
	v_ashrrev_i32_e32 v9, 31, v8
	v_lshlrev_b64 v[9:10], 2, v[8:9]
	v_mov_b32_e32 v3, s27
	v_add_co_u32_e32 v9, vcc, s26, v9
	v_addc_co_u32_e32 v10, vcc, v3, v10, vcc
	global_load_dword v3, v[9:10], off
	v_mov_b32_e32 v13, s17
	s_or_b64 s[40:41], s[40:41], exec
	s_waitcnt vmcnt(0)
	v_subrev_u32_e32 v9, s33, v3
	v_ashrrev_i32_e32 v10, 31, v9
	v_lshlrev_b64 v[10:11], 2, v[9:10]
	v_add_co_u32_e32 v12, vcc, s16, v10
	v_addc_co_u32_e32 v13, vcc, v13, v11, vcc
	global_load_dword v29, v[12:13], off
	s_waitcnt vmcnt(0)
	v_cmp_ne_u32_e32 vcc, -1, v29
	s_and_saveexec_b64 s[42:43], vcc
	s_cbranch_execz .LBB50_9
; %bb.11:                               ;   in Loop: Header=BB50_10 Depth=2
	v_mov_b32_e32 v13, s25
	v_add_co_u32_e32 v12, vcc, s24, v10
	v_addc_co_u32_e32 v13, vcc, v13, v11, vcc
	global_load_dword v12, v[12:13], off
	v_mov_b32_e32 v13, s19
	v_add_co_u32_e32 v10, vcc, s18, v10
	v_addc_co_u32_e32 v11, vcc, v13, v11, vcc
	global_load_dword v13, v[10:11], off glc
	s_waitcnt vmcnt(0)
	v_cmp_eq_u32_e32 vcc, 0, v13
	s_and_saveexec_b64 s[10:11], vcc
	s_cbranch_execz .LBB50_14
; %bb.12:                               ;   in Loop: Header=BB50_10 Depth=2
	s_mov_b64 s[12:13], 0
.LBB50_13:                              ;   Parent Loop BB50_4 Depth=1
                                        ;     Parent Loop BB50_10 Depth=2
                                        ; =>    This Inner Loop Header: Depth=3
	global_load_dword v13, v[10:11], off glc
	s_waitcnt vmcnt(0)
	v_cmp_ne_u32_e32 vcc, 0, v13
	s_or_b64 s[12:13], vcc, s[12:13]
	s_andn2_b64 exec, exec, s[12:13]
	s_cbranch_execnz .LBB50_13
.LBB50_14:                              ;   in Loop: Header=BB50_10 Depth=2
	s_or_b64 exec, exec, s[10:11]
	v_subrev_u32_e32 v30, s33, v12
	v_mul_lo_u32 v10, v8, s51
	v_mul_lo_u32 v31, v9, s50
	;; [unrolled: 1-line block ×4, first 2 shown]
	v_add_u32_e32 v33, v10, v25
	v_add_u32_e32 v35, v10, v26
	v_cmp_le_i32_e64 s[10:11], v30, v29
	s_mov_b32 s53, 0
	buffer_wbinvl1_vol
	s_branch .LBB50_17
.LBB50_15:                              ;   in Loop: Header=BB50_17 Depth=3
	s_or_b64 exec, exec, s[44:45]
.LBB50_16:                              ;   in Loop: Header=BB50_17 Depth=3
	s_or_b64 exec, exec, s[12:13]
	v_mul_f32_e32 v13, v37, v37
	v_fmac_f32_e32 v13, v36, v36
	v_div_scale_f32 v14, s[12:13], v13, v13, 1.0
	v_div_scale_f32 v15, vcc, 1.0, v13, 1.0
	s_waitcnt vmcnt(0)
	v_sub_f32_e32 v11, v11, v39
	v_sub_f32_e32 v12, v12, v38
	s_add_i32 s53, s53, 1
	s_cmp_eq_u32 s53, s50
	v_add_u32_e32 v34, 1, v34
	v_rcp_f32_e32 v16, v14
	v_fma_f32 v40, -v14, v16, 1.0
	v_fmac_f32_e32 v16, v40, v16
	v_mul_f32_e32 v40, v15, v16
	v_fma_f32 v41, -v14, v40, v15
	v_fmac_f32_e32 v40, v41, v16
	v_fma_f32 v14, -v14, v40, v15
	v_div_fmas_f32 v14, v14, v16, v40
	v_mul_f32_e32 v15, v37, v12
	v_mul_f32_e64 v16, v37, -v11
	v_fmac_f32_e32 v15, v11, v36
	v_fmac_f32_e32 v16, v12, v36
	v_div_fixup_f32 v12, v14, v13, 1.0
	v_mul_f32_e32 v11, v12, v15
	v_mul_f32_e32 v12, v12, v16
	v_fmac_f32_e32 v28, v11, v11
	v_fmac_f32_e32 v27, v12, v11
	;; [unrolled: 1-line block ×3, first 2 shown]
	v_fma_f32 v27, v11, -v12, v27
	global_store_dwordx2 v[9:10], v[11:12], off
	s_cbranch_scc1 .LBB50_8
.LBB50_17:                              ;   Parent Loop BB50_4 Depth=1
                                        ;     Parent Loop BB50_10 Depth=2
                                        ; =>    This Loop Header: Depth=3
                                        ;         Child Loop BB50_19 Depth 4
                                        ;         Child Loop BB50_26 Depth 4
                                        ;           Child Loop BB50_28 Depth 5
                                        ;           Child Loop BB50_34 Depth 5
	s_mul_i32 s54, s53, s50
	s_add_i32 s12, s54, s53
	v_add_u32_e32 v9, s12, v32
	v_ashrrev_i32_e32 v10, 31, v9
	v_lshlrev_b64 v[9:10], 3, v[9:10]
	v_mov_b32_e32 v11, s29
	v_add_co_u32_e32 v9, vcc, s28, v9
	v_addc_co_u32_e32 v10, vcc, v11, v10, vcc
	global_load_dwordx2 v[9:10], v[9:10], off
	s_waitcnt vmcnt(0)
	v_cmp_neq_f32_e32 vcc, 0, v9
	v_cmp_neq_f32_e64 s[12:13], 0, v10
	s_or_b64 vcc, vcc, s[12:13]
	v_cndmask_b32_e32 v36, 1.0, v9, vcc
	s_nor_b64 s[44:45], vcc, s[0:1]
	v_cndmask_b32_e32 v37, 0, v10, vcc
	s_and_saveexec_b64 s[12:13], s[44:45]
	s_cbranch_execz .LBB50_23
; %bb.18:                               ;   in Loop: Header=BB50_17 Depth=3
	s_mov_b64 s[44:45], exec
	s_brev_b32 s46, -2
.LBB50_19:                              ;   Parent Loop BB50_4 Depth=1
                                        ;     Parent Loop BB50_10 Depth=2
                                        ;       Parent Loop BB50_17 Depth=3
                                        ; =>      This Inner Loop Header: Depth=4
	s_ff1_i32_b64 s47, s[44:45]
	v_readlane_b32 s55, v3, s47
	s_lshl_b64 s[48:49], 1, s47
	s_min_i32 s46, s46, s55
	s_andn2_b64 s[44:45], s[44:45], s[48:49]
	s_cmp_lg_u64 s[44:45], 0
	s_cbranch_scc1 .LBB50_19
; %bb.20:                               ;   in Loop: Header=BB50_17 Depth=3
	v_mbcnt_lo_u32_b32 v9, exec_lo, 0
	v_mbcnt_hi_u32_b32 v9, exec_hi, v9
	v_cmp_eq_u32_e32 vcc, 0, v9
	s_and_saveexec_b64 s[44:45], vcc
	s_xor_b64 s[44:45], exec, s[44:45]
	s_cbranch_execz .LBB50_22
; %bb.21:                               ;   in Loop: Header=BB50_17 Depth=3
	v_mov_b32_e32 v9, s46
	global_atomic_smin v4, v9, s[22:23]
.LBB50_22:                              ;   in Loop: Header=BB50_17 Depth=3
	s_or_b64 exec, exec, s[44:45]
	v_mov_b32_e32 v36, 1.0
	v_mov_b32_e32 v37, 0
.LBB50_23:                              ;   in Loop: Header=BB50_17 Depth=3
	s_or_b64 exec, exec, s[12:13]
	v_add_u32_e32 v9, s53, v35
	v_add_u32_e32 v10, s54, v33
	v_cndmask_b32_e64 v9, v10, v9, s[2:3]
	v_ashrrev_i32_e32 v10, 31, v9
	v_lshlrev_b64 v[9:10], 3, v[9:10]
	v_mov_b32_e32 v11, s29
	v_add_co_u32_e32 v9, vcc, s28, v9
	v_addc_co_u32_e32 v10, vcc, v11, v10, vcc
	global_load_dwordx2 v[11:12], v[9:10], off
	v_mov_b32_e32 v38, 0
	v_mov_b32_e32 v39, 0
	s_and_saveexec_b64 s[12:13], s[10:11]
	s_cbranch_execz .LBB50_16
; %bb.24:                               ;   in Loop: Header=BB50_17 Depth=3
	global_load_dword v40, v[6:7], off
	v_add_u32_e32 v41, s53, v31
	v_mov_b32_e32 v38, 0
	s_mov_b64 s[44:45], 0
	v_mov_b32_e32 v42, v34
	v_mov_b32_e32 v13, v30
	;; [unrolled: 1-line block ×3, first 2 shown]
	s_branch .LBB50_26
.LBB50_25:                              ;   in Loop: Header=BB50_26 Depth=4
	s_or_b64 exec, exec, s[46:47]
	v_add_u32_e32 v14, 1, v13
	v_cmp_ge_i32_e32 vcc, v13, v29
	v_add_u32_e32 v42, s51, v42
	s_or_b64 s[44:45], vcc, s[44:45]
	v_mov_b32_e32 v13, v14
	s_andn2_b64 exec, exec, s[44:45]
	s_cbranch_execz .LBB50_15
.LBB50_26:                              ;   Parent Loop BB50_4 Depth=1
                                        ;     Parent Loop BB50_10 Depth=2
                                        ;       Parent Loop BB50_17 Depth=3
                                        ; =>      This Loop Header: Depth=4
                                        ;           Child Loop BB50_28 Depth 5
                                        ;           Child Loop BB50_34 Depth 5
	v_ashrrev_i32_e32 v14, 31, v13
	v_lshlrev_b64 v[14:15], 2, v[13:14]
	v_mov_b32_e32 v16, s27
	v_add_co_u32_e32 v14, vcc, s26, v14
	v_addc_co_u32_e32 v15, vcc, v16, v15, vcc
	global_load_dword v16, v[14:15], off
	s_waitcnt vmcnt(1)
	v_mov_b32_e32 v15, v40
	v_mov_b32_e32 v14, v5
	s_and_saveexec_b64 s[46:47], s[8:9]
	s_cbranch_execz .LBB50_30
; %bb.27:                               ;   in Loop: Header=BB50_26 Depth=4
	s_mov_b64 s[48:49], 0
	v_mov_b32_e32 v15, v40
	v_mov_b32_e32 v14, v5
	;; [unrolled: 1-line block ×4, first 2 shown]
.LBB50_28:                              ;   Parent Loop BB50_4 Depth=1
                                        ;     Parent Loop BB50_10 Depth=2
                                        ;       Parent Loop BB50_17 Depth=3
                                        ;         Parent Loop BB50_26 Depth=4
                                        ; =>        This Inner Loop Header: Depth=5
	v_add_u32_e32 v45, 1, v14
	s_waitcnt vmcnt(0)
	v_cmp_lt_i32_e32 vcc, v15, v16
	v_cndmask_b32_e32 v44, v14, v44, vcc
	v_cndmask_b32_e32 v43, v43, v45, vcc
	v_add_u32_e32 v14, v44, v43
	v_ashrrev_i32_e32 v14, 1, v14
	v_ashrrev_i32_e32 v15, 31, v14
	v_lshlrev_b64 v[45:46], 2, v[14:15]
	v_mov_b32_e32 v15, s27
	v_add_co_u32_e32 v45, vcc, s26, v45
	v_addc_co_u32_e32 v46, vcc, v15, v46, vcc
	global_load_dword v15, v[45:46], off
	v_cmp_ge_i32_e32 vcc, v43, v44
	s_or_b64 s[48:49], vcc, s[48:49]
	s_andn2_b64 exec, exec, s[48:49]
	s_cbranch_execnz .LBB50_28
; %bb.29:                               ;   in Loop: Header=BB50_26 Depth=4
	s_or_b64 exec, exec, s[48:49]
.LBB50_30:                              ;   in Loop: Header=BB50_26 Depth=4
	s_or_b64 exec, exec, s[46:47]
	s_waitcnt vmcnt(0)
	v_cmp_eq_u32_e32 vcc, v15, v16
	s_and_saveexec_b64 s[46:47], vcc
	s_cbranch_execz .LBB50_25
; %bb.31:                               ;   in Loop: Header=BB50_26 Depth=4
	v_mul_lo_u32 v15, v13, s51
	v_mul_lo_u32 v14, v14, s51
	v_subrev_u32_e32 v16, s33, v16
	v_mul_lo_u32 v43, v16, s50
	v_add_u32_e32 v44, s54, v15
	v_add_u32_e32 v45, v14, v26
	;; [unrolled: 1-line block ×3, first 2 shown]
	s_mov_b32 s55, 0
	v_mov_b32_e32 v47, v42
	s_branch .LBB50_34
.LBB50_32:                              ;   in Loop: Header=BB50_34 Depth=5
	v_ashrrev_i32_e32 v16, 31, v15
	v_lshlrev_b64 v[15:16], 3, v[15:16]
	v_mov_b32_e32 v49, s29
	v_add_co_u32_e32 v48, vcc, s28, v15
	v_ashrrev_i32_e32 v15, 31, v14
	v_lshlrev_b64 v[14:15], 3, v[14:15]
	v_addc_co_u32_e32 v49, vcc, v49, v16, vcc
	v_mov_b32_e32 v16, s29
	v_add_co_u32_e32 v14, vcc, s28, v14
	v_addc_co_u32_e32 v15, vcc, v16, v15, vcc
	global_load_dwordx2 v[48:49], v[48:49], off
	s_nop 0
	global_load_dwordx2 v[14:15], v[14:15], off
	s_waitcnt vmcnt(0)
	v_fmac_f32_e32 v39, v48, v14
	v_fmac_f32_e32 v38, v49, v14
	;; [unrolled: 1-line block ×3, first 2 shown]
	v_fma_f32 v38, v48, -v15, v38
.LBB50_33:                              ;   in Loop: Header=BB50_34 Depth=5
	s_or_b64 exec, exec, s[48:49]
	s_add_i32 s55, s55, 1
	v_add_u32_e32 v46, s50, v46
	s_cmp_lg_u32 s50, s55
	v_add_u32_e32 v47, s50, v47
	s_cbranch_scc0 .LBB50_25
.LBB50_34:                              ;   Parent Loop BB50_4 Depth=1
                                        ;     Parent Loop BB50_10 Depth=2
                                        ;       Parent Loop BB50_17 Depth=3
                                        ;         Parent Loop BB50_26 Depth=4
                                        ; =>        This Inner Loop Header: Depth=5
	v_add_u32_e32 v14, s55, v43
	v_cmp_lt_i32_e32 vcc, v14, v41
	s_and_saveexec_b64 s[48:49], vcc
	s_cbranch_execz .LBB50_33
; %bb.35:                               ;   in Loop: Header=BB50_34 Depth=5
	s_andn2_b64 vcc, exec, s[2:3]
	v_mov_b32_e32 v15, v47
	v_mov_b32_e32 v14, v46
	s_cbranch_vccnz .LBB50_32
; %bb.36:                               ;   in Loop: Header=BB50_34 Depth=5
	v_add_u32_e32 v15, s55, v44
	v_add_u32_e32 v14, s55, v45
	s_branch .LBB50_32
.LBB50_37:                              ;   in Loop: Header=BB50_4 Depth=1
	s_or_b64 exec, exec, s[38:39]
.LBB50_38:                              ;   in Loop: Header=BB50_4 Depth=1
	s_or_b64 exec, exec, s[36:37]
	v_add_u32_e32 v15, v26, v20
	s_mov_b32 s40, 0
	v_mov_b32_e32 v16, v23
	s_branch .LBB50_41
.LBB50_39:                              ;   in Loop: Header=BB50_41 Depth=2
	v_mul_f32_e32 v12, v30, v30
	v_fmac_f32_e32 v12, v3, v3
	v_div_scale_f32 v13, s[12:13], v12, v12, 1.0
	v_div_scale_f32 v14, vcc, 1.0, v12, 1.0
	s_waitcnt vmcnt(0)
	v_sub_f32_e32 v10, v10, v31
	v_sub_f32_e32 v11, v11, v32
	v_rcp_f32_e32 v29, v13
	v_fma_f32 v33, -v13, v29, 1.0
	v_fmac_f32_e32 v29, v33, v29
	v_mul_f32_e32 v33, v14, v29
	v_fma_f32 v34, -v13, v33, v14
	v_fmac_f32_e32 v33, v34, v29
	v_fma_f32 v13, -v13, v33, v14
	v_div_fmas_f32 v13, v13, v29, v33
	v_mul_f32_e32 v14, v30, v11
	v_mul_f32_e64 v29, v30, -v10
	v_fmac_f32_e32 v14, v10, v3
	v_fmac_f32_e32 v29, v11, v3
	v_div_fixup_f32 v3, v13, v12, 1.0
	v_mul_f32_e32 v10, v3, v14
	v_mul_f32_e32 v11, v3, v29
	v_fmac_f32_e32 v28, v10, v10
	v_fmac_f32_e32 v27, v11, v10
	;; [unrolled: 1-line block ×3, first 2 shown]
	v_fma_f32 v27, v10, -v11, v27
	global_store_dwordx2 v[8:9], v[10:11], off
.LBB50_40:                              ;   in Loop: Header=BB50_41 Depth=2
	s_or_b64 exec, exec, s[10:11]
	s_add_i32 s40, s40, 1
	s_cmp_eq_u32 s40, s50
	v_add_u32_e32 v16, 1, v16
	s_waitcnt vmcnt(0)
	buffer_wbinvl1_vol
	s_cbranch_scc1 .LBB50_3
.LBB50_41:                              ;   Parent Loop BB50_4 Depth=1
                                        ; =>  This Loop Header: Depth=2
                                        ;       Child Loop BB50_51 Depth 3
                                        ;       Child Loop BB50_59 Depth 3
                                        ;         Child Loop BB50_61 Depth 4
                                        ;       Child Loop BB50_69 Depth 3
	s_mul_i32 s41, s40, s50
	v_add_u32_e32 v29, s41, v20
	v_add_u32_e32 v8, s40, v29
	v_ashrrev_i32_e32 v9, 31, v8
	v_lshlrev_b64 v[8:9], 3, v[8:9]
	v_cmp_eq_u32_e32 vcc, s40, v25
	s_and_saveexec_b64 s[12:13], vcc
	s_cbranch_execz .LBB50_49
; %bb.42:                               ;   in Loop: Header=BB50_41 Depth=2
	v_mov_b32_e32 v3, s29
	v_add_co_u32_e32 v10, vcc, s28, v8
	v_addc_co_u32_e32 v11, vcc, v3, v9, vcc
	global_load_dwordx2 v[12:13], v[10:11], off
	s_waitcnt vmcnt(0)
	v_sub_f32_e32 v3, v12, v28
	v_sub_f32_e32 v14, v13, v27
	v_cmp_gt_f32_e32 vcc, 0, v3
	v_cndmask_b32_e64 v3, v3, -v3, vcc
	v_cmp_gt_f32_e32 vcc, 0, v14
	v_cndmask_b32_e64 v12, v14, -v14, vcc
	v_cmp_ngt_f32_e32 vcc, v3, v12
                                        ; implicit-def: $vgpr13
	s_and_saveexec_b64 s[10:11], vcc
	s_xor_b64 s[36:37], exec, s[10:11]
	s_cbranch_execz .LBB50_46
; %bb.43:                               ;   in Loop: Header=BB50_41 Depth=2
	v_mov_b32_e32 v13, 0
	v_cmp_neq_f32_e32 vcc, 0, v14
	s_and_saveexec_b64 s[38:39], vcc
	s_cbranch_execz .LBB50_45
; %bb.44:                               ;   in Loop: Header=BB50_41 Depth=2
	v_div_scale_f32 v13, s[10:11], v12, v12, v3
	v_div_scale_f32 v14, vcc, v3, v12, v3
	v_rcp_f32_e32 v30, v13
	v_fma_f32 v31, -v13, v30, 1.0
	v_fmac_f32_e32 v30, v31, v30
	v_mul_f32_e32 v31, v14, v30
	v_fma_f32 v32, -v13, v31, v14
	v_fmac_f32_e32 v31, v32, v30
	v_fma_f32 v13, -v13, v31, v14
	v_div_fmas_f32 v13, v13, v30, v31
	v_div_fixup_f32 v3, v13, v12, v3
	v_fma_f32 v3, v3, v3, 1.0
	v_mul_f32_e32 v13, 0x4f800000, v3
	v_cmp_gt_f32_e32 vcc, s52, v3
	v_cndmask_b32_e32 v3, v3, v13, vcc
	v_sqrt_f32_e32 v13, v3
	v_add_u32_e32 v14, -1, v13
	v_add_u32_e32 v30, 1, v13
	v_fma_f32 v31, -v14, v13, v3
	v_fma_f32 v32, -v30, v13, v3
	v_cmp_ge_f32_e64 s[10:11], 0, v31
	v_cndmask_b32_e64 v13, v13, v14, s[10:11]
	v_cmp_lt_f32_e64 s[10:11], 0, v32
	v_cndmask_b32_e64 v13, v13, v30, s[10:11]
	v_mul_f32_e32 v14, 0x37800000, v13
	v_cndmask_b32_e32 v13, v13, v14, vcc
	v_cmp_class_f32_e32 vcc, v3, v19
	v_cndmask_b32_e32 v3, v13, v3, vcc
	v_mul_f32_e32 v13, v12, v3
.LBB50_45:                              ;   in Loop: Header=BB50_41 Depth=2
	s_or_b64 exec, exec, s[38:39]
                                        ; implicit-def: $vgpr3
                                        ; implicit-def: $vgpr12
.LBB50_46:                              ;   in Loop: Header=BB50_41 Depth=2
	s_andn2_saveexec_b64 s[36:37], s[36:37]
	s_cbranch_execz .LBB50_48
; %bb.47:                               ;   in Loop: Header=BB50_41 Depth=2
	v_div_scale_f32 v13, s[10:11], v3, v3, v12
	v_div_scale_f32 v14, vcc, v12, v3, v12
	v_rcp_f32_e32 v30, v13
	v_fma_f32 v31, -v13, v30, 1.0
	v_fmac_f32_e32 v30, v31, v30
	v_mul_f32_e32 v31, v14, v30
	v_fma_f32 v32, -v13, v31, v14
	v_fmac_f32_e32 v31, v32, v30
	v_fma_f32 v13, -v13, v31, v14
	v_div_fmas_f32 v13, v13, v30, v31
	v_div_fixup_f32 v12, v13, v3, v12
	v_fma_f32 v12, v12, v12, 1.0
	v_mul_f32_e32 v13, 0x4f800000, v12
	v_cmp_gt_f32_e32 vcc, s52, v12
	v_cndmask_b32_e32 v12, v12, v13, vcc
	v_sqrt_f32_e32 v13, v12
	v_add_u32_e32 v14, -1, v13
	v_add_u32_e32 v30, 1, v13
	v_fma_f32 v31, -v14, v13, v12
	v_fma_f32 v32, -v30, v13, v12
	v_cmp_ge_f32_e64 s[10:11], 0, v31
	v_cndmask_b32_e64 v13, v13, v14, s[10:11]
	v_cmp_lt_f32_e64 s[10:11], 0, v32
	v_cndmask_b32_e64 v13, v13, v30, s[10:11]
	v_mul_f32_e32 v14, 0x37800000, v13
	v_cndmask_b32_e32 v13, v13, v14, vcc
	v_cmp_class_f32_e32 vcc, v12, v19
	v_cndmask_b32_e32 v12, v13, v12, vcc
	v_mul_f32_e32 v13, v3, v12
.LBB50_48:                              ;   in Loop: Header=BB50_41 Depth=2
	s_or_b64 exec, exec, s[36:37]
	v_mul_f32_e32 v3, 0x4f800000, v13
	v_cmp_gt_f32_e32 vcc, s52, v13
	v_cndmask_b32_e32 v3, v13, v3, vcc
	v_sqrt_f32_e32 v12, v3
	v_add_u32_e32 v13, -1, v12
	v_fma_f32 v30, -v13, v12, v3
	v_add_u32_e32 v14, 1, v12
	v_cmp_ge_f32_e64 s[10:11], 0, v30
	v_cndmask_b32_e64 v13, v12, v13, s[10:11]
	v_fma_f32 v12, -v14, v12, v3
	v_cmp_lt_f32_e64 s[10:11], 0, v12
	v_cndmask_b32_e64 v12, v13, v14, s[10:11]
	v_mul_f32_e32 v13, 0x37800000, v12
	v_cndmask_b32_e32 v12, v12, v13, vcc
	v_cmp_class_f32_e32 vcc, v3, v19
	v_cndmask_b32_e32 v3, v12, v3, vcc
	global_store_dwordx2 v[10:11], v[3:4], off
.LBB50_49:                              ;   in Loop: Header=BB50_41 Depth=2
	s_or_b64 exec, exec, s[12:13]
	v_mov_b32_e32 v3, s29
	v_add_co_u32_e32 v8, vcc, s28, v8
	v_addc_co_u32_e32 v9, vcc, v3, v9, vcc
	s_waitcnt vmcnt(0)
	buffer_wbinvl1_vol
	global_load_dwordx2 v[8:9], v[8:9], off
	s_waitcnt vmcnt(0)
	v_cmp_neq_f32_e32 vcc, 0, v8
	v_cmp_neq_f32_e64 s[10:11], 0, v9
	s_or_b64 vcc, vcc, s[10:11]
	v_cndmask_b32_e32 v30, 0, v9, vcc
	s_nor_b64 s[12:13], vcc, s[0:1]
	v_cndmask_b32_e32 v3, 1.0, v8, vcc
	s_and_saveexec_b64 s[10:11], s[12:13]
	s_cbranch_execz .LBB50_55
; %bb.50:                               ;   in Loop: Header=BB50_41 Depth=2
	s_mov_b64 s[12:13], exec
	s_brev_b32 s36, -2
.LBB50_51:                              ;   Parent Loop BB50_4 Depth=1
                                        ;     Parent Loop BB50_41 Depth=2
                                        ; =>    This Inner Loop Header: Depth=3
	s_ff1_i32_b64 s37, s[12:13]
	v_readlane_b32 s42, v18, s37
	s_lshl_b64 s[38:39], 1, s37
	s_min_i32 s36, s36, s42
	s_andn2_b64 s[12:13], s[12:13], s[38:39]
	s_cmp_lg_u64 s[12:13], 0
	s_cbranch_scc1 .LBB50_51
; %bb.52:                               ;   in Loop: Header=BB50_41 Depth=2
	v_mbcnt_lo_u32_b32 v3, exec_lo, 0
	v_mbcnt_hi_u32_b32 v3, exec_hi, v3
	v_cmp_eq_u32_e32 vcc, 0, v3
	s_and_saveexec_b64 s[12:13], vcc
	s_xor_b64 s[12:13], exec, s[12:13]
	s_cbranch_execz .LBB50_54
; %bb.53:                               ;   in Loop: Header=BB50_41 Depth=2
	v_mov_b32_e32 v3, s36
	global_atomic_smin v4, v3, s[22:23]
.LBB50_54:                              ;   in Loop: Header=BB50_41 Depth=2
	s_or_b64 exec, exec, s[12:13]
	v_mov_b32_e32 v30, 0
	v_mov_b32_e32 v3, 1.0
.LBB50_55:                              ;   in Loop: Header=BB50_41 Depth=2
	s_or_b64 exec, exec, s[10:11]
	v_cmp_lt_i32_e32 vcc, s40, v25
	s_and_saveexec_b64 s[10:11], vcc
	s_cbranch_execz .LBB50_40
; %bb.56:                               ;   in Loop: Header=BB50_41 Depth=2
	v_add_u32_e32 v8, s40, v15
	v_add_u32_e32 v9, v29, v25
	v_cndmask_b32_e64 v8, v9, v8, s[2:3]
	v_ashrrev_i32_e32 v9, 31, v8
	v_lshlrev_b64 v[8:9], 3, v[8:9]
	v_mov_b32_e32 v10, s29
	v_add_co_u32_e32 v8, vcc, s28, v8
	v_addc_co_u32_e32 v9, vcc, v10, v9, vcc
	global_load_dwordx2 v[10:11], v[8:9], off
	v_mov_b32_e32 v31, 0
	v_mov_b32_e32 v32, 0
	s_and_saveexec_b64 s[12:13], s[4:5]
	s_cbranch_execz .LBB50_66
; %bb.57:                               ;   in Loop: Header=BB50_41 Depth=2
	v_mov_b32_e32 v31, 0
	s_mov_b64 s[36:37], 0
	v_mov_b32_e32 v33, v16
	v_mov_b32_e32 v34, v24
	;; [unrolled: 1-line block ×4, first 2 shown]
	s_branch .LBB50_59
.LBB50_58:                              ;   in Loop: Header=BB50_59 Depth=3
	v_add_u32_e32 v35, 1, v35
	v_cmp_ge_i32_e32 vcc, v35, v17
	v_add_u32_e32 v34, s51, v34
	s_or_b64 s[36:37], vcc, s[36:37]
	v_add_u32_e32 v33, s51, v33
	s_andn2_b64 exec, exec, s[36:37]
	s_cbranch_execz .LBB50_65
.LBB50_59:                              ;   Parent Loop BB50_4 Depth=1
                                        ;     Parent Loop BB50_41 Depth=2
                                        ; =>    This Loop Header: Depth=3
                                        ;         Child Loop BB50_61 Depth 4
	v_mul_lo_u32 v12, v35, s51
	s_mov_b32 s42, 0
	s_mov_b32 s43, s50
	;; [unrolled: 1-line block ×3, first 2 shown]
	v_add_u32_e32 v36, s41, v12
	v_add_u32_e32 v37, v12, v26
	s_branch .LBB50_61
.LBB50_60:                              ;   in Loop: Header=BB50_61 Depth=4
	v_ashrrev_i32_e32 v14, 31, v13
	v_lshlrev_b64 v[13:14], 3, v[13:14]
	v_mov_b32_e32 v40, s29
	v_add_co_u32_e32 v38, vcc, s28, v13
	v_ashrrev_i32_e32 v13, 31, v12
	v_lshlrev_b64 v[12:13], 3, v[12:13]
	v_addc_co_u32_e32 v39, vcc, v40, v14, vcc
	v_add_co_u32_e32 v12, vcc, s28, v12
	v_addc_co_u32_e32 v13, vcc, v40, v13, vcc
	global_load_dwordx2 v[40:41], v[38:39], off
	global_load_dwordx2 v[42:43], v[12:13], off
	s_add_i32 s44, s44, 1
	s_add_i32 s42, s42, s50
	s_add_i32 s43, s43, -1
	s_cmp_eq_u32 s43, 0
	s_waitcnt vmcnt(0)
	v_fmac_f32_e32 v31, v40, v42
	v_fmac_f32_e32 v32, v41, v42
	;; [unrolled: 1-line block ×3, first 2 shown]
	v_fma_f32 v32, v40, -v43, v32
	s_cbranch_scc1 .LBB50_58
.LBB50_61:                              ;   Parent Loop BB50_4 Depth=1
                                        ;     Parent Loop BB50_41 Depth=2
                                        ;       Parent Loop BB50_59 Depth=3
                                        ; =>      This Inner Loop Header: Depth=4
	s_mov_b64 s[38:39], -1
	s_and_b64 vcc, exec, s[34:35]
                                        ; implicit-def: $vgpr12
                                        ; implicit-def: $vgpr13
	s_cbranch_vccz .LBB50_63
; %bb.62:                               ;   in Loop: Header=BB50_61 Depth=4
	v_add_u32_e32 v13, s42, v33
	v_add_u32_e32 v12, s42, v34
	s_mov_b64 s[38:39], 0
.LBB50_63:                              ;   in Loop: Header=BB50_61 Depth=4
	s_andn2_b64 vcc, exec, s[38:39]
	s_cbranch_vccnz .LBB50_60
; %bb.64:                               ;   in Loop: Header=BB50_61 Depth=4
	v_add_u32_e32 v13, s44, v36
	v_add_u32_e32 v12, s44, v37
	s_branch .LBB50_60
.LBB50_65:                              ;   in Loop: Header=BB50_41 Depth=2
	s_or_b64 exec, exec, s[36:37]
.LBB50_66:                              ;   in Loop: Header=BB50_41 Depth=2
	s_or_b64 exec, exec, s[12:13]
	s_cmp_eq_u32 s40, 0
	s_cbranch_scc1 .LBB50_39
; %bb.67:                               ;   in Loop: Header=BB50_41 Depth=2
	s_mov_b32 s36, 0
	v_mov_b32_e32 v33, v20
	s_branch .LBB50_69
.LBB50_68:                              ;   in Loop: Header=BB50_69 Depth=3
	v_ashrrev_i32_e32 v14, 31, v13
	v_lshlrev_b64 v[13:14], 3, v[13:14]
	v_mov_b32_e32 v36, s29
	v_add_co_u32_e32 v34, vcc, s28, v13
	v_ashrrev_i32_e32 v13, 31, v12
	v_lshlrev_b64 v[12:13], 3, v[12:13]
	v_addc_co_u32_e32 v35, vcc, v36, v14, vcc
	v_add_co_u32_e32 v12, vcc, s28, v12
	v_addc_co_u32_e32 v13, vcc, v36, v13, vcc
	global_load_dwordx2 v[36:37], v[34:35], off
	global_load_dwordx2 v[38:39], v[12:13], off
	s_add_i32 s36, s36, 1
	s_cmp_eq_u32 s40, s36
	v_add_u32_e32 v33, s50, v33
	s_waitcnt vmcnt(0)
	v_fmac_f32_e32 v31, v36, v38
	v_fmac_f32_e32 v32, v37, v38
	;; [unrolled: 1-line block ×3, first 2 shown]
	v_fma_f32 v32, v36, -v39, v32
	s_cbranch_scc1 .LBB50_39
.LBB50_69:                              ;   Parent Loop BB50_4 Depth=1
                                        ;     Parent Loop BB50_41 Depth=2
                                        ; =>    This Inner Loop Header: Depth=3
	s_mov_b64 s[12:13], -1
	s_and_b64 vcc, exec, s[34:35]
                                        ; implicit-def: $vgpr12
                                        ; implicit-def: $vgpr13
	s_cbranch_vccz .LBB50_71
; %bb.70:                               ;   in Loop: Header=BB50_69 Depth=3
	v_add_u32_e32 v13, s40, v33
	v_add_u32_e32 v12, v25, v33
	s_mov_b64 s[12:13], 0
.LBB50_71:                              ;   in Loop: Header=BB50_69 Depth=3
	s_andn2_b64 vcc, exec, s[12:13]
	s_cbranch_vccnz .LBB50_68
; %bb.72:                               ;   in Loop: Header=BB50_69 Depth=3
	v_add_u32_e32 v13, s36, v29
	v_add_u32_e32 v12, s36, v15
	s_branch .LBB50_68
.LBB50_73:
	s_or_b64 exec, exec, s[20:21]
	v_cmp_eq_u32_e32 vcc, 63, v0
	s_and_saveexec_b64 s[0:1], vcc
	s_cbranch_execz .LBB50_75
; %bb.74:
	v_mov_b32_e32 v3, s19
	v_add_co_u32_e32 v0, vcc, s18, v1
	v_addc_co_u32_e32 v1, vcc, v3, v2, vcc
	v_mov_b32_e32 v2, 1
	global_store_dword v[0:1], v2, off
.LBB50_75:
	s_or_b64 exec, exec, s[0:1]
                                        ; implicit-def: $vgpr0
                                        ; implicit-def: $vgpr1_vgpr2
                                        ; implicit-def: $vgpr3_vgpr4
.LBB50_76:
	s_andn2_saveexec_b64 s[0:1], s[14:15]
	s_cbranch_execz .LBB50_83
; %bb.77:
	v_cmp_eq_u32_e32 vcc, 63, v0
	s_and_saveexec_b64 s[0:1], vcc
	s_cbranch_execz .LBB50_83
; %bb.78:
	s_mov_b64 s[0:1], exec
	v_add_u32_e32 v0, s33, v3
	s_brev_b32 s2, -2
.LBB50_79:                              ; =>This Inner Loop Header: Depth=1
	s_ff1_i32_b64 s3, s[0:1]
	v_readlane_b32 s6, v0, s3
	s_lshl_b64 s[4:5], 1, s3
	s_min_i32 s2, s2, s6
	s_andn2_b64 s[0:1], s[0:1], s[4:5]
	s_cmp_lg_u64 s[0:1], 0
	s_cbranch_scc1 .LBB50_79
; %bb.80:
	v_mbcnt_lo_u32_b32 v0, exec_lo, 0
	v_mbcnt_hi_u32_b32 v0, exec_hi, v0
	v_cmp_eq_u32_e32 vcc, 0, v0
	s_and_saveexec_b64 s[0:1], vcc
	s_xor_b64 s[0:1], exec, s[0:1]
	s_cbranch_execz .LBB50_82
; %bb.81:
	v_mov_b32_e32 v0, 0
	v_mov_b32_e32 v3, s2
	global_atomic_smin v0, v3, s[22:23]
.LBB50_82:
	s_or_b64 exec, exec, s[0:1]
	v_mov_b32_e32 v3, s19
	v_add_co_u32_e32 v0, vcc, s18, v1
	v_addc_co_u32_e32 v1, vcc, v3, v2, vcc
	v_mov_b32_e32 v2, 1
	s_waitcnt vmcnt(0)
	global_store_dword v[0:1], v2, off
.LBB50_83:
	s_endpgm
	.section	.rodata,"a",@progbits
	.p2align	6, 0x0
	.amdhsa_kernel _ZN9rocsparseL23bsric0_binsearch_kernelILj64ELj64ELb0E21rocsparse_complex_numIfEEEv20rocsparse_direction_iiPKiS5_PT2_S5_PiS5_S8_21rocsparse_index_base_
		.amdhsa_group_segment_fixed_size 0
		.amdhsa_private_segment_fixed_size 0
		.amdhsa_kernarg_size 76
		.amdhsa_user_sgpr_count 6
		.amdhsa_user_sgpr_private_segment_buffer 1
		.amdhsa_user_sgpr_dispatch_ptr 0
		.amdhsa_user_sgpr_queue_ptr 0
		.amdhsa_user_sgpr_kernarg_segment_ptr 1
		.amdhsa_user_sgpr_dispatch_id 0
		.amdhsa_user_sgpr_flat_scratch_init 0
		.amdhsa_user_sgpr_private_segment_size 0
		.amdhsa_uses_dynamic_stack 0
		.amdhsa_system_sgpr_private_segment_wavefront_offset 0
		.amdhsa_system_sgpr_workgroup_id_x 1
		.amdhsa_system_sgpr_workgroup_id_y 0
		.amdhsa_system_sgpr_workgroup_id_z 0
		.amdhsa_system_sgpr_workgroup_info 0
		.amdhsa_system_vgpr_workitem_id 0
		.amdhsa_next_free_vgpr 50
		.amdhsa_next_free_sgpr 56
		.amdhsa_reserve_vcc 1
		.amdhsa_reserve_flat_scratch 0
		.amdhsa_float_round_mode_32 0
		.amdhsa_float_round_mode_16_64 0
		.amdhsa_float_denorm_mode_32 3
		.amdhsa_float_denorm_mode_16_64 3
		.amdhsa_dx10_clamp 1
		.amdhsa_ieee_mode 1
		.amdhsa_fp16_overflow 0
		.amdhsa_exception_fp_ieee_invalid_op 0
		.amdhsa_exception_fp_denorm_src 0
		.amdhsa_exception_fp_ieee_div_zero 0
		.amdhsa_exception_fp_ieee_overflow 0
		.amdhsa_exception_fp_ieee_underflow 0
		.amdhsa_exception_fp_ieee_inexact 0
		.amdhsa_exception_int_div_zero 0
	.end_amdhsa_kernel
	.section	.text._ZN9rocsparseL23bsric0_binsearch_kernelILj64ELj64ELb0E21rocsparse_complex_numIfEEEv20rocsparse_direction_iiPKiS5_PT2_S5_PiS5_S8_21rocsparse_index_base_,"axG",@progbits,_ZN9rocsparseL23bsric0_binsearch_kernelILj64ELj64ELb0E21rocsparse_complex_numIfEEEv20rocsparse_direction_iiPKiS5_PT2_S5_PiS5_S8_21rocsparse_index_base_,comdat
.Lfunc_end50:
	.size	_ZN9rocsparseL23bsric0_binsearch_kernelILj64ELj64ELb0E21rocsparse_complex_numIfEEEv20rocsparse_direction_iiPKiS5_PT2_S5_PiS5_S8_21rocsparse_index_base_, .Lfunc_end50-_ZN9rocsparseL23bsric0_binsearch_kernelILj64ELj64ELb0E21rocsparse_complex_numIfEEEv20rocsparse_direction_iiPKiS5_PT2_S5_PiS5_S8_21rocsparse_index_base_
                                        ; -- End function
	.set _ZN9rocsparseL23bsric0_binsearch_kernelILj64ELj64ELb0E21rocsparse_complex_numIfEEEv20rocsparse_direction_iiPKiS5_PT2_S5_PiS5_S8_21rocsparse_index_base_.num_vgpr, 50
	.set _ZN9rocsparseL23bsric0_binsearch_kernelILj64ELj64ELb0E21rocsparse_complex_numIfEEEv20rocsparse_direction_iiPKiS5_PT2_S5_PiS5_S8_21rocsparse_index_base_.num_agpr, 0
	.set _ZN9rocsparseL23bsric0_binsearch_kernelILj64ELj64ELb0E21rocsparse_complex_numIfEEEv20rocsparse_direction_iiPKiS5_PT2_S5_PiS5_S8_21rocsparse_index_base_.numbered_sgpr, 56
	.set _ZN9rocsparseL23bsric0_binsearch_kernelILj64ELj64ELb0E21rocsparse_complex_numIfEEEv20rocsparse_direction_iiPKiS5_PT2_S5_PiS5_S8_21rocsparse_index_base_.num_named_barrier, 0
	.set _ZN9rocsparseL23bsric0_binsearch_kernelILj64ELj64ELb0E21rocsparse_complex_numIfEEEv20rocsparse_direction_iiPKiS5_PT2_S5_PiS5_S8_21rocsparse_index_base_.private_seg_size, 0
	.set _ZN9rocsparseL23bsric0_binsearch_kernelILj64ELj64ELb0E21rocsparse_complex_numIfEEEv20rocsparse_direction_iiPKiS5_PT2_S5_PiS5_S8_21rocsparse_index_base_.uses_vcc, 1
	.set _ZN9rocsparseL23bsric0_binsearch_kernelILj64ELj64ELb0E21rocsparse_complex_numIfEEEv20rocsparse_direction_iiPKiS5_PT2_S5_PiS5_S8_21rocsparse_index_base_.uses_flat_scratch, 0
	.set _ZN9rocsparseL23bsric0_binsearch_kernelILj64ELj64ELb0E21rocsparse_complex_numIfEEEv20rocsparse_direction_iiPKiS5_PT2_S5_PiS5_S8_21rocsparse_index_base_.has_dyn_sized_stack, 0
	.set _ZN9rocsparseL23bsric0_binsearch_kernelILj64ELj64ELb0E21rocsparse_complex_numIfEEEv20rocsparse_direction_iiPKiS5_PT2_S5_PiS5_S8_21rocsparse_index_base_.has_recursion, 0
	.set _ZN9rocsparseL23bsric0_binsearch_kernelILj64ELj64ELb0E21rocsparse_complex_numIfEEEv20rocsparse_direction_iiPKiS5_PT2_S5_PiS5_S8_21rocsparse_index_base_.has_indirect_call, 0
	.section	.AMDGPU.csdata,"",@progbits
; Kernel info:
; codeLenInByte = 3252
; TotalNumSgprs: 60
; NumVgprs: 50
; ScratchSize: 0
; MemoryBound: 0
; FloatMode: 240
; IeeeMode: 1
; LDSByteSize: 0 bytes/workgroup (compile time only)
; SGPRBlocks: 7
; VGPRBlocks: 12
; NumSGPRsForWavesPerEU: 60
; NumVGPRsForWavesPerEU: 50
; Occupancy: 4
; WaveLimiterHint : 1
; COMPUTE_PGM_RSRC2:SCRATCH_EN: 0
; COMPUTE_PGM_RSRC2:USER_SGPR: 6
; COMPUTE_PGM_RSRC2:TRAP_HANDLER: 0
; COMPUTE_PGM_RSRC2:TGID_X_EN: 1
; COMPUTE_PGM_RSRC2:TGID_Y_EN: 0
; COMPUTE_PGM_RSRC2:TGID_Z_EN: 0
; COMPUTE_PGM_RSRC2:TIDIG_COMP_CNT: 0
	.section	.text._ZN9rocsparseL17bsric0_2_8_kernelILi64ELi64ELi8E21rocsparse_complex_numIfEEEv20rocsparse_direction_iiPKiS5_PT2_S5_PiS5_S8_21rocsparse_index_base_,"axG",@progbits,_ZN9rocsparseL17bsric0_2_8_kernelILi64ELi64ELi8E21rocsparse_complex_numIfEEEv20rocsparse_direction_iiPKiS5_PT2_S5_PiS5_S8_21rocsparse_index_base_,comdat
	.globl	_ZN9rocsparseL17bsric0_2_8_kernelILi64ELi64ELi8E21rocsparse_complex_numIfEEEv20rocsparse_direction_iiPKiS5_PT2_S5_PiS5_S8_21rocsparse_index_base_ ; -- Begin function _ZN9rocsparseL17bsric0_2_8_kernelILi64ELi64ELi8E21rocsparse_complex_numIfEEEv20rocsparse_direction_iiPKiS5_PT2_S5_PiS5_S8_21rocsparse_index_base_
	.p2align	8
	.type	_ZN9rocsparseL17bsric0_2_8_kernelILi64ELi64ELi8E21rocsparse_complex_numIfEEEv20rocsparse_direction_iiPKiS5_PT2_S5_PiS5_S8_21rocsparse_index_base_,@function
_ZN9rocsparseL17bsric0_2_8_kernelILi64ELi64ELi8E21rocsparse_complex_numIfEEEv20rocsparse_direction_iiPKiS5_PT2_S5_PiS5_S8_21rocsparse_index_base_: ; @_ZN9rocsparseL17bsric0_2_8_kernelILi64ELi64ELi8E21rocsparse_complex_numIfEEEv20rocsparse_direction_iiPKiS5_PT2_S5_PiS5_S8_21rocsparse_index_base_
; %bb.0:
	s_load_dwordx8 s[12:19], s[4:5], 0x28
	s_mov_b32 s7, 0
	s_lshl_b64 s[0:1], s[6:7], 2
	s_waitcnt lgkmcnt(0)
	s_add_u32 s0, s16, s0
	s_addc_u32 s1, s17, s1
	s_load_dword s16, s[0:1], 0x0
	s_waitcnt lgkmcnt(0)
	s_ashr_i32 s17, s16, 31
	s_lshl_b64 s[10:11], s[16:17], 2
	s_add_u32 s0, s12, s10
	s_addc_u32 s1, s13, s11
	s_load_dword s40, s[0:1], 0x0
	s_load_dword s17, s[4:5], 0x48
	s_waitcnt lgkmcnt(0)
	s_cmp_lg_u32 s40, -1
	s_cbranch_scc0 .LBB51_82
; %bb.1:
	s_load_dwordx4 s[20:23], s[4:5], 0x10
	s_load_dwordx2 s[24:25], s[4:5], 0x20
	v_lshlrev_b32_e32 v13, 3, v1
	s_waitcnt lgkmcnt(0)
	s_add_u32 s0, s20, s10
	s_addc_u32 s1, s21, s11
	s_load_dword s0, s[0:1], 0x0
	s_waitcnt lgkmcnt(0)
	s_sub_i32 s41, s0, s17
	v_add3_u32 v2, v13, v0, s41
	v_cmp_ge_i32_e32 vcc, s40, v2
	s_and_saveexec_b64 s[0:1], vcc
	s_cbranch_execz .LBB51_4
; %bb.2:
	v_lshlrev_b32_e32 v3, 5, v1
	v_lshlrev_b32_e32 v4, 2, v0
	s_movk_i32 s2, 0xb00
	v_add3_u32 v5, v3, v4, s2
	v_ashrrev_i32_e32 v3, 31, v2
	v_lshlrev_b64 v[3:4], 2, v[2:3]
	v_mov_b32_e32 v6, s23
	v_add_co_u32_e32 v3, vcc, s22, v3
	v_addc_co_u32_e32 v4, vcc, v6, v4, vcc
	s_mov_b64 s[2:3], 0
.LBB51_3:                               ; =>This Inner Loop Header: Depth=1
	global_load_dword v6, v[3:4], off
	v_add_co_u32_e32 v3, vcc, 0x100, v3
	v_add_u32_e32 v2, 64, v2
	v_addc_co_u32_e32 v4, vcc, 0, v4, vcc
	v_cmp_lt_i32_e32 vcc, s40, v2
	s_or_b64 s[2:3], vcc, s[2:3]
	s_waitcnt vmcnt(0)
	v_subrev_u32_e32 v6, s17, v6
	ds_write_b32 v5, v6
	v_add_u32_e32 v5, 0x100, v5
	s_andn2_b64 exec, exec, s[2:3]
	s_cbranch_execnz .LBB51_3
.LBB51_4:
	s_or_b64 exec, exec, s[0:1]
	s_load_dword s42, s[4:5], 0x0
	s_load_dword s33, s[4:5], 0x8
	s_movk_i32 s6, 0x48
	v_mov_b32_e32 v2, 0x6c0
	v_mad_u32_u24 v14, v1, s6, v2
	v_mov_b32_e32 v2, 0
	v_lshl_add_u32 v12, v0, 3, v14
	v_mov_b32_e32 v3, v2
	s_cmp_ge_i32 s41, s40
	ds_write_b64 v12, v[2:3]
	s_waitcnt lgkmcnt(0)
	s_cbranch_scc1 .LBB51_57
; %bb.5:
	s_cmp_lg_u32 s42, 0
	s_cselect_b64 s[26:27], -1, 0
	s_cmp_eq_u32 s42, 0
	v_cmp_gt_i32_e64 s[0:1], s33, v0
	v_cmp_gt_i32_e64 s[2:3], s33, v1
	s_cselect_b64 vcc, -1, 0
	s_and_b64 s[28:29], s[0:1], s[2:3]
	v_mov_b32_e32 v3, 0x480
	v_mov_b32_e32 v5, 0x240
	v_mad_u32_u24 v15, v1, s6, v3
	v_lshlrev_b32_e32 v4, 3, v0
	s_cmp_gt_i32 s33, 0
	v_mul_lo_u32 v18, s33, v0
	v_mul_lo_u32 v19, s33, v1
	v_mad_u32_u24 v20, v1, s6, v5
	v_add_u32_e32 v16, v15, v4
	v_mad_u32_u24 v17, v1, s6, v4
	v_add_u32_e32 v21, v20, v4
	v_or_b32_e32 v4, v0, v1
	v_mad_u32_u24 v22, v0, s6, v3
	s_cselect_b64 s[6:7], -1, 0
	v_cmp_ne_u32_e64 s[4:5], 0, v4
	v_cndmask_b32_e64 v4, 0, 1, s[6:7]
	s_mul_i32 s43, s33, s33
	v_cndmask_b32_e32 v3, v1, v0, vcc
	v_cndmask_b32_e32 v23, v0, v1, vcc
	v_mov_b32_e32 v24, 0
	v_cmp_ne_u32_e64 s[6:7], 1, v4
	s_mov_b32 s30, s41
	s_branch .LBB51_7
.LBB51_6:                               ;   in Loop: Header=BB51_7 Depth=1
	s_or_b64 exec, exec, s[8:9]
	s_add_i32 s30, s30, 1
	s_cmp_ge_i32 s30, s40
	s_cselect_b64 s[8:9], -1, 0
	s_waitcnt vmcnt(0)
	buffer_wbinvl1_vol
	s_and_b64 vcc, exec, s[8:9]
	s_cbranch_vccnz .LBB51_57
.LBB51_7:                               ; =>This Loop Header: Depth=1
                                        ;     Child Loop BB51_12 Depth 2
                                        ;     Child Loop BB51_23 Depth 2
	;; [unrolled: 1-line block ×4, first 2 shown]
                                        ;       Child Loop BB51_53 Depth 3
	s_ashr_i32 s31, s30, 31
	s_lshl_b64 s[8:9], s[30:31], 2
	s_add_u32 s8, s22, s8
	s_addc_u32 s9, s23, s9
	s_load_dword s31, s[8:9], 0x0
	s_waitcnt lgkmcnt(0)
	s_sub_i32 s34, s31, s17
	s_ashr_i32 s35, s34, 31
	s_lshl_b64 s[8:9], s[34:35], 2
	s_add_u32 s36, s12, s8
	s_addc_u32 s37, s13, s9
	s_load_dword s35, s[36:37], 0x0
	s_waitcnt lgkmcnt(0)
	s_cmp_eq_u32 s35, -1
	s_cbranch_scc1 .LBB51_56
; %bb.8:                                ;   in Loop: Header=BB51_7 Depth=1
	s_add_u32 s36, s20, s8
	v_mov_b32_e32 v4, 0
	s_mul_i32 s38, s30, s33
	s_addc_u32 s37, s21, s9
	v_add_u32_e32 v25, s38, v23
	v_mov_b32_e32 v5, v4
	s_and_saveexec_b64 s[38:39], s[28:29]
	s_cbranch_execz .LBB51_10
; %bb.9:                                ;   in Loop: Header=BB51_7 Depth=1
	v_mad_u64_u32 v[4:5], s[44:45], v25, s33, v[3:4]
	v_mov_b32_e32 v6, s25
	v_ashrrev_i32_e32 v5, 31, v4
	v_lshlrev_b64 v[4:5], 3, v[4:5]
	v_add_co_u32_e32 v4, vcc, s24, v4
	v_addc_co_u32_e32 v5, vcc, v6, v5, vcc
	global_load_dwordx2 v[4:5], v[4:5], off
.LBB51_10:                              ;   in Loop: Header=BB51_7 Depth=1
	s_or_b64 exec, exec, s[38:39]
	s_load_dword s36, s[36:37], 0x0
	ds_read_b32 v6, v24 offset:2816
	s_mov_b32 s37, 0
	s_waitcnt vmcnt(0)
	ds_write_b64 v16, v[4:5]
	s_waitcnt lgkmcnt(0)
	s_sub_i32 s36, s36, s17
	s_cmp_le_i32 s36, s35
	v_cmp_ge_i32_e32 vcc, s34, v6
	s_cselect_b64 s[38:39], -1, 0
	s_and_b64 s[38:39], s[38:39], vcc
	s_andn2_b64 vcc, exec, s[38:39]
	s_cbranch_vccnz .LBB51_22
; %bb.11:                               ;   in Loop: Header=BB51_7 Depth=1
	s_mov_b32 s44, 0
	s_mov_b32 s45, 0
.LBB51_12:                              ;   Parent Loop BB51_7 Depth=1
                                        ; =>  This Inner Loop Header: Depth=2
	s_ashr_i32 s37, s36, 31
	s_lshl_b64 s[38:39], s[36:37], 2
	s_add_u32 s38, s22, s38
	s_addc_u32 s39, s23, s39
	s_load_dword s37, s[38:39], 0x0
	s_lshl_b32 s38, s45, 2
	v_mov_b32_e32 v4, s38
	ds_read_b32 v4, v4 offset:2816
	s_mov_b64 s[38:39], -1
	s_waitcnt lgkmcnt(0)
	s_sub_i32 s49, s37, s17
                                        ; implicit-def: $sgpr37
                                        ; implicit-def: $sgpr48
                                        ; implicit-def: $sgpr47
	v_cmp_ge_i32_e32 vcc, s49, v4
	v_readfirstlane_b32 s46, v4
	s_cbranch_vccz .LBB51_18
; %bb.13:                               ;   in Loop: Header=BB51_12 Depth=2
	s_cmp_le_i32 s49, s46
                                        ; implicit-def: $sgpr37
                                        ; implicit-def: $sgpr48
                                        ; implicit-def: $sgpr47
	s_cbranch_scc0 .LBB51_15
; %bb.14:                               ;   in Loop: Header=BB51_12 Depth=2
	s_add_i32 s37, s45, s41
	s_mul_i32 s37, s37, s43
	s_lshl_b32 s38, s44, 2
	v_mov_b32_e32 v5, s37
	s_mul_i32 s37, s36, s43
	v_mov_b32_e32 v4, s38
	v_mov_b32_e32 v6, s37
	ds_write2st64_b32 v4, v6, v5 offset0:9 offset1:10
	s_add_i32 s47, s45, 1
	s_add_i32 s48, s36, 1
	;; [unrolled: 1-line block ×3, first 2 shown]
	s_mov_b64 s[38:39], 0
.LBB51_15:                              ;   in Loop: Header=BB51_12 Depth=2
	s_andn2_b64 vcc, exec, s[38:39]
	s_cbranch_vccnz .LBB51_17
; %bb.16:                               ;   in Loop: Header=BB51_12 Depth=2
	s_add_i32 s47, s45, 1
	s_mov_b32 s37, s44
	s_mov_b32 s48, s36
.LBB51_17:                              ;   in Loop: Header=BB51_12 Depth=2
	s_mov_b64 s[38:39], 0
.LBB51_18:                              ;   in Loop: Header=BB51_12 Depth=2
	s_andn2_b64 vcc, exec, s[38:39]
	s_cbranch_vccnz .LBB51_20
; %bb.19:                               ;   in Loop: Header=BB51_12 Depth=2
	s_add_i32 s48, s36, 1
	s_mov_b32 s47, s45
	s_mov_b32 s37, s44
.LBB51_20:                              ;   in Loop: Header=BB51_12 Depth=2
	s_cmp_le_i32 s48, s35
	s_cselect_b64 s[38:39], -1, 0
	s_cmp_le_i32 s46, s34
	s_cselect_b64 s[44:45], -1, 0
	s_and_b64 s[38:39], s[38:39], s[44:45]
	s_and_b64 vcc, exec, s[38:39]
	s_cbranch_vccz .LBB51_22
; %bb.21:                               ;   in Loop: Header=BB51_12 Depth=2
	s_mov_b32 s44, s37
	s_mov_b32 s36, s48
	;; [unrolled: 1-line block ×3, first 2 shown]
	s_branch .LBB51_12
.LBB51_22:                              ;   in Loop: Header=BB51_7 Depth=1
	s_add_u32 s8, s14, s8
	s_addc_u32 s9, s15, s9
	s_waitcnt lgkmcnt(0)
.LBB51_23:                              ;   Parent Loop BB51_7 Depth=1
                                        ; =>  This Inner Loop Header: Depth=2
	global_load_dword v4, v24, s[8:9] glc
	s_waitcnt vmcnt(0)
	v_cmp_eq_u32_e32 vcc, 0, v4
	s_cbranch_vccnz .LBB51_23
; %bb.24:                               ;   in Loop: Header=BB51_7 Depth=1
	v_mov_b32_e32 v8, 0
	v_mov_b32_e32 v4, 0
	;; [unrolled: 1-line block ×3, first 2 shown]
	buffer_wbinvl1_vol
	s_and_saveexec_b64 s[8:9], s[28:29]
	s_cbranch_execz .LBB51_26
; %bb.25:                               ;   in Loop: Header=BB51_7 Depth=1
	s_mul_i32 s35, s35, s33
	v_add_u32_e32 v4, s35, v23
	v_mad_u64_u32 v[4:5], s[34:35], v4, s33, v[3:4]
	v_mov_b32_e32 v6, s25
	v_ashrrev_i32_e32 v5, 31, v4
	v_lshlrev_b64 v[4:5], 3, v[4:5]
	v_add_co_u32_e32 v4, vcc, s24, v4
	v_addc_co_u32_e32 v5, vcc, v6, v5, vcc
	global_load_dwordx2 v[4:5], v[4:5], off
.LBB51_26:                              ;   in Loop: Header=BB51_7 Depth=1
	s_or_b64 exec, exec, s[8:9]
	s_cmp_lt_i32 s37, 2
	v_mov_b32_e32 v7, 0
	s_waitcnt vmcnt(0)
	ds_write_b64 v17, v[4:5]
	s_waitcnt lgkmcnt(0)
	s_cbranch_scc1 .LBB51_45
; %bb.27:                               ;   in Loop: Header=BB51_7 Depth=1
	s_add_i32 s34, s37, -2
	v_mov_b32_e32 v26, 0
	s_mov_b32 s35, 0
	v_mov_b32_e32 v29, 0
	s_and_b64 vcc, exec, s[6:7]
	s_cbranch_vccz .LBB51_30
	s_branch .LBB51_29
.LBB51_28:                              ;   in Loop: Header=BB51_7 Depth=1
	s_mov_b32 s35, s8
	v_mov_b32_e32 v26, v8
	v_mov_b32_e32 v29, v7
	s_and_b64 vcc, exec, s[6:7]
	s_cbranch_vccz .LBB51_30
.LBB51_29:                              ;   in Loop: Header=BB51_7 Depth=1
	v_mov_b32_e32 v8, v26
	v_mov_b32_e32 v7, v29
	s_branch .LBB51_44
.LBB51_30:                              ;   in Loop: Header=BB51_7 Depth=1
	s_lshl_b32 s8, s35, 2
	v_mov_b32_e32 v4, s8
	ds_read2st64_b32 v[5:6], v4 offset0:9 offset1:10
	s_mov_b32 s36, 0
	s_waitcnt lgkmcnt(0)
	v_add_u32_e32 v27, v5, v18
	v_add_u32_e32 v28, v6, v19
	;; [unrolled: 1-line block ×4, first 2 shown]
	s_mov_b64 s[8:9], -1
	s_and_b64 vcc, exec, s[26:27]
                                        ; implicit-def: $vgpr8
	s_cbranch_vccz .LBB51_37
	s_branch .LBB51_32
.LBB51_31:                              ;   in Loop: Header=BB51_37 Depth=2
	v_mov_b32_e32 v26, v8
	v_mov_b32_e32 v29, v7
	s_mov_b64 s[8:9], -1
	s_and_b64 vcc, exec, s[26:27]
                                        ; implicit-def: $vgpr8
	s_cbranch_vccz .LBB51_37
.LBB51_32:                              ;   in Loop: Header=BB51_7 Depth=1
	v_mov_b32_e32 v8, 0
	v_mov_b32_e32 v10, 0
	;; [unrolled: 1-line block ×3, first 2 shown]
	s_and_saveexec_b64 s[8:9], s[0:1]
	s_cbranch_execz .LBB51_34
; %bb.33:                               ;   in Loop: Header=BB51_7 Depth=1
	v_ashrrev_i32_e32 v7, 31, v6
	v_lshlrev_b64 v[9:10], 3, v[6:7]
	v_mov_b32_e32 v5, s25
	v_add_co_u32_e32 v9, vcc, s24, v9
	v_addc_co_u32_e32 v10, vcc, v5, v10, vcc
	global_load_dwordx2 v[10:11], v[9:10], off
.LBB51_34:                              ;   in Loop: Header=BB51_7 Depth=1
	s_or_b64 exec, exec, s[8:9]
	v_mov_b32_e32 v9, 0
	s_and_saveexec_b64 s[8:9], s[2:3]
	s_cbranch_execz .LBB51_36
; %bb.35:                               ;   in Loop: Header=BB51_7 Depth=1
	v_ashrrev_i32_e32 v5, 31, v4
	v_lshlrev_b64 v[7:8], 3, v[4:5]
	v_mov_b32_e32 v5, s25
	v_add_co_u32_e32 v7, vcc, s24, v7
	v_addc_co_u32_e32 v8, vcc, v5, v8, vcc
	global_load_dwordx2 v[8:9], v[7:8], off
.LBB51_36:                              ;   in Loop: Header=BB51_7 Depth=1
	s_or_b64 exec, exec, s[8:9]
	s_waitcnt vmcnt(0)
	v_fma_f32 v7, v10, v8, v29
	v_fma_f32 v5, v11, v8, v26
	v_fmac_f32_e32 v7, v11, v9
	v_fma_f32 v8, v10, -v9, v5
	s_mov_b64 s[8:9], 0
.LBB51_37:                              ;   Parent Loop BB51_7 Depth=1
                                        ; =>  This Inner Loop Header: Depth=2
	s_and_b64 vcc, exec, s[8:9]
	s_cbranch_vccz .LBB51_43
; %bb.38:                               ;   in Loop: Header=BB51_37 Depth=2
	v_mov_b32_e32 v7, 0
	v_mov_b32_e32 v9, 0
	;; [unrolled: 1-line block ×3, first 2 shown]
	s_and_saveexec_b64 s[8:9], s[0:1]
	s_cbranch_execz .LBB51_40
; %bb.39:                               ;   in Loop: Header=BB51_37 Depth=2
	v_add_u32_e32 v8, s36, v27
	v_ashrrev_i32_e32 v9, 31, v8
	v_lshlrev_b64 v[8:9], 3, v[8:9]
	v_mov_b32_e32 v5, s25
	v_add_co_u32_e32 v8, vcc, s24, v8
	v_addc_co_u32_e32 v9, vcc, v5, v9, vcc
	global_load_dwordx2 v[9:10], v[8:9], off
.LBB51_40:                              ;   in Loop: Header=BB51_37 Depth=2
	s_or_b64 exec, exec, s[8:9]
	v_mov_b32_e32 v8, 0
	s_and_saveexec_b64 s[8:9], s[2:3]
	s_cbranch_execz .LBB51_42
; %bb.41:                               ;   in Loop: Header=BB51_37 Depth=2
	v_add_u32_e32 v7, s36, v28
	v_ashrrev_i32_e32 v8, 31, v7
	v_lshlrev_b64 v[7:8], 3, v[7:8]
	v_mov_b32_e32 v5, s25
	v_add_co_u32_e32 v7, vcc, s24, v7
	v_addc_co_u32_e32 v8, vcc, v5, v8, vcc
	global_load_dwordx2 v[7:8], v[7:8], off
.LBB51_42:                              ;   in Loop: Header=BB51_37 Depth=2
	s_or_b64 exec, exec, s[8:9]
	s_waitcnt vmcnt(0)
	v_fmac_f32_e32 v29, v9, v7
	v_fmac_f32_e32 v29, v10, v8
	;; [unrolled: 1-line block ×3, first 2 shown]
	v_fma_f32 v8, v9, -v8, v26
	v_mov_b32_e32 v7, v29
.LBB51_43:                              ;   in Loop: Header=BB51_37 Depth=2
	s_add_i32 s36, s36, 1
	v_add_u32_e32 v4, s33, v4
	s_cmp_eq_u32 s33, s36
	v_add_u32_e32 v6, s33, v6
	s_cbranch_scc0 .LBB51_31
.LBB51_44:                              ;   in Loop: Header=BB51_7 Depth=1
	s_add_i32 s8, s35, 1
	s_cmp_eq_u32 s35, s34
	s_cbranch_scc0 .LBB51_28
.LBB51_45:                              ;   in Loop: Header=BB51_7 Depth=1
	s_and_b64 vcc, exec, s[6:7]
	ds_write_b64 v21, v[7:8]
	s_waitcnt lgkmcnt(0)
	s_cbranch_vccnz .LBB51_54
; %bb.46:                               ;   in Loop: Header=BB51_7 Depth=1
	s_mov_b32 s36, 0
	s_mov_b32 s37, 0
	s_branch .LBB51_48
.LBB51_47:                              ;   in Loop: Header=BB51_48 Depth=2
	v_mul_f32_e32 v11, v10, v10
	v_fmac_f32_e32 v11, v9, v9
	v_div_scale_f32 v26, s[8:9], v11, v11, 1.0
	v_div_scale_f32 v27, vcc, 1.0, v11, 1.0
	s_waitcnt lgkmcnt(0)
	v_sub_f32_e32 v4, v4, v6
	v_sub_f32_e32 v5, v5, v7
	v_mul_f32_e32 v7, v10, v5
	v_mul_f32_e64 v10, v10, -v4
	v_fmac_f32_e32 v7, v4, v9
	v_fmac_f32_e32 v10, v5, v9
	v_lshl_add_u32 v6, s37, 3, v22
	s_add_i32 s37, s37, 1
	s_addk_i32 s36, 0x48
	s_cmp_eq_u32 s37, s33
	v_rcp_f32_e32 v28, v26
	v_fma_f32 v29, -v26, v28, 1.0
	v_fmac_f32_e32 v28, v29, v28
	v_mul_f32_e32 v29, v27, v28
	v_fma_f32 v30, -v26, v29, v27
	v_fmac_f32_e32 v29, v30, v28
	v_fma_f32 v26, -v26, v29, v27
	v_div_fmas_f32 v26, v26, v28, v29
	v_div_fixup_f32 v5, v26, v11, 1.0
	v_mul_f32_e32 v4, v5, v7
	v_mul_f32_e32 v5, v5, v10
	ds_write_b64 v8, v[4:5]
	s_waitcnt lgkmcnt(0)
	ds_read_b64 v[6:7], v6
	ds_read_b64 v[8:9], v12
	s_waitcnt lgkmcnt(0)
	v_fma_f32 v8, v4, v6, v8
	v_fmac_f32_e32 v9, v5, v6
	v_fmac_f32_e32 v8, v5, v7
	v_fma_f32 v9, v4, -v7, v9
	ds_write_b64 v12, v[8:9]
	s_waitcnt lgkmcnt(0)
	s_cbranch_scc1 .LBB51_54
.LBB51_48:                              ;   Parent Loop BB51_7 Depth=1
                                        ; =>  This Loop Header: Depth=2
                                        ;       Child Loop BB51_53 Depth 3
	s_lshl_b32 s8, s37, 3
	s_mul_i32 s9, s37, 0x48
	s_add_i32 s9, s9, s8
	v_mov_b32_e32 v4, s9
	ds_read_b64 v[6:7], v4
	v_add_u32_e32 v8, s8, v15
	ds_read_b64 v[4:5], v8
	s_waitcnt lgkmcnt(1)
	v_cmp_neq_f32_e32 vcc, 0, v6
	v_cmp_neq_f32_e64 s[8:9], 0, v7
	s_or_b64 vcc, vcc, s[8:9]
	v_cndmask_b32_e32 v10, 0, v7, vcc
	s_nor_b64 s[34:35], vcc, s[4:5]
	v_cndmask_b32_e32 v9, 1.0, v6, vcc
	s_and_saveexec_b64 s[8:9], s[34:35]
	s_cbranch_execz .LBB51_52
; %bb.49:                               ;   in Loop: Header=BB51_48 Depth=2
	v_mbcnt_lo_u32_b32 v6, exec_lo, 0
	v_mbcnt_hi_u32_b32 v6, exec_hi, v6
	v_cmp_eq_u32_e32 vcc, 0, v6
	s_and_saveexec_b64 s[34:35], vcc
	s_cbranch_execz .LBB51_51
; %bb.50:                               ;   in Loop: Header=BB51_48 Depth=2
	v_mov_b32_e32 v6, s31
	global_atomic_smin v24, v6, s[18:19]
.LBB51_51:                              ;   in Loop: Header=BB51_48 Depth=2
	s_or_b64 exec, exec, s[34:35]
	v_mov_b32_e32 v9, 1.0
	v_mov_b32_e32 v10, 0
.LBB51_52:                              ;   in Loop: Header=BB51_48 Depth=2
	s_or_b64 exec, exec, s[8:9]
	v_lshl_add_u32 v6, s37, 3, v20
	ds_read_b64 v[6:7], v6
	s_cmp_eq_u32 s37, 0
	v_mov_b32_e32 v11, v15
	s_mov_b32 s8, s36
	s_mov_b32 s9, s37
	s_cbranch_scc1 .LBB51_47
.LBB51_53:                              ;   Parent Loop BB51_7 Depth=1
                                        ;     Parent Loop BB51_48 Depth=2
                                        ; =>    This Inner Loop Header: Depth=3
	v_mov_b32_e32 v28, s8
	ds_read_b64 v[26:27], v11
	ds_read_b64 v[28:29], v28
	s_add_i32 s9, s9, -1
	s_add_i32 s8, s8, 8
	v_add_u32_e32 v11, 8, v11
	s_cmp_eq_u32 s9, 0
	s_waitcnt lgkmcnt(0)
	v_fmac_f32_e32 v6, v28, v26
	v_fmac_f32_e32 v7, v29, v26
	v_fmac_f32_e32 v6, v29, v27
	v_fma_f32 v7, v28, -v27, v7
	s_cbranch_scc0 .LBB51_53
	s_branch .LBB51_47
.LBB51_54:                              ;   in Loop: Header=BB51_7 Depth=1
	s_and_saveexec_b64 s[8:9], s[28:29]
	s_cbranch_execz .LBB51_6
; %bb.55:                               ;   in Loop: Header=BB51_7 Depth=1
	v_mad_u64_u32 v[4:5], s[34:35], v25, s33, v[3:4]
	ds_read_b64 v[6:7], v16
	v_mov_b32_e32 v8, s25
	v_ashrrev_i32_e32 v5, 31, v4
	v_lshlrev_b64 v[4:5], 3, v[4:5]
	v_add_co_u32_e32 v4, vcc, s24, v4
	v_addc_co_u32_e32 v5, vcc, v8, v5, vcc
	s_waitcnt lgkmcnt(0)
	global_store_dwordx2 v[4:5], v[6:7], off
	s_branch .LBB51_6
.LBB51_56:                              ;   in Loop: Header=BB51_7 Depth=1
                                        ; implicit-def: $sgpr30
	s_cbranch_execz .LBB51_7
.LBB51_57:
	s_cmp_eq_u32 s42, 0
	v_max_i32_e32 v3, v0, v1
	s_cselect_b64 vcc, -1, 0
	v_cmp_gt_i32_e64 s[0:1], s33, v3
	v_cndmask_b32_e32 v3, v0, v1, vcc
	s_mul_i32 s40, s40, s33
	v_cndmask_b32_e32 v4, v1, v0, vcc
	v_add_u32_e32 v5, s40, v3
	v_mov_b32_e32 v3, 0
	s_and_saveexec_b64 s[2:3], s[0:1]
	s_cbranch_execz .LBB51_59
; %bb.58:
	v_mad_u64_u32 v[2:3], s[4:5], v5, s33, v[4:5]
	v_mov_b32_e32 v6, s25
	v_ashrrev_i32_e32 v3, 31, v2
	v_lshlrev_b64 v[2:3], 3, v[2:3]
	v_add_co_u32_e32 v2, vcc, s24, v2
	v_addc_co_u32_e32 v3, vcc, v6, v3, vcc
	global_load_dwordx2 v[2:3], v[2:3], off
.LBB51_59:
	s_or_b64 exec, exec, s[2:3]
	s_movk_i32 s4, 0x48
	v_mov_b32_e32 v10, 0x480
	v_mad_u32_u24 v7, v1, s4, v10
	s_movk_i32 s20, 0x480
	v_lshl_add_u32 v6, v0, 3, v7
	s_cmp_lt_i32 s33, 1
	s_waitcnt vmcnt(0)
	ds_write_b64 v6, v[2:3]
	s_waitcnt lgkmcnt(0)
	s_cbranch_scc1 .LBB51_76
; %bb.60:
	v_or_b32_e32 v2, v0, v1
	s_mov_b32 s21, 0
	v_cmp_ne_u32_e64 s[2:3], 0, v2
	s_add_i32 s22, s16, s17
	v_add_u32_e32 v8, v7, v13
	v_add_u32_e32 v9, v14, v13
	v_mad_u32_u24 v10, v0, s4, v10
	s_mov_b32 s23, 0xf800000
	v_mov_b32_e32 v11, 0x260
	v_mov_b32_e32 v3, 0
	s_branch .LBB51_62
.LBB51_61:                              ;   in Loop: Header=BB51_62 Depth=1
	s_or_b64 exec, exec, s[4:5]
	s_add_i32 s21, s21, 1
	s_addk_i32 s20, 0x50
	v_add_u32_e32 v7, 8, v7
	s_cmp_eq_u32 s33, s21
	v_add_u32_e32 v10, 8, v10
	s_waitcnt lgkmcnt(0)
	s_cbranch_scc1 .LBB51_76
.LBB51_62:                              ; =>This Inner Loop Header: Depth=1
	v_cmp_eq_u32_e32 vcc, s21, v1
	s_and_saveexec_b64 s[6:7], vcc
	s_cbranch_execz .LBB51_70
; %bb.63:                               ;   in Loop: Header=BB51_62 Depth=1
	ds_read_b64 v[13:14], v8
	ds_read_b64 v[15:16], v9
	s_waitcnt lgkmcnt(0)
	v_sub_f32_e32 v2, v13, v15
	v_sub_f32_e32 v15, v14, v16
	v_cmp_gt_f32_e32 vcc, 0, v2
	v_cndmask_b32_e64 v2, v2, -v2, vcc
	v_cmp_gt_f32_e32 vcc, 0, v15
	v_cndmask_b32_e64 v13, v15, -v15, vcc
	v_cmp_ngt_f32_e32 vcc, v2, v13
                                        ; implicit-def: $vgpr14
	s_and_saveexec_b64 s[4:5], vcc
	s_xor_b64 s[8:9], exec, s[4:5]
	s_cbranch_execz .LBB51_67
; %bb.64:                               ;   in Loop: Header=BB51_62 Depth=1
	v_mov_b32_e32 v14, 0
	v_cmp_neq_f32_e32 vcc, 0, v15
	s_and_saveexec_b64 s[12:13], vcc
	s_cbranch_execz .LBB51_66
; %bb.65:                               ;   in Loop: Header=BB51_62 Depth=1
	v_div_scale_f32 v14, s[4:5], v13, v13, v2
	v_div_scale_f32 v15, vcc, v2, v13, v2
	v_rcp_f32_e32 v16, v14
	v_fma_f32 v17, -v14, v16, 1.0
	v_fmac_f32_e32 v16, v17, v16
	v_mul_f32_e32 v17, v15, v16
	v_fma_f32 v18, -v14, v17, v15
	v_fmac_f32_e32 v17, v18, v16
	v_fma_f32 v14, -v14, v17, v15
	v_div_fmas_f32 v14, v14, v16, v17
	v_div_fixup_f32 v2, v14, v13, v2
	v_fma_f32 v2, v2, v2, 1.0
	v_mul_f32_e32 v14, 0x4f800000, v2
	v_cmp_gt_f32_e32 vcc, s23, v2
	v_cndmask_b32_e32 v2, v2, v14, vcc
	v_sqrt_f32_e32 v14, v2
	v_add_u32_e32 v15, -1, v14
	v_add_u32_e32 v16, 1, v14
	v_fma_f32 v17, -v15, v14, v2
	v_fma_f32 v18, -v16, v14, v2
	v_cmp_ge_f32_e64 s[4:5], 0, v17
	v_cndmask_b32_e64 v14, v14, v15, s[4:5]
	v_cmp_lt_f32_e64 s[4:5], 0, v18
	v_cndmask_b32_e64 v14, v14, v16, s[4:5]
	v_mul_f32_e32 v15, 0x37800000, v14
	v_cndmask_b32_e32 v14, v14, v15, vcc
	v_cmp_class_f32_e32 vcc, v2, v11
	v_cndmask_b32_e32 v2, v14, v2, vcc
	v_mul_f32_e32 v14, v13, v2
.LBB51_66:                              ;   in Loop: Header=BB51_62 Depth=1
	s_or_b64 exec, exec, s[12:13]
                                        ; implicit-def: $vgpr2
                                        ; implicit-def: $vgpr13
.LBB51_67:                              ;   in Loop: Header=BB51_62 Depth=1
	s_andn2_saveexec_b64 s[8:9], s[8:9]
	s_cbranch_execz .LBB51_69
; %bb.68:                               ;   in Loop: Header=BB51_62 Depth=1
	v_div_scale_f32 v14, s[4:5], v2, v2, v13
	v_div_scale_f32 v15, vcc, v13, v2, v13
	v_rcp_f32_e32 v16, v14
	v_fma_f32 v17, -v14, v16, 1.0
	v_fmac_f32_e32 v16, v17, v16
	v_mul_f32_e32 v17, v15, v16
	v_fma_f32 v18, -v14, v17, v15
	v_fmac_f32_e32 v17, v18, v16
	v_fma_f32 v14, -v14, v17, v15
	v_div_fmas_f32 v14, v14, v16, v17
	v_div_fixup_f32 v13, v14, v2, v13
	v_fma_f32 v13, v13, v13, 1.0
	v_mul_f32_e32 v14, 0x4f800000, v13
	v_cmp_gt_f32_e32 vcc, s23, v13
	v_cndmask_b32_e32 v13, v13, v14, vcc
	v_sqrt_f32_e32 v14, v13
	v_add_u32_e32 v15, -1, v14
	v_add_u32_e32 v16, 1, v14
	v_fma_f32 v17, -v15, v14, v13
	v_fma_f32 v18, -v16, v14, v13
	v_cmp_ge_f32_e64 s[4:5], 0, v17
	v_cndmask_b32_e64 v14, v14, v15, s[4:5]
	v_cmp_lt_f32_e64 s[4:5], 0, v18
	v_cndmask_b32_e64 v14, v14, v16, s[4:5]
	v_mul_f32_e32 v15, 0x37800000, v14
	v_cndmask_b32_e32 v14, v14, v15, vcc
	v_cmp_class_f32_e32 vcc, v13, v11
	v_cndmask_b32_e32 v13, v14, v13, vcc
	v_mul_f32_e32 v14, v2, v13
.LBB51_69:                              ;   in Loop: Header=BB51_62 Depth=1
	s_or_b64 exec, exec, s[8:9]
	v_mul_f32_e32 v2, 0x4f800000, v14
	v_cmp_gt_f32_e32 vcc, s23, v14
	v_cndmask_b32_e32 v2, v14, v2, vcc
	v_sqrt_f32_e32 v13, v2
	v_add_u32_e32 v14, -1, v13
	v_fma_f32 v16, -v14, v13, v2
	v_add_u32_e32 v15, 1, v13
	v_cmp_ge_f32_e64 s[4:5], 0, v16
	v_cndmask_b32_e64 v14, v13, v14, s[4:5]
	v_fma_f32 v13, -v15, v13, v2
	v_cmp_lt_f32_e64 s[4:5], 0, v13
	v_cndmask_b32_e64 v13, v14, v15, s[4:5]
	v_mul_f32_e32 v14, 0x37800000, v13
	v_cndmask_b32_e32 v13, v13, v14, vcc
	v_cmp_class_f32_e32 vcc, v2, v11
	v_cndmask_b32_e32 v2, v13, v2, vcc
	ds_write_b64 v8, v[2:3]
.LBB51_70:                              ;   in Loop: Header=BB51_62 Depth=1
	s_or_b64 exec, exec, s[6:7]
	v_mov_b32_e32 v2, s20
	s_waitcnt lgkmcnt(0)
	ds_read_b64 v[14:15], v2
	s_waitcnt lgkmcnt(0)
	v_cmp_neq_f32_e32 vcc, 0, v14
	v_cmp_neq_f32_e64 s[4:5], 0, v15
	s_or_b64 vcc, vcc, s[4:5]
	v_cndmask_b32_e32 v13, 0, v15, vcc
	s_nor_b64 s[6:7], vcc, s[2:3]
	v_cndmask_b32_e32 v2, 1.0, v14, vcc
	s_and_saveexec_b64 s[4:5], s[6:7]
	s_cbranch_execz .LBB51_74
; %bb.71:                               ;   in Loop: Header=BB51_62 Depth=1
	v_mbcnt_lo_u32_b32 v2, exec_lo, 0
	v_mbcnt_hi_u32_b32 v2, exec_hi, v2
	v_cmp_eq_u32_e32 vcc, 0, v2
	s_and_saveexec_b64 s[6:7], vcc
	s_cbranch_execz .LBB51_73
; %bb.72:                               ;   in Loop: Header=BB51_62 Depth=1
	v_mov_b32_e32 v2, s22
	global_atomic_smin v3, v2, s[18:19]
.LBB51_73:                              ;   in Loop: Header=BB51_62 Depth=1
	s_or_b64 exec, exec, s[6:7]
	v_mov_b32_e32 v2, 1.0
	v_mov_b32_e32 v13, 0
.LBB51_74:                              ;   in Loop: Header=BB51_62 Depth=1
	s_or_b64 exec, exec, s[4:5]
	v_cmp_lt_u32_e32 vcc, s21, v1
	s_and_saveexec_b64 s[4:5], vcc
	s_cbranch_execz .LBB51_61
; %bb.75:                               ;   in Loop: Header=BB51_62 Depth=1
	v_mul_f32_e32 v18, v13, v13
	v_fmac_f32_e32 v18, v2, v2
	v_div_scale_f32 v14, s[6:7], v18, v18, 1.0
	v_div_scale_f32 v15, vcc, 1.0, v18, 1.0
	v_rcp_f32_e32 v16, v14
	v_fma_f32 v17, -v14, v16, 1.0
	v_fmac_f32_e32 v16, v17, v16
	v_mul_f32_e32 v17, v15, v16
	v_fma_f32 v19, -v14, v17, v15
	v_fmac_f32_e32 v17, v19, v16
	v_fma_f32 v14, -v14, v17, v15
	v_div_fmas_f32 v19, v14, v16, v17
	ds_read2_b64 v[14:17], v7 offset1:72
	s_waitcnt lgkmcnt(0)
	v_sub_f32_e32 v14, v14, v16
	v_sub_f32_e32 v15, v15, v17
	v_mul_f32_e32 v16, v13, v15
	v_mul_f32_e64 v17, v13, -v14
	v_fmac_f32_e32 v16, v14, v2
	v_fmac_f32_e32 v17, v15, v2
	v_div_fixup_f32 v2, v19, v18, 1.0
	v_mul_f32_e32 v13, v2, v16
	v_mul_f32_e32 v14, v2, v17
	ds_write_b64 v7, v[13:14]
	s_waitcnt lgkmcnt(0)
	ds_read_b64 v[15:16], v10
	ds_read_b64 v[17:18], v12
	s_waitcnt lgkmcnt(0)
	v_fma_f32 v17, v13, v15, v17
	v_fmac_f32_e32 v18, v14, v15
	v_fmac_f32_e32 v17, v14, v16
	v_fma_f32 v18, v13, -v16, v18
	ds_write_b64 v12, v[17:18]
	s_branch .LBB51_61
.LBB51_76:
	s_and_saveexec_b64 s[2:3], s[0:1]
	s_cbranch_execz .LBB51_78
; %bb.77:
	v_mad_u64_u32 v[2:3], s[0:1], v5, s33, v[4:5]
	ds_read_b64 v[4:5], v6
	v_mov_b32_e32 v6, s25
	v_ashrrev_i32_e32 v3, 31, v2
	v_lshlrev_b64 v[2:3], 3, v[2:3]
	v_add_co_u32_e32 v2, vcc, s24, v2
	v_addc_co_u32_e32 v3, vcc, v6, v3, vcc
	s_waitcnt lgkmcnt(0)
	global_store_dwordx2 v[2:3], v[4:5], off
.LBB51_78:
	s_or_b64 exec, exec, s[2:3]
	v_or_b32_e32 v2, v0, v1
	v_cmp_eq_u32_e32 vcc, 0, v2
	s_and_saveexec_b64 s[0:1], vcc
	s_cbranch_execz .LBB51_80
; %bb.79:
	s_add_u32 s2, s14, s10
	s_addc_u32 s3, s15, s11
	v_mov_b32_e32 v2, 0
	v_mov_b32_e32 v3, 1
	s_waitcnt vmcnt(0)
	global_store_dword v2, v3, s[2:3]
.LBB51_80:
	s_or_b64 exec, exec, s[0:1]
.LBB51_81:
	s_endpgm
.LBB51_82:
	s_cbranch_execz .LBB51_81
; %bb.83:
	v_or_b32_e32 v0, v0, v1
	v_cmp_eq_u32_e32 vcc, 0, v0
	s_and_saveexec_b64 s[0:1], vcc
	s_cbranch_execz .LBB51_81
; %bb.84:
	v_mbcnt_lo_u32_b32 v0, exec_lo, 0
	v_mbcnt_hi_u32_b32 v0, exec_hi, v0
	v_cmp_eq_u32_e32 vcc, 0, v0
	s_and_saveexec_b64 s[0:1], vcc
	s_cbranch_execz .LBB51_86
; %bb.85:
	s_add_i32 s2, s16, s17
	v_mov_b32_e32 v0, 0
	v_mov_b32_e32 v1, s2
	global_atomic_smin v0, v1, s[18:19]
.LBB51_86:
	s_or_b64 exec, exec, s[0:1]
	s_add_u32 s0, s14, s10
	s_addc_u32 s1, s15, s11
	v_mov_b32_e32 v0, 0
	v_mov_b32_e32 v1, 1
	s_waitcnt vmcnt(0)
	global_store_dword v0, v1, s[0:1]
	s_endpgm
	.section	.rodata,"a",@progbits
	.p2align	6, 0x0
	.amdhsa_kernel _ZN9rocsparseL17bsric0_2_8_kernelILi64ELi64ELi8E21rocsparse_complex_numIfEEEv20rocsparse_direction_iiPKiS5_PT2_S5_PiS5_S8_21rocsparse_index_base_
		.amdhsa_group_segment_fixed_size 3072
		.amdhsa_private_segment_fixed_size 0
		.amdhsa_kernarg_size 76
		.amdhsa_user_sgpr_count 6
		.amdhsa_user_sgpr_private_segment_buffer 1
		.amdhsa_user_sgpr_dispatch_ptr 0
		.amdhsa_user_sgpr_queue_ptr 0
		.amdhsa_user_sgpr_kernarg_segment_ptr 1
		.amdhsa_user_sgpr_dispatch_id 0
		.amdhsa_user_sgpr_flat_scratch_init 0
		.amdhsa_user_sgpr_private_segment_size 0
		.amdhsa_uses_dynamic_stack 0
		.amdhsa_system_sgpr_private_segment_wavefront_offset 0
		.amdhsa_system_sgpr_workgroup_id_x 1
		.amdhsa_system_sgpr_workgroup_id_y 0
		.amdhsa_system_sgpr_workgroup_id_z 0
		.amdhsa_system_sgpr_workgroup_info 0
		.amdhsa_system_vgpr_workitem_id 1
		.amdhsa_next_free_vgpr 37
		.amdhsa_next_free_sgpr 93
		.amdhsa_reserve_vcc 1
		.amdhsa_reserve_flat_scratch 0
		.amdhsa_float_round_mode_32 0
		.amdhsa_float_round_mode_16_64 0
		.amdhsa_float_denorm_mode_32 3
		.amdhsa_float_denorm_mode_16_64 3
		.amdhsa_dx10_clamp 1
		.amdhsa_ieee_mode 1
		.amdhsa_fp16_overflow 0
		.amdhsa_exception_fp_ieee_invalid_op 0
		.amdhsa_exception_fp_denorm_src 0
		.amdhsa_exception_fp_ieee_div_zero 0
		.amdhsa_exception_fp_ieee_overflow 0
		.amdhsa_exception_fp_ieee_underflow 0
		.amdhsa_exception_fp_ieee_inexact 0
		.amdhsa_exception_int_div_zero 0
	.end_amdhsa_kernel
	.section	.text._ZN9rocsparseL17bsric0_2_8_kernelILi64ELi64ELi8E21rocsparse_complex_numIfEEEv20rocsparse_direction_iiPKiS5_PT2_S5_PiS5_S8_21rocsparse_index_base_,"axG",@progbits,_ZN9rocsparseL17bsric0_2_8_kernelILi64ELi64ELi8E21rocsparse_complex_numIfEEEv20rocsparse_direction_iiPKiS5_PT2_S5_PiS5_S8_21rocsparse_index_base_,comdat
.Lfunc_end51:
	.size	_ZN9rocsparseL17bsric0_2_8_kernelILi64ELi64ELi8E21rocsparse_complex_numIfEEEv20rocsparse_direction_iiPKiS5_PT2_S5_PiS5_S8_21rocsparse_index_base_, .Lfunc_end51-_ZN9rocsparseL17bsric0_2_8_kernelILi64ELi64ELi8E21rocsparse_complex_numIfEEEv20rocsparse_direction_iiPKiS5_PT2_S5_PiS5_S8_21rocsparse_index_base_
                                        ; -- End function
	.set _ZN9rocsparseL17bsric0_2_8_kernelILi64ELi64ELi8E21rocsparse_complex_numIfEEEv20rocsparse_direction_iiPKiS5_PT2_S5_PiS5_S8_21rocsparse_index_base_.num_vgpr, 31
	.set _ZN9rocsparseL17bsric0_2_8_kernelILi64ELi64ELi8E21rocsparse_complex_numIfEEEv20rocsparse_direction_iiPKiS5_PT2_S5_PiS5_S8_21rocsparse_index_base_.num_agpr, 0
	.set _ZN9rocsparseL17bsric0_2_8_kernelILi64ELi64ELi8E21rocsparse_complex_numIfEEEv20rocsparse_direction_iiPKiS5_PT2_S5_PiS5_S8_21rocsparse_index_base_.numbered_sgpr, 50
	.set _ZN9rocsparseL17bsric0_2_8_kernelILi64ELi64ELi8E21rocsparse_complex_numIfEEEv20rocsparse_direction_iiPKiS5_PT2_S5_PiS5_S8_21rocsparse_index_base_.num_named_barrier, 0
	.set _ZN9rocsparseL17bsric0_2_8_kernelILi64ELi64ELi8E21rocsparse_complex_numIfEEEv20rocsparse_direction_iiPKiS5_PT2_S5_PiS5_S8_21rocsparse_index_base_.private_seg_size, 0
	.set _ZN9rocsparseL17bsric0_2_8_kernelILi64ELi64ELi8E21rocsparse_complex_numIfEEEv20rocsparse_direction_iiPKiS5_PT2_S5_PiS5_S8_21rocsparse_index_base_.uses_vcc, 1
	.set _ZN9rocsparseL17bsric0_2_8_kernelILi64ELi64ELi8E21rocsparse_complex_numIfEEEv20rocsparse_direction_iiPKiS5_PT2_S5_PiS5_S8_21rocsparse_index_base_.uses_flat_scratch, 0
	.set _ZN9rocsparseL17bsric0_2_8_kernelILi64ELi64ELi8E21rocsparse_complex_numIfEEEv20rocsparse_direction_iiPKiS5_PT2_S5_PiS5_S8_21rocsparse_index_base_.has_dyn_sized_stack, 0
	.set _ZN9rocsparseL17bsric0_2_8_kernelILi64ELi64ELi8E21rocsparse_complex_numIfEEEv20rocsparse_direction_iiPKiS5_PT2_S5_PiS5_S8_21rocsparse_index_base_.has_recursion, 0
	.set _ZN9rocsparseL17bsric0_2_8_kernelILi64ELi64ELi8E21rocsparse_complex_numIfEEEv20rocsparse_direction_iiPKiS5_PT2_S5_PiS5_S8_21rocsparse_index_base_.has_indirect_call, 0
	.section	.AMDGPU.csdata,"",@progbits
; Kernel info:
; codeLenInByte = 3484
; TotalNumSgprs: 54
; NumVgprs: 31
; ScratchSize: 0
; MemoryBound: 0
; FloatMode: 240
; IeeeMode: 1
; LDSByteSize: 3072 bytes/workgroup (compile time only)
; SGPRBlocks: 12
; VGPRBlocks: 9
; NumSGPRsForWavesPerEU: 97
; NumVGPRsForWavesPerEU: 37
; Occupancy: 6
; WaveLimiterHint : 1
; COMPUTE_PGM_RSRC2:SCRATCH_EN: 0
; COMPUTE_PGM_RSRC2:USER_SGPR: 6
; COMPUTE_PGM_RSRC2:TRAP_HANDLER: 0
; COMPUTE_PGM_RSRC2:TGID_X_EN: 1
; COMPUTE_PGM_RSRC2:TGID_Y_EN: 0
; COMPUTE_PGM_RSRC2:TGID_Z_EN: 0
; COMPUTE_PGM_RSRC2:TIDIG_COMP_CNT: 1
	.section	.text._ZN9rocsparseL18bsric0_9_16_kernelILi64ELi64ELi16E21rocsparse_complex_numIfEEEv20rocsparse_direction_iiPKiS5_PT2_S5_PiS5_S8_21rocsparse_index_base_,"axG",@progbits,_ZN9rocsparseL18bsric0_9_16_kernelILi64ELi64ELi16E21rocsparse_complex_numIfEEEv20rocsparse_direction_iiPKiS5_PT2_S5_PiS5_S8_21rocsparse_index_base_,comdat
	.globl	_ZN9rocsparseL18bsric0_9_16_kernelILi64ELi64ELi16E21rocsparse_complex_numIfEEEv20rocsparse_direction_iiPKiS5_PT2_S5_PiS5_S8_21rocsparse_index_base_ ; -- Begin function _ZN9rocsparseL18bsric0_9_16_kernelILi64ELi64ELi16E21rocsparse_complex_numIfEEEv20rocsparse_direction_iiPKiS5_PT2_S5_PiS5_S8_21rocsparse_index_base_
	.p2align	8
	.type	_ZN9rocsparseL18bsric0_9_16_kernelILi64ELi64ELi16E21rocsparse_complex_numIfEEEv20rocsparse_direction_iiPKiS5_PT2_S5_PiS5_S8_21rocsparse_index_base_,@function
_ZN9rocsparseL18bsric0_9_16_kernelILi64ELi64ELi16E21rocsparse_complex_numIfEEEv20rocsparse_direction_iiPKiS5_PT2_S5_PiS5_S8_21rocsparse_index_base_: ; @_ZN9rocsparseL18bsric0_9_16_kernelILi64ELi64ELi16E21rocsparse_complex_numIfEEEv20rocsparse_direction_iiPKiS5_PT2_S5_PiS5_S8_21rocsparse_index_base_
; %bb.0:
	s_load_dwordx8 s[8:15], s[4:5], 0x28
	s_mov_b32 s7, 0
	s_lshl_b64 s[0:1], s[6:7], 2
	s_waitcnt lgkmcnt(0)
	s_add_u32 s0, s12, s0
	s_addc_u32 s1, s13, s1
	s_load_dword s20, s[0:1], 0x0
	s_waitcnt lgkmcnt(0)
	s_ashr_i32 s21, s20, 31
	s_lshl_b64 s[12:13], s[20:21], 2
	s_add_u32 s0, s8, s12
	s_addc_u32 s1, s9, s13
	s_load_dword s33, s[0:1], 0x0
	s_load_dword s21, s[4:5], 0x48
	s_waitcnt lgkmcnt(0)
	s_cmp_lg_u32 s33, -1
	s_cbranch_scc0 .LBB52_134
; %bb.1:
	s_load_dwordx4 s[16:19], s[4:5], 0x10
	s_load_dwordx2 s[22:23], s[4:5], 0x20
	v_lshlrev_b32_e32 v2, 2, v1
	s_waitcnt lgkmcnt(0)
	s_add_u32 s0, s16, s12
	s_addc_u32 s1, s17, s13
	s_load_dword s0, s[0:1], 0x0
	s_waitcnt lgkmcnt(0)
	s_sub_i32 s46, s0, s21
	v_add3_u32 v2, v2, v0, s46
	v_cmp_ge_i32_e32 vcc, s33, v2
	s_and_saveexec_b64 s[0:1], vcc
	s_cbranch_execz .LBB52_4
; %bb.2:
	v_lshlrev_b32_e32 v3, 4, v1
	v_lshlrev_b32_e32 v4, 2, v0
	s_movk_i32 s2, 0x2400
	v_add3_u32 v4, v3, v4, s2
	s_mov_b64 s[2:3], 0
	v_mov_b32_e32 v5, s19
.LBB52_3:                               ; =>This Inner Loop Header: Depth=1
	v_ashrrev_i32_e32 v3, 31, v2
	v_lshlrev_b64 v[6:7], 2, v[2:3]
	v_add_u32_e32 v2, 64, v2
	v_add_co_u32_e32 v6, vcc, s18, v6
	v_addc_co_u32_e32 v7, vcc, v5, v7, vcc
	global_load_dword v3, v[6:7], off
	v_cmp_lt_i32_e32 vcc, s33, v2
	s_or_b64 s[2:3], vcc, s[2:3]
	s_waitcnt vmcnt(0)
	v_subrev_u32_e32 v3, s21, v3
	ds_write_b32 v4, v3
	v_add_u32_e32 v4, 0x100, v4
	s_andn2_b64 exec, exec, s[2:3]
	s_cbranch_execnz .LBB52_3
.LBB52_4:
	s_or_b64 exec, exec, s[0:1]
	v_cmp_gt_u32_e32 vcc, 16, v0
	v_lshlrev_b32_e32 v11, 3, v0
	s_and_saveexec_b64 s[0:1], vcc
	s_cbranch_execz .LBB52_7
; %bb.5:
	v_mul_u32_u24_e32 v2, 0x88, v1
	s_movk_i32 s2, 0x1980
	v_add3_u32 v5, v2, v11, s2
	v_mov_b32_e32 v2, 0
	v_add_u32_e32 v4, -4, v0
	s_mov_b64 s[2:3], 0
	v_mov_b32_e32 v3, v2
.LBB52_6:                               ; =>This Inner Loop Header: Depth=1
	v_add_u32_e32 v4, 4, v4
	v_cmp_lt_u32_e32 vcc, 11, v4
	ds_write_b64 v5, v[2:3]
	s_or_b64 s[2:3], vcc, s[2:3]
	v_add_u32_e32 v5, 32, v5
	s_andn2_b64 exec, exec, s[2:3]
	s_cbranch_execnz .LBB52_6
.LBB52_7:
	s_or_b64 exec, exec, s[0:1]
	s_load_dword s44, s[4:5], 0x8
	s_load_dword s45, s[4:5], 0x0
	s_cmp_ge_i32 s46, s33
	s_waitcnt lgkmcnt(0)
	v_cmp_gt_i32_e64 s[0:1], s44, v0
	s_cbranch_scc1 .LBB52_89
; %bb.8:
	s_movk_i32 s6, 0x88
	v_mov_b32_e32 v3, 0x880
	v_mad_u32_u24 v13, v1, s6, v3
	v_or_b32_e32 v3, v0, v1
	s_mul_i32 s7, s44, s46
	v_cmp_ne_u32_e64 s[4:5], 0, v3
	v_add_u32_e32 v3, s7, v1
	v_mul_lo_u32 v14, s44, v1
	v_mul_lo_u32 v18, s44, v3
	v_mul_lo_u32 v17, v0, s44
	s_cmp_lg_u32 s45, 0
	s_cselect_b64 s[24:25], -1, 0
	v_mov_b32_e32 v2, 0x1100
	s_cmp_gt_i32 s44, 0
	v_mad_u32_u24 v15, v1, s6, v11
	v_cmp_gt_i32_e64 s[2:3], s44, v1
	v_mad_u32_u24 v12, v1, s6, v2
	s_mul_i32 s47, s44, s44
	s_cselect_b64 s[26:27], -1, 0
	v_add_u32_e32 v16, 0x880, v15
	s_lshl_b32 s48, s44, 2
	v_add_u32_e32 v19, 0x1980, v15
	v_mad_u32_u24 v20, v0, s6, v2
	v_add_u32_e32 v21, 0x1100, v15
	v_mov_b32_e32 v2, 0
	s_mov_b32 s28, s46
	s_branch .LBB52_10
.LBB52_9:                               ;   in Loop: Header=BB52_10 Depth=1
	s_or_b64 exec, exec, s[6:7]
	s_add_i32 s28, s28, 1
	s_cmp_ge_i32 s28, s33
	s_waitcnt vmcnt(0)
	buffer_wbinvl1_vol
	v_add_u32_e32 v18, s47, v18
	s_cselect_b64 s[6:7], -1, 0
	s_and_b64 vcc, exec, s[6:7]
	s_cbranch_vccnz .LBB52_89
.LBB52_10:                              ; =>This Loop Header: Depth=1
                                        ;     Child Loop BB52_14 Depth 2
                                        ;     Child Loop BB52_26 Depth 2
	;; [unrolled: 1-line block ×5, first 2 shown]
                                        ;       Child Loop BB52_56 Depth 3
                                        ;     Child Loop BB52_70 Depth 2
                                        ;       Child Loop BB52_75 Depth 3
                                        ;       Child Loop BB52_78 Depth 3
                                        ;     Child Loop BB52_84 Depth 2
	s_ashr_i32 s29, s28, 31
	s_lshl_b64 s[6:7], s[28:29], 2
	s_add_u32 s6, s18, s6
	s_addc_u32 s7, s19, s7
	s_load_dword s49, s[6:7], 0x0
	s_waitcnt lgkmcnt(0)
	s_sub_i32 s30, s49, s21
	s_ashr_i32 s31, s30, 31
	s_lshl_b64 s[6:7], s[30:31], 2
	s_add_u32 s34, s8, s6
	s_addc_u32 s35, s9, s7
	s_load_dword s31, s[34:35], 0x0
	s_waitcnt lgkmcnt(0)
	s_cmp_eq_u32 s31, -1
	s_cbranch_scc1 .LBB52_88
; %bb.11:                               ;   in Loop: Header=BB52_10 Depth=1
	s_add_u32 s34, s16, s6
	s_addc_u32 s35, s17, s7
	s_load_dword s50, s[34:35], 0x0
	s_mul_i32 s29, s28, s44
	s_and_saveexec_b64 s[34:35], s[0:1]
	s_cbranch_execz .LBB52_24
; %bb.12:                               ;   in Loop: Header=BB52_10 Depth=1
	s_mov_b64 s[36:37], 0
	v_mov_b32_e32 v6, v16
	v_mov_b32_e32 v7, v0
	s_branch .LBB52_14
.LBB52_13:                              ;   in Loop: Header=BB52_14 Depth=2
	s_or_b64 exec, exec, s[40:41]
	v_add_u32_e32 v7, 4, v7
	v_mov_b32_e32 v3, v2
	v_cmp_le_i32_e32 vcc, s44, v7
	s_waitcnt vmcnt(0)
	ds_write_b64 v6, v[4:5] offset:2176
	ds_write_b64 v6, v[2:3]
	s_or_b64 s[36:37], vcc, s[36:37]
	v_add_u32_e32 v6, 32, v6
	s_andn2_b64 exec, exec, s[36:37]
	s_cbranch_execz .LBB52_24
.LBB52_14:                              ;   Parent Loop BB52_10 Depth=1
                                        ; =>  This Inner Loop Header: Depth=2
	s_and_b64 vcc, exec, s[24:25]
	s_cbranch_vccz .LBB52_21
; %bb.15:                               ;   in Loop: Header=BB52_14 Depth=2
	s_mov_b64 s[40:41], 0
	s_mov_b64 s[38:39], 0
                                        ; implicit-def: $vgpr3
	s_and_saveexec_b64 s[42:43], s[2:3]
	s_xor_b64 s[42:43], exec, s[42:43]
; %bb.16:                               ;   in Loop: Header=BB52_14 Depth=2
	v_add_u32_e32 v3, s29, v7
	s_mov_b64 s[38:39], exec
	v_mad_u64_u32 v[3:4], s[52:53], v3, s44, v[1:2]
; %bb.17:                               ;   in Loop: Header=BB52_14 Depth=2
	s_or_b64 exec, exec, s[42:43]
	s_and_b64 vcc, exec, s[40:41]
	s_cbranch_vccz .LBB52_22
.LBB52_18:                              ;   in Loop: Header=BB52_14 Depth=2
                                        ; implicit-def: $vgpr3
	s_and_saveexec_b64 s[40:41], s[2:3]
; %bb.19:                               ;   in Loop: Header=BB52_14 Depth=2
	v_add_u32_e32 v3, v18, v7
	s_or_b64 s[38:39], s[38:39], exec
; %bb.20:                               ;   in Loop: Header=BB52_14 Depth=2
	s_or_b64 exec, exec, s[40:41]
	v_mov_b32_e32 v4, 0
	v_mov_b32_e32 v5, 0
	s_and_saveexec_b64 s[40:41], s[38:39]
	s_cbranch_execz .LBB52_13
	s_branch .LBB52_23
.LBB52_21:                              ;   in Loop: Header=BB52_14 Depth=2
	s_mov_b64 s[38:39], 0
                                        ; implicit-def: $vgpr3
	s_cbranch_execnz .LBB52_18
.LBB52_22:                              ;   in Loop: Header=BB52_14 Depth=2
	v_mov_b32_e32 v4, 0
	v_mov_b32_e32 v5, 0
	s_and_saveexec_b64 s[40:41], s[38:39]
	s_cbranch_execz .LBB52_13
.LBB52_23:                              ;   in Loop: Header=BB52_14 Depth=2
	v_ashrrev_i32_e32 v4, 31, v3
	v_lshlrev_b64 v[3:4], 3, v[3:4]
	v_mov_b32_e32 v5, s23
	v_add_co_u32_e32 v3, vcc, s22, v3
	v_addc_co_u32_e32 v4, vcc, v5, v4, vcc
	global_load_dwordx2 v[4:5], v[3:4], off
	s_branch .LBB52_13
.LBB52_24:                              ;   in Loop: Header=BB52_10 Depth=1
	s_or_b64 exec, exec, s[34:35]
	ds_read_b32 v3, v2 offset:9216
	s_waitcnt lgkmcnt(0)
	s_sub_i32 s34, s50, s21
	s_cmp_le_i32 s34, s31
	s_cselect_b64 s[36:37], -1, 0
	s_mov_b32 s40, 0
	v_cmp_ge_i32_e32 vcc, s30, v3
	s_and_b64 s[36:37], s[36:37], vcc
	s_andn2_b64 vcc, exec, s[36:37]
	s_cbranch_vccnz .LBB52_36
; %bb.25:                               ;   in Loop: Header=BB52_10 Depth=1
	s_mov_b32 s38, 0
	s_mov_b32 s39, 0
.LBB52_26:                              ;   Parent Loop BB52_10 Depth=1
                                        ; =>  This Inner Loop Header: Depth=2
	s_ashr_i32 s35, s34, 31
	s_lshl_b64 s[36:37], s[34:35], 2
	s_add_u32 s36, s18, s36
	s_addc_u32 s37, s19, s37
	s_load_dword s35, s[36:37], 0x0
	s_lshl_b32 s36, s39, 2
	v_mov_b32_e32 v3, s36
	ds_read_b32 v3, v3 offset:9216
	s_mov_b64 s[36:37], -1
	s_waitcnt lgkmcnt(0)
	s_sub_i32 s43, s35, s21
                                        ; implicit-def: $sgpr40
                                        ; implicit-def: $sgpr42
                                        ; implicit-def: $sgpr41
	v_cmp_ge_i32_e32 vcc, s43, v3
	v_readfirstlane_b32 s35, v3
	s_cbranch_vccz .LBB52_32
; %bb.27:                               ;   in Loop: Header=BB52_26 Depth=2
	s_cmp_le_i32 s43, s35
                                        ; implicit-def: $sgpr40
                                        ; implicit-def: $sgpr42
                                        ; implicit-def: $sgpr41
	s_cbranch_scc0 .LBB52_29
; %bb.28:                               ;   in Loop: Header=BB52_26 Depth=2
	s_add_i32 s36, s39, s46
	s_mul_i32 s36, s36, s47
	s_lshl_b32 s37, s38, 2
	v_mov_b32_e32 v4, s36
	s_mul_i32 s36, s34, s47
	v_mov_b32_e32 v3, s37
	v_mov_b32_e32 v5, s36
	ds_write2st64_b32 v3, v5, v4 offset0:34 offset1:35
	s_add_i32 s41, s39, 1
	s_add_i32 s42, s34, 1
	;; [unrolled: 1-line block ×3, first 2 shown]
	s_mov_b64 s[36:37], 0
.LBB52_29:                              ;   in Loop: Header=BB52_26 Depth=2
	s_andn2_b64 vcc, exec, s[36:37]
	s_cbranch_vccnz .LBB52_31
; %bb.30:                               ;   in Loop: Header=BB52_26 Depth=2
	s_add_i32 s41, s39, 1
	s_mov_b32 s40, s38
	s_mov_b32 s42, s34
.LBB52_31:                              ;   in Loop: Header=BB52_26 Depth=2
	s_mov_b64 s[36:37], 0
.LBB52_32:                              ;   in Loop: Header=BB52_26 Depth=2
	s_andn2_b64 vcc, exec, s[36:37]
	s_cbranch_vccnz .LBB52_34
; %bb.33:                               ;   in Loop: Header=BB52_26 Depth=2
	s_add_i32 s42, s34, 1
	s_mov_b32 s41, s39
	s_mov_b32 s40, s38
.LBB52_34:                              ;   in Loop: Header=BB52_26 Depth=2
	s_cmp_le_i32 s42, s31
	s_cselect_b64 s[36:37], -1, 0
	s_cmp_le_i32 s35, s30
	s_cselect_b64 s[34:35], -1, 0
	s_and_b64 s[34:35], s[36:37], s[34:35]
	s_and_b64 vcc, exec, s[34:35]
	s_cbranch_vccz .LBB52_36
; %bb.35:                               ;   in Loop: Header=BB52_26 Depth=2
	s_mov_b32 s38, s40
	s_mov_b32 s34, s42
	;; [unrolled: 1-line block ×3, first 2 shown]
	s_branch .LBB52_26
.LBB52_36:                              ;   in Loop: Header=BB52_10 Depth=1
	s_add_u32 s6, s10, s6
	s_addc_u32 s7, s11, s7
	s_waitcnt lgkmcnt(0)
.LBB52_37:                              ;   Parent Loop BB52_10 Depth=1
                                        ; =>  This Inner Loop Header: Depth=2
	global_load_dword v3, v2, s[6:7] glc
	s_waitcnt vmcnt(0)
	v_cmp_eq_u32_e32 vcc, 0, v3
	s_cbranch_vccnz .LBB52_37
; %bb.38:                               ;   in Loop: Header=BB52_10 Depth=1
	buffer_wbinvl1_vol
	s_and_saveexec_b64 s[6:7], s[0:1]
	s_cbranch_execz .LBB52_51
; %bb.39:                               ;   in Loop: Header=BB52_10 Depth=1
	s_mul_i32 s41, s31, s44
	v_add_u32_e32 v3, s41, v1
	v_mul_lo_u32 v6, v3, s44
	s_mov_b64 s[30:31], 0
	v_mov_b32_e32 v7, v15
	v_mov_b32_e32 v8, v0
	s_branch .LBB52_41
.LBB52_40:                              ;   in Loop: Header=BB52_41 Depth=2
	s_or_b64 exec, exec, s[36:37]
	v_add_u32_e32 v8, 4, v8
	v_cmp_le_i32_e32 vcc, s44, v8
	s_waitcnt vmcnt(0)
	ds_write_b64 v7, v[4:5]
	s_or_b64 s[30:31], vcc, s[30:31]
	v_add_u32_e32 v7, 32, v7
	s_andn2_b64 exec, exec, s[30:31]
	s_cbranch_execz .LBB52_51
.LBB52_41:                              ;   Parent Loop BB52_10 Depth=1
                                        ; =>  This Inner Loop Header: Depth=2
	s_and_b64 vcc, exec, s[24:25]
	s_cbranch_vccz .LBB52_48
; %bb.42:                               ;   in Loop: Header=BB52_41 Depth=2
	s_mov_b64 s[36:37], 0
	s_mov_b64 s[34:35], 0
                                        ; implicit-def: $vgpr3
	s_and_saveexec_b64 s[38:39], s[2:3]
	s_xor_b64 s[38:39], exec, s[38:39]
; %bb.43:                               ;   in Loop: Header=BB52_41 Depth=2
	v_add_u32_e32 v3, s41, v8
	s_mov_b64 s[34:35], exec
	v_mad_u64_u32 v[3:4], s[42:43], v3, s44, v[1:2]
; %bb.44:                               ;   in Loop: Header=BB52_41 Depth=2
	s_or_b64 exec, exec, s[38:39]
	s_and_b64 vcc, exec, s[36:37]
	s_cbranch_vccz .LBB52_49
.LBB52_45:                              ;   in Loop: Header=BB52_41 Depth=2
                                        ; implicit-def: $vgpr3
	s_and_saveexec_b64 s[36:37], s[2:3]
; %bb.46:                               ;   in Loop: Header=BB52_41 Depth=2
	v_add_u32_e32 v3, v6, v8
	s_or_b64 s[34:35], s[34:35], exec
; %bb.47:                               ;   in Loop: Header=BB52_41 Depth=2
	s_or_b64 exec, exec, s[36:37]
	v_mov_b32_e32 v4, 0
	v_mov_b32_e32 v5, 0
	s_and_saveexec_b64 s[36:37], s[34:35]
	s_cbranch_execz .LBB52_40
	s_branch .LBB52_50
.LBB52_48:                              ;   in Loop: Header=BB52_41 Depth=2
	s_mov_b64 s[34:35], 0
                                        ; implicit-def: $vgpr3
	s_cbranch_execnz .LBB52_45
.LBB52_49:                              ;   in Loop: Header=BB52_41 Depth=2
	v_mov_b32_e32 v4, 0
	v_mov_b32_e32 v5, 0
	s_and_saveexec_b64 s[36:37], s[34:35]
	s_cbranch_execz .LBB52_40
.LBB52_50:                              ;   in Loop: Header=BB52_41 Depth=2
	v_ashrrev_i32_e32 v4, 31, v3
	v_lshlrev_b64 v[3:4], 3, v[3:4]
	v_mov_b32_e32 v5, s23
	v_add_co_u32_e32 v3, vcc, s22, v3
	v_addc_co_u32_e32 v4, vcc, v5, v4, vcc
	global_load_dwordx2 v[4:5], v[3:4], off
	s_branch .LBB52_40
.LBB52_51:                              ;   in Loop: Header=BB52_10 Depth=1
	s_or_b64 exec, exec, s[6:7]
	s_cmp_lt_i32 s40, 2
	s_cbranch_scc1 .LBB52_67
; %bb.52:                               ;   in Loop: Header=BB52_10 Depth=1
	s_add_i32 s36, s40, -2
	s_mov_b32 s37, 0
	s_branch .LBB52_54
.LBB52_53:                              ;   in Loop: Header=BB52_54 Depth=2
	s_or_b64 exec, exec, s[6:7]
	s_add_i32 s6, s37, 1
	s_cmp_eq_u32 s37, s36
	s_mov_b32 s37, s6
	s_cbranch_scc1 .LBB52_67
.LBB52_54:                              ;   Parent Loop BB52_10 Depth=1
                                        ; =>  This Loop Header: Depth=2
                                        ;       Child Loop BB52_56 Depth 3
	s_and_saveexec_b64 s[6:7], s[0:1]
	s_cbranch_execz .LBB52_53
; %bb.55:                               ;   in Loop: Header=BB52_54 Depth=2
	s_lshl_b32 s30, s37, 2
	v_mov_b32_e32 v3, s30
	ds_read2st64_b32 v[3:4], v3 offset0:34 offset1:35
	s_mov_b64 s[30:31], 0
	v_mov_b32_e32 v26, v0
	s_waitcnt lgkmcnt(0)
	v_add_u32_e32 v22, v4, v14
	v_add_u32_e32 v23, v1, v4
	;; [unrolled: 1-line block ×4, first 2 shown]
.LBB52_56:                              ;   Parent Loop BB52_10 Depth=1
                                        ;     Parent Loop BB52_54 Depth=2
                                        ; =>    This Inner Loop Header: Depth=3
	v_mov_b32_e32 v27, 0
	s_mov_b32 s38, 0
	v_mov_b32_e32 v3, v24
	v_mov_b32_e32 v5, v23
	;; [unrolled: 1-line block ×3, first 2 shown]
	s_and_b64 vcc, exec, s[24:25]
	s_cbranch_vccnz .LBB52_59
	s_branch .LBB52_58
.LBB52_57:                              ;   in Loop: Header=BB52_56 Depth=3
	v_mov_b32_e32 v27, v6
	v_mov_b32_e32 v28, v4
	s_and_b64 vcc, exec, s[24:25]
	s_cbranch_vccnz .LBB52_59
.LBB52_58:                              ;   in Loop: Header=BB52_56 Depth=3
                                        ; implicit-def: $vgpr6
                                        ; implicit-def: $vgpr4
	s_cbranch_execz .LBB52_65
	s_branch .LBB52_62
.LBB52_59:                              ;   in Loop: Header=BB52_56 Depth=3
	v_ashrrev_i32_e32 v4, 31, v3
	v_lshlrev_b64 v[6:7], 3, v[3:4]
	v_mov_b32_e32 v4, s23
	v_add_co_u32_e32 v6, vcc, s22, v6
	v_addc_co_u32_e32 v7, vcc, v4, v7, vcc
	global_load_dwordx2 v[7:8], v[6:7], off
	v_mov_b32_e32 v9, 0
	v_mov_b32_e32 v10, 0
	s_and_saveexec_b64 s[34:35], s[2:3]
	s_cbranch_execz .LBB52_61
; %bb.60:                               ;   in Loop: Header=BB52_56 Depth=3
	v_ashrrev_i32_e32 v6, 31, v5
	v_lshlrev_b64 v[9:10], 3, v[5:6]
	v_mov_b32_e32 v4, s23
	v_add_co_u32_e32 v9, vcc, s22, v9
	v_addc_co_u32_e32 v10, vcc, v4, v10, vcc
	global_load_dwordx2 v[9:10], v[9:10], off
.LBB52_61:                              ;   in Loop: Header=BB52_56 Depth=3
	s_or_b64 exec, exec, s[34:35]
	s_waitcnt vmcnt(0)
	v_fma_f32 v4, v7, v9, v28
	v_fma_f32 v6, v8, v9, v27
	v_fmac_f32_e32 v4, v8, v10
	v_fma_f32 v6, v7, -v10, v6
	s_branch .LBB52_65
.LBB52_62:                              ;   in Loop: Header=BB52_56 Depth=3
	v_add_u32_e32 v6, s38, v25
	v_ashrrev_i32_e32 v7, 31, v6
	v_lshlrev_b64 v[6:7], 3, v[6:7]
	v_mov_b32_e32 v4, s23
	v_add_co_u32_e32 v6, vcc, s22, v6
	v_addc_co_u32_e32 v7, vcc, v4, v7, vcc
	global_load_dwordx2 v[6:7], v[6:7], off
	v_mov_b32_e32 v8, 0
	v_mov_b32_e32 v9, 0
	s_and_saveexec_b64 s[34:35], s[2:3]
	s_cbranch_execz .LBB52_64
; %bb.63:                               ;   in Loop: Header=BB52_56 Depth=3
	v_add_u32_e32 v8, s38, v22
	v_ashrrev_i32_e32 v9, 31, v8
	v_lshlrev_b64 v[8:9], 3, v[8:9]
	v_mov_b32_e32 v4, s23
	v_add_co_u32_e32 v8, vcc, s22, v8
	v_addc_co_u32_e32 v9, vcc, v4, v9, vcc
	global_load_dwordx2 v[8:9], v[8:9], off
.LBB52_64:                              ;   in Loop: Header=BB52_56 Depth=3
	s_or_b64 exec, exec, s[34:35]
	s_waitcnt vmcnt(0)
	v_fmac_f32_e32 v28, v6, v8
	v_fmac_f32_e32 v28, v7, v9
	;; [unrolled: 1-line block ×3, first 2 shown]
	v_fma_f32 v6, v6, -v9, v27
	v_mov_b32_e32 v4, v28
.LBB52_65:                              ;   in Loop: Header=BB52_56 Depth=3
	s_add_i32 s38, s38, 1
	v_add_u32_e32 v5, s44, v5
	s_cmp_eq_u32 s44, s38
	v_add_u32_e32 v3, s44, v3
	s_cbranch_scc0 .LBB52_57
; %bb.66:                               ;   in Loop: Header=BB52_56 Depth=3
	v_lshl_add_u32 v5, v26, 3, v13
	ds_read_b64 v[7:8], v5
	v_add_u32_e32 v26, 4, v26
	v_cmp_le_i32_e32 vcc, s44, v26
	v_add_u32_e32 v24, 4, v24
	s_or_b64 s[30:31], vcc, s[30:31]
	s_waitcnt lgkmcnt(0)
	v_add_f32_e32 v3, v4, v7
	v_add_f32_e32 v4, v6, v8
	v_add_u32_e32 v25, s48, v25
	ds_write_b64 v5, v[3:4]
	s_andn2_b64 exec, exec, s[30:31]
	s_cbranch_execnz .LBB52_56
	s_branch .LBB52_53
.LBB52_67:                              ;   in Loop: Header=BB52_10 Depth=1
	s_andn2_b64 vcc, exec, s[26:27]
	s_waitcnt lgkmcnt(0)
	s_cbranch_vccnz .LBB52_79
; %bb.68:                               ;   in Loop: Header=BB52_10 Depth=1
	s_mov_b32 s34, 0
	v_mov_b32_e32 v7, v20
	s_mov_b32 s35, 0
	s_branch .LBB52_70
.LBB52_69:                              ;   in Loop: Header=BB52_70 Depth=2
	s_or_b64 exec, exec, s[6:7]
	s_add_i32 s35, s35, 1
	s_addk_i32 s34, 0x88
	s_cmp_eq_u32 s35, s44
	v_add_u32_e32 v7, 8, v7
	s_waitcnt lgkmcnt(0)
	s_cbranch_scc1 .LBB52_79
.LBB52_70:                              ;   Parent Loop BB52_10 Depth=1
                                        ; =>  This Loop Header: Depth=2
                                        ;       Child Loop BB52_75 Depth 3
                                        ;       Child Loop BB52_78 Depth 3
	s_lshl_b32 s6, s35, 3
	s_mul_i32 s7, s35, 0x88
	s_add_i32 s7, s7, s6
	v_mov_b32_e32 v3, s7
	ds_read_b64 v[5:6], v3
	v_add_u32_e32 v8, s6, v12
	ds_read_b64 v[3:4], v8
	s_waitcnt lgkmcnt(1)
	v_cmp_neq_f32_e32 vcc, 0, v5
	v_cmp_neq_f32_e64 s[6:7], 0, v6
	s_or_b64 vcc, vcc, s[6:7]
	v_cndmask_b32_e32 v9, 1.0, v5, vcc
	s_nor_b64 s[30:31], vcc, s[4:5]
	v_cndmask_b32_e32 v10, 0, v6, vcc
	s_and_saveexec_b64 s[6:7], s[30:31]
	s_cbranch_execz .LBB52_74
; %bb.71:                               ;   in Loop: Header=BB52_70 Depth=2
	v_mbcnt_lo_u32_b32 v5, exec_lo, 0
	v_mbcnt_hi_u32_b32 v5, exec_hi, v5
	v_cmp_eq_u32_e32 vcc, 0, v5
	s_and_saveexec_b64 s[30:31], vcc
	s_cbranch_execz .LBB52_73
; %bb.72:                               ;   in Loop: Header=BB52_70 Depth=2
	v_mov_b32_e32 v5, s49
	global_atomic_smin v2, v5, s[14:15]
.LBB52_73:                              ;   in Loop: Header=BB52_70 Depth=2
	s_or_b64 exec, exec, s[30:31]
	v_mov_b32_e32 v10, 0
	v_mov_b32_e32 v9, 1.0
.LBB52_74:                              ;   in Loop: Header=BB52_70 Depth=2
	s_or_b64 exec, exec, s[6:7]
	v_lshl_add_u32 v5, s35, 3, v13
	ds_read_b64 v[5:6], v5
	s_cmp_eq_u32 s35, 0
	v_mov_b32_e32 v22, v12
	s_mov_b32 s6, s34
	s_mov_b32 s7, s35
	s_cbranch_scc1 .LBB52_76
.LBB52_75:                              ;   Parent Loop BB52_10 Depth=1
                                        ;     Parent Loop BB52_70 Depth=2
                                        ; =>    This Inner Loop Header: Depth=3
	v_mov_b32_e32 v25, s6
	ds_read_b64 v[23:24], v22
	ds_read_b64 v[25:26], v25
	s_add_i32 s7, s7, -1
	s_add_i32 s6, s6, 8
	v_add_u32_e32 v22, 8, v22
	s_cmp_eq_u32 s7, 0
	s_waitcnt lgkmcnt(0)
	v_fmac_f32_e32 v5, v25, v23
	v_fmac_f32_e32 v6, v26, v23
	;; [unrolled: 1-line block ×3, first 2 shown]
	v_fma_f32 v6, v25, -v24, v6
	s_cbranch_scc0 .LBB52_75
.LBB52_76:                              ;   in Loop: Header=BB52_70 Depth=2
	v_mul_f32_e32 v22, v10, v10
	v_fmac_f32_e32 v22, v9, v9
	v_div_scale_f32 v23, s[6:7], v22, v22, 1.0
	v_div_scale_f32 v24, vcc, 1.0, v22, 1.0
	s_waitcnt lgkmcnt(0)
	v_sub_f32_e32 v3, v3, v5
	v_sub_f32_e32 v4, v4, v6
	v_mul_f32_e32 v5, v10, v4
	v_mul_f32_e64 v6, v10, -v3
	v_fmac_f32_e32 v5, v3, v9
	v_fmac_f32_e32 v6, v4, v9
	v_rcp_f32_e32 v25, v23
	v_fma_f32 v26, -v23, v25, 1.0
	v_fmac_f32_e32 v25, v26, v25
	v_mul_f32_e32 v26, v24, v25
	v_fma_f32 v27, -v23, v26, v24
	v_fmac_f32_e32 v26, v27, v25
	v_fma_f32 v23, -v23, v26, v24
	v_div_fmas_f32 v23, v23, v25, v26
	v_div_fixup_f32 v4, v23, v22, 1.0
	v_mul_f32_e32 v3, v4, v5
	v_mul_f32_e32 v4, v4, v6
	ds_write_b64 v8, v[3:4]
	s_waitcnt lgkmcnt(0)
	s_and_saveexec_b64 s[6:7], s[0:1]
	s_cbranch_execz .LBB52_69
; %bb.77:                               ;   in Loop: Header=BB52_70 Depth=2
	s_mov_b64 s[30:31], 0
	v_mov_b32_e32 v5, v7
	v_mov_b32_e32 v6, v19
	;; [unrolled: 1-line block ×3, first 2 shown]
.LBB52_78:                              ;   Parent Loop BB52_10 Depth=1
                                        ;     Parent Loop BB52_70 Depth=2
                                        ; =>    This Inner Loop Header: Depth=3
	ds_read_b64 v[9:10], v5
	ds_read_b64 v[22:23], v6
	v_add_u32_e32 v8, 4, v8
	v_cmp_le_i32_e32 vcc, s44, v8
	s_or_b64 s[30:31], vcc, s[30:31]
	v_add_u32_e32 v5, 0x220, v5
	s_waitcnt lgkmcnt(0)
	v_fma_f32 v22, v3, v9, v22
	v_fmac_f32_e32 v23, v4, v9
	v_fmac_f32_e32 v22, v4, v10
	v_fma_f32 v23, v3, -v10, v23
	ds_write_b64 v6, v[22:23]
	v_add_u32_e32 v6, 32, v6
	s_andn2_b64 exec, exec, s[30:31]
	s_cbranch_execnz .LBB52_78
	s_branch .LBB52_69
.LBB52_79:                              ;   in Loop: Header=BB52_10 Depth=1
	s_and_saveexec_b64 s[6:7], s[0:1]
	s_cbranch_execz .LBB52_9
; %bb.80:                               ;   in Loop: Header=BB52_10 Depth=1
	s_mov_b64 s[30:31], 0
	v_mov_b32_e32 v5, v21
	v_mov_b32_e32 v6, v0
	s_branch .LBB52_84
.LBB52_81:                              ;   in Loop: Header=BB52_84 Depth=2
	v_add_u32_e32 v3, v18, v6
.LBB52_82:                              ;   in Loop: Header=BB52_84 Depth=2
	v_ashrrev_i32_e32 v4, 31, v3
	ds_read_b64 v[7:8], v5
	v_lshlrev_b64 v[3:4], 3, v[3:4]
	v_mov_b32_e32 v9, s23
	v_add_co_u32_e32 v3, vcc, s22, v3
	v_addc_co_u32_e32 v4, vcc, v9, v4, vcc
	s_waitcnt lgkmcnt(0)
	global_store_dwordx2 v[3:4], v[7:8], off
.LBB52_83:                              ;   in Loop: Header=BB52_84 Depth=2
	s_or_b64 exec, exec, s[34:35]
	v_add_u32_e32 v6, 4, v6
	v_cmp_le_i32_e32 vcc, s44, v6
	s_or_b64 s[30:31], vcc, s[30:31]
	v_add_u32_e32 v5, 32, v5
	s_andn2_b64 exec, exec, s[30:31]
	s_cbranch_execz .LBB52_9
.LBB52_84:                              ;   Parent Loop BB52_10 Depth=1
                                        ; =>  This Inner Loop Header: Depth=2
	s_and_saveexec_b64 s[34:35], s[2:3]
	s_cbranch_execz .LBB52_83
; %bb.85:                               ;   in Loop: Header=BB52_84 Depth=2
	s_and_b64 vcc, exec, s[24:25]
	s_cbranch_vccz .LBB52_87
; %bb.86:                               ;   in Loop: Header=BB52_84 Depth=2
	v_add_u32_e32 v3, s29, v6
	v_mad_u64_u32 v[3:4], s[36:37], v3, s44, v[1:2]
	s_cbranch_execnz .LBB52_82
	s_branch .LBB52_81
.LBB52_87:                              ;   in Loop: Header=BB52_84 Depth=2
                                        ; implicit-def: $vgpr3
	s_branch .LBB52_81
.LBB52_88:                              ;   in Loop: Header=BB52_10 Depth=1
                                        ; implicit-def: $sgpr28
                                        ; implicit-def: $vgpr18
	s_cbranch_execz .LBB52_10
.LBB52_89:
	v_cmp_gt_i32_e64 s[0:1], s44, v0
	s_and_saveexec_b64 s[4:5], s[0:1]
	s_cbranch_execz .LBB52_102
; %bb.90:
	s_mul_i32 s26, s33, s44
	v_add_u32_e32 v2, s26, v1
	v_mul_lo_u32 v5, v2, s44
	s_cmp_lg_u32 s45, 0
	v_mul_u32_u24_e32 v2, 0x88, v1
	s_movk_i32 s8, 0x1100
	s_cselect_b64 s[6:7], -1, 0
	v_cmp_gt_i32_e64 s[2:3], s44, v1
	v_add3_u32 v6, v2, v11, s8
	s_mov_b64 s[8:9], 0
	v_mov_b32_e32 v7, v0
	s_branch .LBB52_92
.LBB52_91:                              ;   in Loop: Header=BB52_92 Depth=1
	s_or_b64 exec, exec, s[18:19]
	v_add_u32_e32 v7, 4, v7
	v_cmp_le_i32_e32 vcc, s44, v7
	s_waitcnt vmcnt(0)
	ds_write_b64 v6, v[3:4]
	s_or_b64 s[8:9], vcc, s[8:9]
	v_add_u32_e32 v6, 32, v6
	s_andn2_b64 exec, exec, s[8:9]
	s_cbranch_execz .LBB52_102
.LBB52_92:                              ; =>This Inner Loop Header: Depth=1
	s_and_b64 vcc, exec, s[6:7]
	s_cbranch_vccz .LBB52_99
; %bb.93:                               ;   in Loop: Header=BB52_92 Depth=1
	s_mov_b64 s[18:19], 0
	s_mov_b64 s[16:17], 0
                                        ; implicit-def: $vgpr2
	s_and_saveexec_b64 s[24:25], s[2:3]
	s_xor_b64 s[24:25], exec, s[24:25]
; %bb.94:                               ;   in Loop: Header=BB52_92 Depth=1
	v_add_u32_e32 v2, s26, v7
	s_mov_b64 s[16:17], exec
	v_mad_u64_u32 v[2:3], s[28:29], v2, s44, v[1:2]
; %bb.95:                               ;   in Loop: Header=BB52_92 Depth=1
	s_or_b64 exec, exec, s[24:25]
	s_and_b64 vcc, exec, s[18:19]
	s_cbranch_vccz .LBB52_100
.LBB52_96:                              ;   in Loop: Header=BB52_92 Depth=1
                                        ; implicit-def: $vgpr2
	s_and_saveexec_b64 s[18:19], s[2:3]
; %bb.97:                               ;   in Loop: Header=BB52_92 Depth=1
	v_add_u32_e32 v2, v5, v7
	s_or_b64 s[16:17], s[16:17], exec
; %bb.98:                               ;   in Loop: Header=BB52_92 Depth=1
	s_or_b64 exec, exec, s[18:19]
	v_mov_b32_e32 v3, 0
	v_mov_b32_e32 v4, 0
	s_and_saveexec_b64 s[18:19], s[16:17]
	s_cbranch_execz .LBB52_91
	s_branch .LBB52_101
.LBB52_99:                              ;   in Loop: Header=BB52_92 Depth=1
	s_mov_b64 s[16:17], 0
                                        ; implicit-def: $vgpr2
	s_cbranch_execnz .LBB52_96
.LBB52_100:                             ;   in Loop: Header=BB52_92 Depth=1
	v_mov_b32_e32 v3, 0
	v_mov_b32_e32 v4, 0
	s_and_saveexec_b64 s[18:19], s[16:17]
	s_cbranch_execz .LBB52_91
.LBB52_101:                             ;   in Loop: Header=BB52_92 Depth=1
	v_ashrrev_i32_e32 v3, 31, v2
	v_lshlrev_b64 v[2:3], 3, v[2:3]
	v_mov_b32_e32 v4, s23
	v_add_co_u32_e32 v2, vcc, s22, v2
	v_addc_co_u32_e32 v3, vcc, v4, v3, vcc
	global_load_dwordx2 v[3:4], v[2:3], off
	s_branch .LBB52_91
.LBB52_102:
	s_or_b64 exec, exec, s[4:5]
	s_cmp_lt_i32 s44, 1
	s_waitcnt lgkmcnt(0)
	s_cbranch_scc1 .LBB52_121
; %bb.103:
	v_or_b32_e32 v4, v0, v1
	s_movk_i32 s4, 0x88
	v_mov_b32_e32 v2, 0x1100
	v_cmp_ne_u32_e64 s[2:3], 0, v4
	v_mov_b32_e32 v4, 0x1980
	v_mad_u32_u24 v6, v1, s4, v2
	v_mul_u32_u24_e32 v3, 0x88, v1
	s_movk_i32 s5, 0x1980
	v_mad_u32_u24 v7, v1, s4, v4
	v_lshlrev_b32_e32 v4, 3, v1
	s_mov_b32 s18, 0
	s_add_i32 s19, s20, s21
	v_add_u32_e32 v8, v6, v4
	v_add_u32_e32 v9, v7, v4
	v_add3_u32 v10, v3, v11, s5
	v_mad_u32_u24 v12, v0, s4, v2
	s_mov_b32 s24, 0xf800000
	v_mov_b32_e32 v13, 0x260
	v_mov_b32_e32 v3, 0
	s_branch .LBB52_105
.LBB52_104:                             ;   in Loop: Header=BB52_105 Depth=1
	s_or_b64 exec, exec, s[4:5]
	s_add_i32 s18, s18, 1
	s_cmp_eq_u32 s18, s44
	v_add_u32_e32 v12, 8, v12
	s_waitcnt lgkmcnt(0)
	s_cbranch_scc1 .LBB52_121
.LBB52_105:                             ; =>This Loop Header: Depth=1
                                        ;     Child Loop BB52_120 Depth 2
	v_cmp_eq_u32_e32 vcc, s18, v1
	s_and_saveexec_b64 s[6:7], vcc
	s_cbranch_execz .LBB52_113
; %bb.106:                              ;   in Loop: Header=BB52_105 Depth=1
	ds_read_b64 v[4:5], v8
	ds_read_b64 v[14:15], v9
	s_waitcnt lgkmcnt(0)
	v_sub_f32_e32 v2, v4, v14
	v_sub_f32_e32 v14, v5, v15
	v_cmp_gt_f32_e32 vcc, 0, v2
	v_cndmask_b32_e64 v2, v2, -v2, vcc
	v_cmp_gt_f32_e32 vcc, 0, v14
	v_cndmask_b32_e64 v4, v14, -v14, vcc
	v_cmp_ngt_f32_e32 vcc, v2, v4
                                        ; implicit-def: $vgpr5
	s_and_saveexec_b64 s[4:5], vcc
	s_xor_b64 s[8:9], exec, s[4:5]
	s_cbranch_execz .LBB52_110
; %bb.107:                              ;   in Loop: Header=BB52_105 Depth=1
	v_mov_b32_e32 v5, 0
	v_cmp_neq_f32_e32 vcc, 0, v14
	s_and_saveexec_b64 s[16:17], vcc
	s_cbranch_execz .LBB52_109
; %bb.108:                              ;   in Loop: Header=BB52_105 Depth=1
	v_div_scale_f32 v5, s[4:5], v4, v4, v2
	v_div_scale_f32 v14, vcc, v2, v4, v2
	v_rcp_f32_e32 v15, v5
	v_fma_f32 v16, -v5, v15, 1.0
	v_fmac_f32_e32 v15, v16, v15
	v_mul_f32_e32 v16, v14, v15
	v_fma_f32 v17, -v5, v16, v14
	v_fmac_f32_e32 v16, v17, v15
	v_fma_f32 v5, -v5, v16, v14
	v_div_fmas_f32 v5, v5, v15, v16
	v_div_fixup_f32 v2, v5, v4, v2
	v_fma_f32 v2, v2, v2, 1.0
	v_mul_f32_e32 v5, 0x4f800000, v2
	v_cmp_gt_f32_e32 vcc, s24, v2
	v_cndmask_b32_e32 v2, v2, v5, vcc
	v_sqrt_f32_e32 v5, v2
	v_add_u32_e32 v14, -1, v5
	v_add_u32_e32 v15, 1, v5
	v_fma_f32 v16, -v14, v5, v2
	v_fma_f32 v17, -v15, v5, v2
	v_cmp_ge_f32_e64 s[4:5], 0, v16
	v_cndmask_b32_e64 v5, v5, v14, s[4:5]
	v_cmp_lt_f32_e64 s[4:5], 0, v17
	v_cndmask_b32_e64 v5, v5, v15, s[4:5]
	v_mul_f32_e32 v14, 0x37800000, v5
	v_cndmask_b32_e32 v5, v5, v14, vcc
	v_cmp_class_f32_e32 vcc, v2, v13
	v_cndmask_b32_e32 v2, v5, v2, vcc
	v_mul_f32_e32 v5, v4, v2
.LBB52_109:                             ;   in Loop: Header=BB52_105 Depth=1
	s_or_b64 exec, exec, s[16:17]
                                        ; implicit-def: $vgpr2
                                        ; implicit-def: $vgpr4
.LBB52_110:                             ;   in Loop: Header=BB52_105 Depth=1
	s_andn2_saveexec_b64 s[8:9], s[8:9]
	s_cbranch_execz .LBB52_112
; %bb.111:                              ;   in Loop: Header=BB52_105 Depth=1
	v_div_scale_f32 v5, s[4:5], v2, v2, v4
	v_div_scale_f32 v14, vcc, v4, v2, v4
	v_rcp_f32_e32 v15, v5
	v_fma_f32 v16, -v5, v15, 1.0
	v_fmac_f32_e32 v15, v16, v15
	v_mul_f32_e32 v16, v14, v15
	v_fma_f32 v17, -v5, v16, v14
	v_fmac_f32_e32 v16, v17, v15
	v_fma_f32 v5, -v5, v16, v14
	v_div_fmas_f32 v5, v5, v15, v16
	v_div_fixup_f32 v4, v5, v2, v4
	v_fma_f32 v4, v4, v4, 1.0
	v_mul_f32_e32 v5, 0x4f800000, v4
	v_cmp_gt_f32_e32 vcc, s24, v4
	v_cndmask_b32_e32 v4, v4, v5, vcc
	v_sqrt_f32_e32 v5, v4
	v_add_u32_e32 v14, -1, v5
	v_add_u32_e32 v15, 1, v5
	v_fma_f32 v16, -v14, v5, v4
	v_fma_f32 v17, -v15, v5, v4
	v_cmp_ge_f32_e64 s[4:5], 0, v16
	v_cndmask_b32_e64 v5, v5, v14, s[4:5]
	v_cmp_lt_f32_e64 s[4:5], 0, v17
	v_cndmask_b32_e64 v5, v5, v15, s[4:5]
	v_mul_f32_e32 v14, 0x37800000, v5
	v_cndmask_b32_e32 v5, v5, v14, vcc
	v_cmp_class_f32_e32 vcc, v4, v13
	v_cndmask_b32_e32 v4, v5, v4, vcc
	v_mul_f32_e32 v5, v2, v4
.LBB52_112:                             ;   in Loop: Header=BB52_105 Depth=1
	s_or_b64 exec, exec, s[8:9]
	v_mul_f32_e32 v2, 0x4f800000, v5
	v_cmp_gt_f32_e32 vcc, s24, v5
	v_cndmask_b32_e32 v2, v5, v2, vcc
	v_sqrt_f32_e32 v4, v2
	v_add_u32_e32 v5, -1, v4
	v_fma_f32 v15, -v5, v4, v2
	v_add_u32_e32 v14, 1, v4
	v_cmp_ge_f32_e64 s[4:5], 0, v15
	v_cndmask_b32_e64 v5, v4, v5, s[4:5]
	v_fma_f32 v4, -v14, v4, v2
	v_cmp_lt_f32_e64 s[4:5], 0, v4
	v_cndmask_b32_e64 v4, v5, v14, s[4:5]
	v_mul_f32_e32 v5, 0x37800000, v4
	v_cndmask_b32_e32 v4, v4, v5, vcc
	v_cmp_class_f32_e32 vcc, v2, v13
	v_cndmask_b32_e32 v2, v4, v2, vcc
	ds_write_b64 v8, v[2:3]
.LBB52_113:                             ;   in Loop: Header=BB52_105 Depth=1
	s_or_b64 exec, exec, s[6:7]
	s_lshl_b32 s4, s18, 3
	s_mul_i32 s5, s18, 0x88
	s_add_i32 s5, s5, s4
	v_mov_b32_e32 v2, s5
	s_waitcnt lgkmcnt(0)
	ds_read_b64 v[14:15], v2 offset:4352
	v_add_u32_e32 v2, s4, v6
	ds_read_b64 v[4:5], v2
	s_waitcnt lgkmcnt(1)
	v_cmp_neq_f32_e32 vcc, 0, v14
	v_cmp_neq_f32_e64 s[4:5], 0, v15
	s_or_b64 vcc, vcc, s[4:5]
	v_cndmask_b32_e32 v15, 0, v15, vcc
	s_nor_b64 s[6:7], vcc, s[2:3]
	v_cndmask_b32_e32 v14, 1.0, v14, vcc
	s_and_saveexec_b64 s[4:5], s[6:7]
	s_cbranch_execz .LBB52_117
; %bb.114:                              ;   in Loop: Header=BB52_105 Depth=1
	v_mbcnt_lo_u32_b32 v14, exec_lo, 0
	v_mbcnt_hi_u32_b32 v14, exec_hi, v14
	v_cmp_eq_u32_e32 vcc, 0, v14
	s_and_saveexec_b64 s[6:7], vcc
	s_cbranch_execz .LBB52_116
; %bb.115:                              ;   in Loop: Header=BB52_105 Depth=1
	v_mov_b32_e32 v14, s19
	global_atomic_smin v3, v14, s[14:15]
.LBB52_116:                             ;   in Loop: Header=BB52_105 Depth=1
	s_or_b64 exec, exec, s[6:7]
	v_mov_b32_e32 v14, 1.0
	v_mov_b32_e32 v15, 0
.LBB52_117:                             ;   in Loop: Header=BB52_105 Depth=1
	s_or_b64 exec, exec, s[4:5]
	v_cmp_lt_u32_e32 vcc, s18, v1
	s_and_saveexec_b64 s[4:5], vcc
	s_cbranch_execz .LBB52_104
; %bb.118:                              ;   in Loop: Header=BB52_105 Depth=1
	v_mul_f32_e32 v18, v15, v15
	v_fmac_f32_e32 v18, v14, v14
	v_div_scale_f32 v16, s[6:7], v18, v18, 1.0
	v_div_scale_f32 v17, vcc, 1.0, v18, 1.0
	v_rcp_f32_e32 v19, v16
	v_fma_f32 v20, -v16, v19, 1.0
	v_fmac_f32_e32 v19, v20, v19
	v_mul_f32_e32 v20, v17, v19
	v_fma_f32 v21, -v16, v20, v17
	v_fmac_f32_e32 v20, v21, v19
	v_fma_f32 v16, -v16, v20, v17
	v_div_fmas_f32 v19, v16, v19, v20
	v_lshl_add_u32 v16, s18, 3, v7
	ds_read_b64 v[16:17], v16
	s_waitcnt lgkmcnt(0)
	v_sub_f32_e32 v4, v4, v16
	v_sub_f32_e32 v5, v5, v17
	v_mul_f32_e32 v16, v15, v5
	v_mul_f32_e64 v15, v15, -v4
	v_fmac_f32_e32 v16, v4, v14
	v_fmac_f32_e32 v15, v5, v14
	v_div_fixup_f32 v5, v19, v18, 1.0
	v_mul_f32_e32 v4, v5, v16
	v_mul_f32_e32 v5, v5, v15
	ds_write_b64 v2, v[4:5]
	s_waitcnt lgkmcnt(0)
	s_and_b64 exec, exec, s[0:1]
	s_cbranch_execz .LBB52_104
; %bb.119:                              ;   in Loop: Header=BB52_105 Depth=1
	s_mov_b64 s[6:7], 0
	v_mov_b32_e32 v2, v12
	v_mov_b32_e32 v14, v10
	;; [unrolled: 1-line block ×3, first 2 shown]
.LBB52_120:                             ;   Parent Loop BB52_105 Depth=1
                                        ; =>  This Inner Loop Header: Depth=2
	ds_read_b64 v[16:17], v2
	ds_read_b64 v[18:19], v14
	v_add_u32_e32 v15, 4, v15
	v_cmp_le_i32_e32 vcc, s44, v15
	s_or_b64 s[6:7], vcc, s[6:7]
	v_add_u32_e32 v2, 0x220, v2
	s_waitcnt lgkmcnt(0)
	v_fma_f32 v18, v4, v16, v18
	v_fmac_f32_e32 v19, v5, v16
	v_fmac_f32_e32 v18, v5, v17
	v_fma_f32 v19, v4, -v17, v19
	ds_write_b64 v14, v[18:19]
	v_add_u32_e32 v14, 32, v14
	s_andn2_b64 exec, exec, s[6:7]
	s_cbranch_execnz .LBB52_120
	s_branch .LBB52_104
.LBB52_121:
	s_and_saveexec_b64 s[2:3], s[0:1]
	s_cbranch_execz .LBB52_130
; %bb.122:
	s_mul_i32 s33, s33, s44
	v_add_u32_e32 v2, s33, v1
	v_mul_lo_u32 v4, v2, s44
	s_cmp_lg_u32 s45, 0
	v_mul_u32_u24_e32 v2, 0x88, v1
	s_movk_i32 s6, 0x1100
	v_cmp_gt_i32_e64 s[0:1], s44, v1
	s_cselect_b64 s[4:5], -1, 0
	v_add3_u32 v5, v2, v11, s6
	s_mov_b64 s[6:7], 0
	v_mov_b32_e32 v6, v0
	s_branch .LBB52_126
.LBB52_123:                             ;   in Loop: Header=BB52_126 Depth=1
	v_add_u32_e32 v2, v4, v6
.LBB52_124:                             ;   in Loop: Header=BB52_126 Depth=1
	v_ashrrev_i32_e32 v3, 31, v2
	ds_read_b64 v[7:8], v5
	v_lshlrev_b64 v[2:3], 3, v[2:3]
	v_mov_b32_e32 v9, s23
	v_add_co_u32_e32 v2, vcc, s22, v2
	v_addc_co_u32_e32 v3, vcc, v9, v3, vcc
	s_waitcnt lgkmcnt(0)
	global_store_dwordx2 v[2:3], v[7:8], off
.LBB52_125:                             ;   in Loop: Header=BB52_126 Depth=1
	s_or_b64 exec, exec, s[8:9]
	v_add_u32_e32 v6, 4, v6
	v_cmp_le_i32_e32 vcc, s44, v6
	s_or_b64 s[6:7], vcc, s[6:7]
	v_add_u32_e32 v5, 32, v5
	s_andn2_b64 exec, exec, s[6:7]
	s_cbranch_execz .LBB52_130
.LBB52_126:                             ; =>This Inner Loop Header: Depth=1
	s_and_saveexec_b64 s[8:9], s[0:1]
	s_cbranch_execz .LBB52_125
; %bb.127:                              ;   in Loop: Header=BB52_126 Depth=1
	s_and_b64 vcc, exec, s[4:5]
	s_cbranch_vccz .LBB52_129
; %bb.128:                              ;   in Loop: Header=BB52_126 Depth=1
	v_add_u32_e32 v2, s33, v6
	v_mad_u64_u32 v[2:3], s[16:17], v2, s44, v[1:2]
	s_cbranch_execnz .LBB52_124
	s_branch .LBB52_123
.LBB52_129:                             ;   in Loop: Header=BB52_126 Depth=1
                                        ; implicit-def: $vgpr2
	s_branch .LBB52_123
.LBB52_130:
	s_or_b64 exec, exec, s[2:3]
	v_or_b32_e32 v2, v0, v1
	v_cmp_eq_u32_e32 vcc, 0, v2
	s_and_saveexec_b64 s[0:1], vcc
	s_cbranch_execz .LBB52_132
; %bb.131:
	s_add_u32 s2, s10, s12
	s_addc_u32 s3, s11, s13
	v_mov_b32_e32 v2, 0
	v_mov_b32_e32 v3, 1
	s_waitcnt vmcnt(0)
	global_store_dword v2, v3, s[2:3]
.LBB52_132:
	s_or_b64 exec, exec, s[0:1]
.LBB52_133:
	s_endpgm
.LBB52_134:
	s_cbranch_execz .LBB52_133
; %bb.135:
	v_or_b32_e32 v0, v0, v1
	v_cmp_eq_u32_e32 vcc, 0, v0
	s_and_saveexec_b64 s[0:1], vcc
	s_cbranch_execz .LBB52_133
; %bb.136:
	v_mbcnt_lo_u32_b32 v0, exec_lo, 0
	v_mbcnt_hi_u32_b32 v0, exec_hi, v0
	v_cmp_eq_u32_e32 vcc, 0, v0
	s_and_saveexec_b64 s[0:1], vcc
	s_cbranch_execz .LBB52_138
; %bb.137:
	s_add_i32 s2, s20, s21
	v_mov_b32_e32 v0, 0
	v_mov_b32_e32 v1, s2
	global_atomic_smin v0, v1, s[14:15]
.LBB52_138:
	s_or_b64 exec, exec, s[0:1]
	s_add_u32 s0, s10, s12
	s_addc_u32 s1, s11, s13
	v_mov_b32_e32 v0, 0
	v_mov_b32_e32 v1, 1
	s_waitcnt vmcnt(0)
	global_store_dword v0, v1, s[0:1]
	s_endpgm
	.section	.rodata,"a",@progbits
	.p2align	6, 0x0
	.amdhsa_kernel _ZN9rocsparseL18bsric0_9_16_kernelILi64ELi64ELi16E21rocsparse_complex_numIfEEEv20rocsparse_direction_iiPKiS5_PT2_S5_PiS5_S8_21rocsparse_index_base_
		.amdhsa_group_segment_fixed_size 9472
		.amdhsa_private_segment_fixed_size 0
		.amdhsa_kernarg_size 76
		.amdhsa_user_sgpr_count 6
		.amdhsa_user_sgpr_private_segment_buffer 1
		.amdhsa_user_sgpr_dispatch_ptr 0
		.amdhsa_user_sgpr_queue_ptr 0
		.amdhsa_user_sgpr_kernarg_segment_ptr 1
		.amdhsa_user_sgpr_dispatch_id 0
		.amdhsa_user_sgpr_flat_scratch_init 0
		.amdhsa_user_sgpr_private_segment_size 0
		.amdhsa_uses_dynamic_stack 0
		.amdhsa_system_sgpr_private_segment_wavefront_offset 0
		.amdhsa_system_sgpr_workgroup_id_x 1
		.amdhsa_system_sgpr_workgroup_id_y 0
		.amdhsa_system_sgpr_workgroup_id_z 0
		.amdhsa_system_sgpr_workgroup_info 0
		.amdhsa_system_vgpr_workitem_id 1
		.amdhsa_next_free_vgpr 85
		.amdhsa_next_free_sgpr 98
		.amdhsa_reserve_vcc 1
		.amdhsa_reserve_flat_scratch 0
		.amdhsa_float_round_mode_32 0
		.amdhsa_float_round_mode_16_64 0
		.amdhsa_float_denorm_mode_32 3
		.amdhsa_float_denorm_mode_16_64 3
		.amdhsa_dx10_clamp 1
		.amdhsa_ieee_mode 1
		.amdhsa_fp16_overflow 0
		.amdhsa_exception_fp_ieee_invalid_op 0
		.amdhsa_exception_fp_denorm_src 0
		.amdhsa_exception_fp_ieee_div_zero 0
		.amdhsa_exception_fp_ieee_overflow 0
		.amdhsa_exception_fp_ieee_underflow 0
		.amdhsa_exception_fp_ieee_inexact 0
		.amdhsa_exception_int_div_zero 0
	.end_amdhsa_kernel
	.section	.text._ZN9rocsparseL18bsric0_9_16_kernelILi64ELi64ELi16E21rocsparse_complex_numIfEEEv20rocsparse_direction_iiPKiS5_PT2_S5_PiS5_S8_21rocsparse_index_base_,"axG",@progbits,_ZN9rocsparseL18bsric0_9_16_kernelILi64ELi64ELi16E21rocsparse_complex_numIfEEEv20rocsparse_direction_iiPKiS5_PT2_S5_PiS5_S8_21rocsparse_index_base_,comdat
.Lfunc_end52:
	.size	_ZN9rocsparseL18bsric0_9_16_kernelILi64ELi64ELi16E21rocsparse_complex_numIfEEEv20rocsparse_direction_iiPKiS5_PT2_S5_PiS5_S8_21rocsparse_index_base_, .Lfunc_end52-_ZN9rocsparseL18bsric0_9_16_kernelILi64ELi64ELi16E21rocsparse_complex_numIfEEEv20rocsparse_direction_iiPKiS5_PT2_S5_PiS5_S8_21rocsparse_index_base_
                                        ; -- End function
	.set _ZN9rocsparseL18bsric0_9_16_kernelILi64ELi64ELi16E21rocsparse_complex_numIfEEEv20rocsparse_direction_iiPKiS5_PT2_S5_PiS5_S8_21rocsparse_index_base_.num_vgpr, 29
	.set _ZN9rocsparseL18bsric0_9_16_kernelILi64ELi64ELi16E21rocsparse_complex_numIfEEEv20rocsparse_direction_iiPKiS5_PT2_S5_PiS5_S8_21rocsparse_index_base_.num_agpr, 0
	.set _ZN9rocsparseL18bsric0_9_16_kernelILi64ELi64ELi16E21rocsparse_complex_numIfEEEv20rocsparse_direction_iiPKiS5_PT2_S5_PiS5_S8_21rocsparse_index_base_.numbered_sgpr, 54
	.set _ZN9rocsparseL18bsric0_9_16_kernelILi64ELi64ELi16E21rocsparse_complex_numIfEEEv20rocsparse_direction_iiPKiS5_PT2_S5_PiS5_S8_21rocsparse_index_base_.num_named_barrier, 0
	.set _ZN9rocsparseL18bsric0_9_16_kernelILi64ELi64ELi16E21rocsparse_complex_numIfEEEv20rocsparse_direction_iiPKiS5_PT2_S5_PiS5_S8_21rocsparse_index_base_.private_seg_size, 0
	.set _ZN9rocsparseL18bsric0_9_16_kernelILi64ELi64ELi16E21rocsparse_complex_numIfEEEv20rocsparse_direction_iiPKiS5_PT2_S5_PiS5_S8_21rocsparse_index_base_.uses_vcc, 1
	.set _ZN9rocsparseL18bsric0_9_16_kernelILi64ELi64ELi16E21rocsparse_complex_numIfEEEv20rocsparse_direction_iiPKiS5_PT2_S5_PiS5_S8_21rocsparse_index_base_.uses_flat_scratch, 0
	.set _ZN9rocsparseL18bsric0_9_16_kernelILi64ELi64ELi16E21rocsparse_complex_numIfEEEv20rocsparse_direction_iiPKiS5_PT2_S5_PiS5_S8_21rocsparse_index_base_.has_dyn_sized_stack, 0
	.set _ZN9rocsparseL18bsric0_9_16_kernelILi64ELi64ELi16E21rocsparse_complex_numIfEEEv20rocsparse_direction_iiPKiS5_PT2_S5_PiS5_S8_21rocsparse_index_base_.has_recursion, 0
	.set _ZN9rocsparseL18bsric0_9_16_kernelILi64ELi64ELi16E21rocsparse_complex_numIfEEEv20rocsparse_direction_iiPKiS5_PT2_S5_PiS5_S8_21rocsparse_index_base_.has_indirect_call, 0
	.section	.AMDGPU.csdata,"",@progbits
; Kernel info:
; codeLenInByte = 4360
; TotalNumSgprs: 58
; NumVgprs: 29
; ScratchSize: 0
; MemoryBound: 0
; FloatMode: 240
; IeeeMode: 1
; LDSByteSize: 9472 bytes/workgroup (compile time only)
; SGPRBlocks: 12
; VGPRBlocks: 21
; NumSGPRsForWavesPerEU: 102
; NumVGPRsForWavesPerEU: 85
; Occupancy: 2
; WaveLimiterHint : 1
; COMPUTE_PGM_RSRC2:SCRATCH_EN: 0
; COMPUTE_PGM_RSRC2:USER_SGPR: 6
; COMPUTE_PGM_RSRC2:TRAP_HANDLER: 0
; COMPUTE_PGM_RSRC2:TGID_X_EN: 1
; COMPUTE_PGM_RSRC2:TGID_Y_EN: 0
; COMPUTE_PGM_RSRC2:TGID_Z_EN: 0
; COMPUTE_PGM_RSRC2:TIDIG_COMP_CNT: 1
	.section	.text._ZN9rocsparseL19bsric0_17_32_kernelILi64ELi64ELi32E21rocsparse_complex_numIfEEEv20rocsparse_direction_iiPKiS5_PT2_S5_PiS5_S8_21rocsparse_index_base_,"axG",@progbits,_ZN9rocsparseL19bsric0_17_32_kernelILi64ELi64ELi32E21rocsparse_complex_numIfEEEv20rocsparse_direction_iiPKiS5_PT2_S5_PiS5_S8_21rocsparse_index_base_,comdat
	.globl	_ZN9rocsparseL19bsric0_17_32_kernelILi64ELi64ELi32E21rocsparse_complex_numIfEEEv20rocsparse_direction_iiPKiS5_PT2_S5_PiS5_S8_21rocsparse_index_base_ ; -- Begin function _ZN9rocsparseL19bsric0_17_32_kernelILi64ELi64ELi32E21rocsparse_complex_numIfEEEv20rocsparse_direction_iiPKiS5_PT2_S5_PiS5_S8_21rocsparse_index_base_
	.p2align	8
	.type	_ZN9rocsparseL19bsric0_17_32_kernelILi64ELi64ELi32E21rocsparse_complex_numIfEEEv20rocsparse_direction_iiPKiS5_PT2_S5_PiS5_S8_21rocsparse_index_base_,@function
_ZN9rocsparseL19bsric0_17_32_kernelILi64ELi64ELi32E21rocsparse_complex_numIfEEEv20rocsparse_direction_iiPKiS5_PT2_S5_PiS5_S8_21rocsparse_index_base_: ; @_ZN9rocsparseL19bsric0_17_32_kernelILi64ELi64ELi32E21rocsparse_complex_numIfEEEv20rocsparse_direction_iiPKiS5_PT2_S5_PiS5_S8_21rocsparse_index_base_
; %bb.0:
	s_load_dwordx8 s[8:15], s[4:5], 0x28
	s_mov_b32 s7, 0
	s_lshl_b64 s[0:1], s[6:7], 2
	s_waitcnt lgkmcnt(0)
	s_add_u32 s0, s12, s0
	s_addc_u32 s1, s13, s1
	s_load_dword s20, s[0:1], 0x0
	s_waitcnt lgkmcnt(0)
	s_ashr_i32 s21, s20, 31
	s_lshl_b64 s[12:13], s[20:21], 2
	s_add_u32 s0, s8, s12
	s_addc_u32 s1, s9, s13
	s_load_dword s33, s[0:1], 0x0
	s_load_dword s21, s[4:5], 0x48
	s_waitcnt lgkmcnt(0)
	s_cmp_lg_u32 s33, -1
	s_cbranch_scc0 .LBB53_124
; %bb.1:
	s_load_dwordx4 s[16:19], s[4:5], 0x10
	s_load_dwordx2 s[22:23], s[4:5], 0x20
	v_lshlrev_b32_e32 v2, 1, v1
	v_lshlrev_b32_e32 v12, 3, v1
	s_waitcnt lgkmcnt(0)
	s_add_u32 s0, s16, s12
	s_addc_u32 s1, s17, s13
	s_load_dword s0, s[0:1], 0x0
	s_waitcnt lgkmcnt(0)
	s_sub_i32 s48, s0, s21
	v_add3_u32 v2, v2, v0, s48
	v_cmp_ge_i32_e32 vcc, s33, v2
	s_and_saveexec_b64 s[0:1], vcc
	s_cbranch_execz .LBB53_4
; %bb.2:
	v_lshlrev_b32_e32 v3, 2, v0
	s_movk_i32 s2, 0x6500
	v_add3_u32 v4, v12, v3, s2
	s_mov_b64 s[2:3], 0
	v_mov_b32_e32 v5, s19
.LBB53_3:                               ; =>This Inner Loop Header: Depth=1
	v_ashrrev_i32_e32 v3, 31, v2
	v_lshlrev_b64 v[6:7], 2, v[2:3]
	v_add_u32_e32 v2, 64, v2
	v_add_co_u32_e32 v6, vcc, s18, v6
	v_addc_co_u32_e32 v7, vcc, v5, v7, vcc
	global_load_dword v3, v[6:7], off
	v_cmp_lt_i32_e32 vcc, s33, v2
	s_or_b64 s[2:3], vcc, s[2:3]
	s_waitcnt vmcnt(0)
	v_subrev_u32_e32 v3, s21, v3
	ds_write_b32 v4, v3
	v_add_u32_e32 v4, 0x100, v4
	s_andn2_b64 exec, exec, s[2:3]
	s_cbranch_execnz .LBB53_3
.LBB53_4:
	s_or_b64 exec, exec, s[0:1]
	v_cmp_gt_u32_e32 vcc, 32, v0
	v_lshlrev_b32_e32 v11, 3, v0
	s_and_saveexec_b64 s[0:1], vcc
	s_cbranch_execz .LBB53_7
; %bb.5:
	v_mul_u32_u24_e32 v2, 0x108, v1
	s_movk_i32 s2, 0x4200
	v_add3_u32 v5, v2, v11, s2
	v_mov_b32_e32 v2, 0
	v_add_u32_e32 v4, -2, v0
	s_mov_b64 s[2:3], 0
	v_mov_b32_e32 v3, v2
.LBB53_6:                               ; =>This Inner Loop Header: Depth=1
	v_add_u32_e32 v4, 2, v4
	v_cmp_lt_u32_e32 vcc, 29, v4
	ds_write_b64 v5, v[2:3]
	s_or_b64 s[2:3], vcc, s[2:3]
	v_add_u32_e32 v5, 16, v5
	s_andn2_b64 exec, exec, s[2:3]
	s_cbranch_execnz .LBB53_6
.LBB53_7:
	s_or_b64 exec, exec, s[0:1]
	s_load_dword s46, s[4:5], 0x8
	s_load_dword s47, s[4:5], 0x0
	s_cmp_ge_i32 s48, s33
	s_waitcnt lgkmcnt(0)
	v_cmp_gt_i32_e64 s[0:1], s46, v0
	s_cbranch_scc1 .LBB53_79
; %bb.8:
	v_or_b32_e32 v3, v0, v1
	s_mul_i32 s7, s46, s48
	v_cmp_ne_u32_e64 s[4:5], 0, v3
	v_add_u32_e32 v3, s7, v1
	s_cmp_eq_u32 s47, 0
	v_mul_lo_u32 v15, s46, v1
	v_mul_lo_u32 v18, s46, v3
	;; [unrolled: 1-line block ×3, first 2 shown]
	s_cselect_b64 s[24:25], -1, 0
	s_cmp_lg_u32 s47, 0
	s_movk_i32 s6, 0x108
	s_cselect_b64 s[26:27], -1, 0
	v_mov_b32_e32 v2, 0x2100
	s_cmp_gt_i32 s46, 0
	v_mad_u32_u24 v16, v1, s6, v11
	s_mul_i32 s49, s46, s46
	v_cmp_gt_i32_e64 s[2:3], s46, v1
	v_mul_u32_u24_e32 v13, 0x108, v1
	v_mad_u32_u24 v14, v1, s6, v2
	s_cselect_b64 s[28:29], -1, 0
	s_lshl_b32 s50, s46, 1
	v_add_u32_e32 v19, 0x4200, v16
	v_mad_u32_u24 v20, v0, s6, v2
	v_add_u32_e32 v21, 0x2100, v16
	v_mov_b32_e32 v2, 0
	s_mov_b32 s30, s48
	s_branch .LBB53_10
.LBB53_9:                               ;   in Loop: Header=BB53_10 Depth=1
	s_or_b64 exec, exec, s[6:7]
	s_add_i32 s30, s30, 1
	s_cmp_ge_i32 s30, s33
	s_waitcnt vmcnt(0)
	buffer_wbinvl1_vol
	v_add_u32_e32 v18, s49, v18
	s_cselect_b64 s[6:7], -1, 0
	s_and_b64 vcc, exec, s[6:7]
	s_cbranch_vccnz .LBB53_79
.LBB53_10:                              ; =>This Loop Header: Depth=1
                                        ;     Child Loop BB53_14 Depth 2
                                        ;     Child Loop BB53_26 Depth 2
	;; [unrolled: 1-line block ×4, first 2 shown]
                                        ;       Child Loop BB53_43 Depth 3
                                        ;         Child Loop BB53_48 Depth 4
                                        ;     Child Loop BB53_57 Depth 2
                                        ;       Child Loop BB53_64 Depth 3
                                        ;       Child Loop BB53_68 Depth 3
                                        ;     Child Loop BB53_73 Depth 2
	s_ashr_i32 s31, s30, 31
	s_lshl_b64 s[6:7], s[30:31], 2
	s_add_u32 s6, s18, s6
	s_addc_u32 s7, s19, s7
	s_load_dword s51, s[6:7], 0x0
	s_waitcnt lgkmcnt(0)
	s_sub_i32 s34, s51, s21
	s_ashr_i32 s35, s34, 31
	s_lshl_b64 s[6:7], s[34:35], 2
	s_add_u32 s36, s8, s6
	s_addc_u32 s37, s9, s7
	s_load_dword s52, s[36:37], 0x0
	s_waitcnt lgkmcnt(0)
	s_cmp_eq_u32 s52, -1
	s_cbranch_scc1 .LBB53_78
; %bb.11:                               ;   in Loop: Header=BB53_10 Depth=1
	s_add_u32 s36, s16, s6
	s_addc_u32 s37, s17, s7
	s_load_dword s35, s[36:37], 0x0
	s_mul_i32 s31, s30, s46
	s_and_saveexec_b64 s[36:37], s[0:1]
	s_cbranch_execz .LBB53_24
; %bb.12:                               ;   in Loop: Header=BB53_10 Depth=1
	s_mov_b64 s[38:39], 0
	v_mov_b32_e32 v6, v16
	v_mov_b32_e32 v7, v0
	s_branch .LBB53_14
.LBB53_13:                              ;   in Loop: Header=BB53_14 Depth=2
	s_or_b64 exec, exec, s[42:43]
	v_add_u32_e32 v7, 2, v7
	v_mov_b32_e32 v3, v2
	v_cmp_le_i32_e32 vcc, s46, v7
	s_waitcnt vmcnt(0)
	ds_write_b64 v6, v[4:5] offset:8448
	ds_write_b64 v6, v[2:3]
	s_or_b64 s[38:39], vcc, s[38:39]
	v_add_u32_e32 v6, 16, v6
	s_andn2_b64 exec, exec, s[38:39]
	s_cbranch_execz .LBB53_24
.LBB53_14:                              ;   Parent Loop BB53_10 Depth=1
                                        ; =>  This Inner Loop Header: Depth=2
	s_mov_b64 s[42:43], -1
	s_and_b64 vcc, exec, s[26:27]
	s_mov_b64 s[40:41], 0
                                        ; implicit-def: $vgpr3
	s_cbranch_vccz .LBB53_19
; %bb.15:                               ;   in Loop: Header=BB53_14 Depth=2
	s_mov_b64 s[42:43], 0
                                        ; implicit-def: $vgpr3
	s_and_saveexec_b64 s[44:45], s[2:3]
	s_xor_b64 s[44:45], exec, s[44:45]
; %bb.16:                               ;   in Loop: Header=BB53_14 Depth=2
	v_add_u32_e32 v3, s31, v7
	v_mad_u64_u32 v[3:4], s[54:55], v3, s46, v[1:2]
	s_mov_b64 s[40:41], exec
; %bb.17:                               ;   in Loop: Header=BB53_14 Depth=2
	s_or_b64 exec, exec, s[44:45]
	s_and_b64 vcc, exec, s[42:43]
	s_cbranch_vccnz .LBB53_20
.LBB53_18:                              ;   in Loop: Header=BB53_14 Depth=2
	v_mov_b32_e32 v4, 0
	v_mov_b32_e32 v5, 0
	s_and_saveexec_b64 s[42:43], s[40:41]
	s_cbranch_execz .LBB53_13
	s_branch .LBB53_23
.LBB53_19:                              ;   in Loop: Header=BB53_14 Depth=2
	s_and_b64 vcc, exec, s[42:43]
	s_cbranch_vccz .LBB53_18
.LBB53_20:                              ;   in Loop: Header=BB53_14 Depth=2
                                        ; implicit-def: $vgpr3
	s_and_saveexec_b64 s[42:43], s[2:3]
; %bb.21:                               ;   in Loop: Header=BB53_14 Depth=2
	v_add_u32_e32 v3, v18, v7
	s_or_b64 s[40:41], s[40:41], exec
; %bb.22:                               ;   in Loop: Header=BB53_14 Depth=2
	s_or_b64 exec, exec, s[42:43]
	v_mov_b32_e32 v4, 0
	v_mov_b32_e32 v5, 0
	s_and_saveexec_b64 s[42:43], s[40:41]
	s_cbranch_execz .LBB53_13
.LBB53_23:                              ;   in Loop: Header=BB53_14 Depth=2
	v_ashrrev_i32_e32 v4, 31, v3
	v_lshlrev_b64 v[3:4], 3, v[3:4]
	v_mov_b32_e32 v5, s23
	v_add_co_u32_e32 v3, vcc, s22, v3
	v_addc_co_u32_e32 v4, vcc, v5, v4, vcc
	global_load_dwordx2 v[4:5], v[3:4], off
	s_branch .LBB53_13
.LBB53_24:                              ;   in Loop: Header=BB53_10 Depth=1
	s_or_b64 exec, exec, s[36:37]
	ds_read_b32 v3, v2 offset:25856
	s_waitcnt lgkmcnt(0)
	s_sub_i32 s36, s35, s21
	s_cmp_le_i32 s36, s52
	s_cselect_b64 s[38:39], -1, 0
	s_mov_b32 s37, 0
	v_cmp_ge_i32_e32 vcc, s34, v3
	s_and_b64 s[38:39], s[38:39], vcc
	s_andn2_b64 vcc, exec, s[38:39]
	s_cbranch_vccnz .LBB53_36
; %bb.25:                               ;   in Loop: Header=BB53_10 Depth=1
	s_mov_b32 s35, 0
	s_mov_b32 s40, 0
.LBB53_26:                              ;   Parent Loop BB53_10 Depth=1
                                        ; =>  This Inner Loop Header: Depth=2
	s_ashr_i32 s37, s36, 31
	s_lshl_b64 s[38:39], s[36:37], 2
	s_add_u32 s38, s18, s38
	s_addc_u32 s39, s19, s39
	s_load_dword s37, s[38:39], 0x0
	s_lshl_b32 s38, s40, 2
	v_mov_b32_e32 v3, s38
	ds_read_b32 v3, v3 offset:25856
	s_mov_b64 s[38:39], -1
	s_waitcnt lgkmcnt(0)
	s_sub_i32 s44, s37, s21
                                        ; implicit-def: $sgpr37
                                        ; implicit-def: $sgpr43
                                        ; implicit-def: $sgpr42
	v_cmp_ge_i32_e32 vcc, s44, v3
	v_readfirstlane_b32 s41, v3
	s_cbranch_vccz .LBB53_32
; %bb.27:                               ;   in Loop: Header=BB53_26 Depth=2
	s_cmp_le_i32 s44, s41
                                        ; implicit-def: $sgpr37
                                        ; implicit-def: $sgpr43
                                        ; implicit-def: $sgpr42
	s_cbranch_scc0 .LBB53_29
; %bb.28:                               ;   in Loop: Header=BB53_26 Depth=2
	s_add_i32 s37, s40, s48
	s_mul_i32 s37, s37, s49
	s_lshl_b32 s38, s35, 2
	v_mov_b32_e32 v4, s37
	s_mul_i32 s37, s36, s49
	v_mov_b32_e32 v3, s38
	v_mov_b32_e32 v5, s37
	ds_write2st64_b32 v3, v5, v4 offset0:99 offset1:100
	s_add_i32 s42, s40, 1
	s_add_i32 s43, s36, 1
	;; [unrolled: 1-line block ×3, first 2 shown]
	s_mov_b64 s[38:39], 0
.LBB53_29:                              ;   in Loop: Header=BB53_26 Depth=2
	s_andn2_b64 vcc, exec, s[38:39]
	s_cbranch_vccnz .LBB53_31
; %bb.30:                               ;   in Loop: Header=BB53_26 Depth=2
	s_add_i32 s42, s40, 1
	s_mov_b32 s37, s35
	s_mov_b32 s43, s36
.LBB53_31:                              ;   in Loop: Header=BB53_26 Depth=2
	s_mov_b64 s[38:39], 0
.LBB53_32:                              ;   in Loop: Header=BB53_26 Depth=2
	s_andn2_b64 vcc, exec, s[38:39]
	s_cbranch_vccnz .LBB53_34
; %bb.33:                               ;   in Loop: Header=BB53_26 Depth=2
	s_add_i32 s43, s36, 1
	s_mov_b32 s42, s40
	s_mov_b32 s37, s35
.LBB53_34:                              ;   in Loop: Header=BB53_26 Depth=2
	s_cmp_le_i32 s43, s52
	s_cselect_b64 s[38:39], -1, 0
	s_cmp_le_i32 s41, s34
	s_cselect_b64 s[40:41], -1, 0
	s_and_b64 s[38:39], s[38:39], s[40:41]
	s_and_b64 vcc, exec, s[38:39]
	s_cbranch_vccz .LBB53_36
; %bb.35:                               ;   in Loop: Header=BB53_26 Depth=2
	s_mov_b32 s35, s37
	s_mov_b32 s36, s43
	;; [unrolled: 1-line block ×3, first 2 shown]
	s_branch .LBB53_26
.LBB53_36:                              ;   in Loop: Header=BB53_10 Depth=1
	s_add_u32 s6, s10, s6
	s_addc_u32 s7, s11, s7
	s_waitcnt lgkmcnt(0)
.LBB53_37:                              ;   Parent Loop BB53_10 Depth=1
                                        ; =>  This Inner Loop Header: Depth=2
	global_load_dword v3, v2, s[6:7] glc
	s_waitcnt vmcnt(0)
	v_cmp_eq_u32_e32 vcc, 0, v3
	s_cbranch_vccnz .LBB53_37
; %bb.38:                               ;   in Loop: Header=BB53_10 Depth=1
	s_cmp_lt_i32 s37, 2
	buffer_wbinvl1_vol
	s_cbranch_scc1 .LBB53_54
; %bb.39:                               ;   in Loop: Header=BB53_10 Depth=1
	s_add_i32 s38, s37, -2
	s_mov_b32 s39, 0
	s_branch .LBB53_41
.LBB53_40:                              ;   in Loop: Header=BB53_41 Depth=2
	s_or_b64 exec, exec, s[6:7]
	s_add_i32 s6, s39, 1
	s_cmp_eq_u32 s39, s38
	s_mov_b32 s39, s6
	s_cbranch_scc1 .LBB53_54
.LBB53_41:                              ;   Parent Loop BB53_10 Depth=1
                                        ; =>  This Loop Header: Depth=2
                                        ;       Child Loop BB53_43 Depth 3
                                        ;         Child Loop BB53_48 Depth 4
	s_and_saveexec_b64 s[6:7], s[0:1]
	s_cbranch_execz .LBB53_40
; %bb.42:                               ;   in Loop: Header=BB53_41 Depth=2
	s_lshl_b32 s34, s39, 2
	v_mov_b32_e32 v3, s34
	ds_read2st64_b32 v[3:4], v3 offset0:99 offset1:100
	s_mov_b64 s[34:35], 0
	v_mov_b32_e32 v26, v0
	s_waitcnt lgkmcnt(0)
	v_add_u32_e32 v22, v4, v15
	v_add_u32_e32 v23, v1, v4
	;; [unrolled: 1-line block ×4, first 2 shown]
.LBB53_43:                              ;   Parent Loop BB53_10 Depth=1
                                        ;     Parent Loop BB53_41 Depth=2
                                        ; =>    This Loop Header: Depth=3
                                        ;         Child Loop BB53_48 Depth 4
	v_mov_b32_e32 v27, 0
	s_mov_b32 s40, 0
	v_mov_b32_e32 v3, v24
	v_mov_b32_e32 v5, v23
	;; [unrolled: 1-line block ×3, first 2 shown]
	s_mov_b64 s[36:37], -1
	s_and_b64 vcc, exec, s[26:27]
                                        ; implicit-def: $vgpr6
                                        ; implicit-def: $vgpr4
	s_cbranch_vccz .LBB53_48
	s_branch .LBB53_45
.LBB53_44:                              ;   in Loop: Header=BB53_48 Depth=4
	v_mov_b32_e32 v27, v6
	v_mov_b32_e32 v28, v4
	s_mov_b64 s[36:37], -1
	s_and_b64 vcc, exec, s[26:27]
                                        ; implicit-def: $vgpr6
                                        ; implicit-def: $vgpr4
	s_cbranch_vccz .LBB53_48
.LBB53_45:                              ;   in Loop: Header=BB53_43 Depth=3
	v_ashrrev_i32_e32 v4, 31, v3
	v_lshlrev_b64 v[6:7], 3, v[3:4]
	v_mov_b32_e32 v4, s23
	v_add_co_u32_e32 v6, vcc, s22, v6
	v_addc_co_u32_e32 v7, vcc, v4, v7, vcc
	global_load_dwordx2 v[7:8], v[6:7], off
	v_mov_b32_e32 v9, 0
	v_mov_b32_e32 v10, 0
	s_and_saveexec_b64 s[36:37], s[2:3]
	s_cbranch_execz .LBB53_47
; %bb.46:                               ;   in Loop: Header=BB53_43 Depth=3
	v_ashrrev_i32_e32 v6, 31, v5
	v_lshlrev_b64 v[9:10], 3, v[5:6]
	v_mov_b32_e32 v4, s23
	v_add_co_u32_e32 v9, vcc, s22, v9
	v_addc_co_u32_e32 v10, vcc, v4, v10, vcc
	global_load_dwordx2 v[9:10], v[9:10], off
.LBB53_47:                              ;   in Loop: Header=BB53_43 Depth=3
	s_or_b64 exec, exec, s[36:37]
	s_waitcnt vmcnt(0)
	v_fma_f32 v4, v7, v9, v28
	v_fma_f32 v6, v8, v9, v27
	v_fmac_f32_e32 v4, v8, v10
	v_fma_f32 v6, v7, -v10, v6
	s_mov_b64 s[36:37], 0
.LBB53_48:                              ;   Parent Loop BB53_10 Depth=1
                                        ;     Parent Loop BB53_41 Depth=2
                                        ;       Parent Loop BB53_43 Depth=3
                                        ; =>      This Inner Loop Header: Depth=4
	s_and_b64 vcc, exec, s[36:37]
	s_cbranch_vccz .LBB53_52
; %bb.49:                               ;   in Loop: Header=BB53_48 Depth=4
	v_add_u32_e32 v6, s40, v25
	v_ashrrev_i32_e32 v7, 31, v6
	v_lshlrev_b64 v[6:7], 3, v[6:7]
	v_mov_b32_e32 v4, s23
	v_add_co_u32_e32 v6, vcc, s22, v6
	v_addc_co_u32_e32 v7, vcc, v4, v7, vcc
	global_load_dwordx2 v[6:7], v[6:7], off
	v_mov_b32_e32 v8, 0
	v_mov_b32_e32 v9, 0
	s_and_saveexec_b64 s[36:37], s[2:3]
	s_cbranch_execz .LBB53_51
; %bb.50:                               ;   in Loop: Header=BB53_48 Depth=4
	v_add_u32_e32 v8, s40, v22
	v_ashrrev_i32_e32 v9, 31, v8
	v_lshlrev_b64 v[8:9], 3, v[8:9]
	v_mov_b32_e32 v4, s23
	v_add_co_u32_e32 v8, vcc, s22, v8
	v_addc_co_u32_e32 v9, vcc, v4, v9, vcc
	global_load_dwordx2 v[8:9], v[8:9], off
.LBB53_51:                              ;   in Loop: Header=BB53_48 Depth=4
	s_or_b64 exec, exec, s[36:37]
	s_waitcnt vmcnt(0)
	v_fmac_f32_e32 v28, v6, v8
	v_fmac_f32_e32 v28, v7, v9
	;; [unrolled: 1-line block ×3, first 2 shown]
	v_fma_f32 v6, v6, -v9, v27
	v_mov_b32_e32 v4, v28
.LBB53_52:                              ;   in Loop: Header=BB53_48 Depth=4
	s_add_i32 s40, s40, 1
	v_add_u32_e32 v5, s46, v5
	s_cmp_eq_u32 s46, s40
	v_add_u32_e32 v3, s46, v3
	s_cbranch_scc0 .LBB53_44
; %bb.53:                               ;   in Loop: Header=BB53_43 Depth=3
	v_lshl_add_u32 v5, v26, 3, v13
	ds_read_b64 v[7:8], v5
	v_add_u32_e32 v26, 2, v26
	v_cmp_le_i32_e32 vcc, s46, v26
	v_add_u32_e32 v24, 2, v24
	s_or_b64 s[34:35], vcc, s[34:35]
	s_waitcnt lgkmcnt(0)
	v_add_f32_e32 v3, v4, v7
	v_add_f32_e32 v4, v6, v8
	v_add_u32_e32 v25, s50, v25
	ds_write_b64 v5, v[3:4]
	s_andn2_b64 exec, exec, s[34:35]
	s_cbranch_execnz .LBB53_43
	s_branch .LBB53_40
.LBB53_54:                              ;   in Loop: Header=BB53_10 Depth=1
	s_andn2_b64 vcc, exec, s[28:29]
	s_waitcnt lgkmcnt(0)
	s_cbranch_vccnz .LBB53_69
; %bb.55:                               ;   in Loop: Header=BB53_10 Depth=1
	s_mul_i32 s36, s49, s52
	s_mov_b32 s37, 0
	v_mov_b32_e32 v7, v20
	s_mov_b32 s38, s36
	s_branch .LBB53_57
.LBB53_56:                              ;   in Loop: Header=BB53_57 Depth=2
	s_or_b64 exec, exec, s[6:7]
	s_add_i32 s37, s37, 1
	s_add_i32 s38, s38, 1
	s_cmp_eq_u32 s37, s46
	v_add_u32_e32 v7, 8, v7
	s_waitcnt lgkmcnt(0)
	s_cbranch_scc1 .LBB53_69
.LBB53_57:                              ;   Parent Loop BB53_10 Depth=1
                                        ; =>  This Loop Header: Depth=2
                                        ;       Child Loop BB53_64 Depth 3
                                        ;       Child Loop BB53_68 Depth 3
	s_mul_i32 s39, s37, s46
	s_add_i32 s39, s39, s36
	s_add_i32 s6, s39, s37
	s_ashr_i32 s7, s6, 31
	s_lshl_b64 s[6:7], s[6:7], 3
	s_add_u32 s6, s22, s6
	s_addc_u32 s7, s23, s7
	global_load_dwordx2 v[5:6], v2, s[6:7]
	v_lshl_add_u32 v8, s37, 3, v14
	ds_read_b64 v[3:4], v8
	s_waitcnt vmcnt(0)
	v_cmp_neq_f32_e32 vcc, 0, v5
	v_cmp_neq_f32_e64 s[6:7], 0, v6
	s_or_b64 vcc, vcc, s[6:7]
	v_cndmask_b32_e32 v9, 1.0, v5, vcc
	s_nor_b64 s[34:35], vcc, s[4:5]
	v_cndmask_b32_e32 v10, 0, v6, vcc
	s_and_saveexec_b64 s[6:7], s[34:35]
	s_cbranch_execz .LBB53_61
; %bb.58:                               ;   in Loop: Header=BB53_57 Depth=2
	v_mbcnt_lo_u32_b32 v5, exec_lo, 0
	v_mbcnt_hi_u32_b32 v5, exec_hi, v5
	v_cmp_eq_u32_e32 vcc, 0, v5
	s_and_saveexec_b64 s[34:35], vcc
	s_cbranch_execz .LBB53_60
; %bb.59:                               ;   in Loop: Header=BB53_57 Depth=2
	v_mov_b32_e32 v5, s51
	global_atomic_smin v2, v5, s[14:15]
.LBB53_60:                              ;   in Loop: Header=BB53_57 Depth=2
	s_or_b64 exec, exec, s[34:35]
	v_mov_b32_e32 v10, 0
	v_mov_b32_e32 v9, 1.0
.LBB53_61:                              ;   in Loop: Header=BB53_57 Depth=2
	s_or_b64 exec, exec, s[6:7]
	v_lshl_add_u32 v5, s37, 3, v13
	ds_read_b64 v[5:6], v5
	s_cmp_eq_u32 s37, 0
	s_cbranch_scc1 .LBB53_66
; %bb.62:                               ;   in Loop: Header=BB53_57 Depth=2
	s_mov_b32 s34, 0
	s_mov_b32 s35, s37
	;; [unrolled: 1-line block ×3, first 2 shown]
	v_mov_b32_e32 v22, v14
	s_branch .LBB53_64
.LBB53_63:                              ;   in Loop: Header=BB53_64 Depth=3
	s_ashr_i32 s7, s6, 31
	s_lshl_b64 s[6:7], s[6:7], 3
	s_add_u32 s6, s22, s6
	s_addc_u32 s7, s23, s7
	global_load_dwordx2 v[23:24], v2, s[6:7]
	ds_read_b64 v[25:26], v22
	s_add_i32 s34, s34, 1
	s_add_i32 s40, s40, s46
	s_add_i32 s35, s35, -1
	s_cmp_eq_u32 s35, 0
	v_add_u32_e32 v22, 8, v22
	s_waitcnt vmcnt(0) lgkmcnt(0)
	v_fmac_f32_e32 v5, v23, v25
	v_fmac_f32_e32 v6, v24, v25
	;; [unrolled: 1-line block ×3, first 2 shown]
	v_fma_f32 v6, v23, -v26, v6
	s_cbranch_scc1 .LBB53_66
.LBB53_64:                              ;   Parent Loop BB53_10 Depth=1
                                        ;     Parent Loop BB53_57 Depth=2
                                        ; =>    This Inner Loop Header: Depth=3
	s_andn2_b64 vcc, exec, s[24:25]
	s_mov_b32 s6, s40
	s_cbranch_vccnz .LBB53_63
; %bb.65:                               ;   in Loop: Header=BB53_64 Depth=3
	s_add_i32 s6, s34, s39
	s_branch .LBB53_63
.LBB53_66:                              ;   in Loop: Header=BB53_57 Depth=2
	v_mul_f32_e32 v22, v10, v10
	v_fmac_f32_e32 v22, v9, v9
	v_div_scale_f32 v23, s[6:7], v22, v22, 1.0
	v_div_scale_f32 v24, vcc, 1.0, v22, 1.0
	s_waitcnt lgkmcnt(0)
	v_sub_f32_e32 v3, v3, v5
	v_sub_f32_e32 v4, v4, v6
	v_mul_f32_e32 v5, v10, v4
	v_mul_f32_e64 v6, v10, -v3
	v_fmac_f32_e32 v5, v3, v9
	v_fmac_f32_e32 v6, v4, v9
	v_rcp_f32_e32 v25, v23
	v_fma_f32 v26, -v23, v25, 1.0
	v_fmac_f32_e32 v25, v26, v25
	v_mul_f32_e32 v26, v24, v25
	v_fma_f32 v27, -v23, v26, v24
	v_fmac_f32_e32 v26, v27, v25
	v_fma_f32 v23, -v23, v26, v24
	v_div_fmas_f32 v23, v23, v25, v26
	v_div_fixup_f32 v4, v23, v22, 1.0
	v_mul_f32_e32 v3, v4, v5
	v_mul_f32_e32 v4, v4, v6
	ds_write_b64 v8, v[3:4]
	s_waitcnt lgkmcnt(0)
	s_and_saveexec_b64 s[6:7], s[0:1]
	s_cbranch_execz .LBB53_56
; %bb.67:                               ;   in Loop: Header=BB53_57 Depth=2
	s_mov_b64 s[34:35], 0
	v_mov_b32_e32 v5, v7
	v_mov_b32_e32 v6, v19
	;; [unrolled: 1-line block ×3, first 2 shown]
.LBB53_68:                              ;   Parent Loop BB53_10 Depth=1
                                        ;     Parent Loop BB53_57 Depth=2
                                        ; =>    This Inner Loop Header: Depth=3
	ds_read_b64 v[9:10], v5
	ds_read_b64 v[22:23], v6
	v_add_u32_e32 v8, 2, v8
	v_cmp_le_i32_e32 vcc, s46, v8
	s_or_b64 s[34:35], vcc, s[34:35]
	v_add_u32_e32 v5, 0x210, v5
	s_waitcnt lgkmcnt(0)
	v_fma_f32 v22, v3, v9, v22
	v_fmac_f32_e32 v23, v4, v9
	v_fmac_f32_e32 v22, v4, v10
	v_fma_f32 v23, v3, -v10, v23
	ds_write_b64 v6, v[22:23]
	v_add_u32_e32 v6, 16, v6
	s_andn2_b64 exec, exec, s[34:35]
	s_cbranch_execnz .LBB53_68
	s_branch .LBB53_56
.LBB53_69:                              ;   in Loop: Header=BB53_10 Depth=1
	s_and_saveexec_b64 s[6:7], s[0:1]
	s_cbranch_execz .LBB53_9
; %bb.70:                               ;   in Loop: Header=BB53_10 Depth=1
	s_mov_b64 s[34:35], 0
	v_mov_b32_e32 v5, v21
	v_mov_b32_e32 v6, v0
	s_branch .LBB53_73
.LBB53_71:                              ;   in Loop: Header=BB53_73 Depth=2
	v_ashrrev_i32_e32 v4, 31, v3
	ds_read_b64 v[7:8], v5
	v_lshlrev_b64 v[3:4], 3, v[3:4]
	v_mov_b32_e32 v9, s23
	v_add_co_u32_e32 v3, vcc, s22, v3
	v_addc_co_u32_e32 v4, vcc, v9, v4, vcc
	s_waitcnt lgkmcnt(0)
	global_store_dwordx2 v[3:4], v[7:8], off
.LBB53_72:                              ;   in Loop: Header=BB53_73 Depth=2
	s_or_b64 exec, exec, s[36:37]
	v_add_u32_e32 v6, 2, v6
	v_cmp_le_i32_e32 vcc, s46, v6
	s_or_b64 s[34:35], vcc, s[34:35]
	v_add_u32_e32 v5, 16, v5
	s_andn2_b64 exec, exec, s[34:35]
	s_cbranch_execz .LBB53_9
.LBB53_73:                              ;   Parent Loop BB53_10 Depth=1
                                        ; =>  This Inner Loop Header: Depth=2
	s_and_saveexec_b64 s[36:37], s[2:3]
	s_cbranch_execz .LBB53_72
; %bb.74:                               ;   in Loop: Header=BB53_73 Depth=2
	s_mov_b64 s[38:39], -1
	s_and_b64 vcc, exec, s[26:27]
                                        ; implicit-def: $vgpr3
	s_cbranch_vccz .LBB53_76
; %bb.75:                               ;   in Loop: Header=BB53_73 Depth=2
	v_add_u32_e32 v3, s31, v6
	v_mad_u64_u32 v[3:4], s[38:39], v3, s46, v[1:2]
	s_mov_b64 s[38:39], 0
.LBB53_76:                              ;   in Loop: Header=BB53_73 Depth=2
	s_andn2_b64 vcc, exec, s[38:39]
	s_cbranch_vccnz .LBB53_71
; %bb.77:                               ;   in Loop: Header=BB53_73 Depth=2
	v_add_u32_e32 v3, v18, v6
	s_branch .LBB53_71
.LBB53_78:                              ;   in Loop: Header=BB53_10 Depth=1
                                        ; implicit-def: $sgpr30
                                        ; implicit-def: $vgpr18
	s_cbranch_execz .LBB53_10
.LBB53_79:
	v_cmp_gt_i32_e64 s[0:1], s46, v0
	s_and_saveexec_b64 s[4:5], s[0:1]
	s_cbranch_execz .LBB53_92
; %bb.80:
	s_mul_i32 s26, s33, s46
	v_add_u32_e32 v2, s26, v1
	v_mul_lo_u32 v5, v2, s46
	s_cmp_lg_u32 s47, 0
	v_mul_u32_u24_e32 v2, 0x108, v1
	s_movk_i32 s8, 0x2100
	s_cselect_b64 s[6:7], -1, 0
	v_cmp_gt_i32_e64 s[2:3], s46, v1
	v_add3_u32 v6, v2, v11, s8
	s_mov_b64 s[8:9], 0
	v_mov_b32_e32 v7, v0
	s_branch .LBB53_82
.LBB53_81:                              ;   in Loop: Header=BB53_82 Depth=1
	s_or_b64 exec, exec, s[18:19]
	v_add_u32_e32 v7, 2, v7
	v_cmp_le_i32_e32 vcc, s46, v7
	s_waitcnt vmcnt(0)
	ds_write_b64 v6, v[3:4]
	s_or_b64 s[8:9], vcc, s[8:9]
	v_add_u32_e32 v6, 16, v6
	s_andn2_b64 exec, exec, s[8:9]
	s_cbranch_execz .LBB53_92
.LBB53_82:                              ; =>This Inner Loop Header: Depth=1
	s_and_b64 vcc, exec, s[6:7]
	s_cbranch_vccz .LBB53_89
; %bb.83:                               ;   in Loop: Header=BB53_82 Depth=1
	s_mov_b64 s[18:19], 0
	s_mov_b64 s[16:17], 0
                                        ; implicit-def: $vgpr2
	s_and_saveexec_b64 s[24:25], s[2:3]
	s_xor_b64 s[24:25], exec, s[24:25]
; %bb.84:                               ;   in Loop: Header=BB53_82 Depth=1
	v_add_u32_e32 v2, s26, v7
	s_mov_b64 s[16:17], exec
	v_mad_u64_u32 v[2:3], s[28:29], v2, s46, v[1:2]
; %bb.85:                               ;   in Loop: Header=BB53_82 Depth=1
	s_or_b64 exec, exec, s[24:25]
	s_and_b64 vcc, exec, s[18:19]
	s_cbranch_vccz .LBB53_90
.LBB53_86:                              ;   in Loop: Header=BB53_82 Depth=1
                                        ; implicit-def: $vgpr2
	s_and_saveexec_b64 s[18:19], s[2:3]
; %bb.87:                               ;   in Loop: Header=BB53_82 Depth=1
	v_add_u32_e32 v2, v5, v7
	s_or_b64 s[16:17], s[16:17], exec
; %bb.88:                               ;   in Loop: Header=BB53_82 Depth=1
	s_or_b64 exec, exec, s[18:19]
	v_mov_b32_e32 v3, 0
	v_mov_b32_e32 v4, 0
	s_and_saveexec_b64 s[18:19], s[16:17]
	s_cbranch_execz .LBB53_81
	s_branch .LBB53_91
.LBB53_89:                              ;   in Loop: Header=BB53_82 Depth=1
	s_mov_b64 s[16:17], 0
                                        ; implicit-def: $vgpr2
	s_cbranch_execnz .LBB53_86
.LBB53_90:                              ;   in Loop: Header=BB53_82 Depth=1
	v_mov_b32_e32 v3, 0
	v_mov_b32_e32 v4, 0
	s_and_saveexec_b64 s[18:19], s[16:17]
	s_cbranch_execz .LBB53_81
.LBB53_91:                              ;   in Loop: Header=BB53_82 Depth=1
	v_ashrrev_i32_e32 v3, 31, v2
	v_lshlrev_b64 v[2:3], 3, v[2:3]
	v_mov_b32_e32 v4, s23
	v_add_co_u32_e32 v2, vcc, s22, v2
	v_addc_co_u32_e32 v3, vcc, v4, v3, vcc
	global_load_dwordx2 v[3:4], v[2:3], off
	s_branch .LBB53_81
.LBB53_92:
	s_or_b64 exec, exec, s[4:5]
	s_cmp_lt_i32 s46, 1
	s_waitcnt lgkmcnt(0)
	s_cbranch_scc1 .LBB53_111
; %bb.93:
	v_or_b32_e32 v4, v0, v1
	s_movk_i32 s4, 0x108
	v_mov_b32_e32 v2, 0x2100
	v_cmp_ne_u32_e64 s[2:3], 0, v4
	v_mov_b32_e32 v4, 0x4200
	v_mad_u32_u24 v6, v1, s4, v2
	v_mul_u32_u24_e32 v3, 0x108, v1
	s_movk_i32 s5, 0x4200
	v_mad_u32_u24 v7, v1, s4, v4
	s_mov_b32 s18, 0
	s_add_i32 s19, s20, s21
	v_add_u32_e32 v8, v6, v12
	v_add_u32_e32 v9, v7, v12
	v_add3_u32 v10, v3, v11, s5
	v_mad_u32_u24 v12, v0, s4, v2
	s_mov_b32 s24, 0xf800000
	v_mov_b32_e32 v13, 0x260
	v_mov_b32_e32 v3, 0
	s_branch .LBB53_95
.LBB53_94:                              ;   in Loop: Header=BB53_95 Depth=1
	s_or_b64 exec, exec, s[4:5]
	s_add_i32 s18, s18, 1
	s_cmp_eq_u32 s18, s46
	v_add_u32_e32 v12, 8, v12
	s_waitcnt lgkmcnt(0)
	s_cbranch_scc1 .LBB53_111
.LBB53_95:                              ; =>This Loop Header: Depth=1
                                        ;     Child Loop BB53_110 Depth 2
	v_cmp_eq_u32_e32 vcc, s18, v1
	s_and_saveexec_b64 s[6:7], vcc
	s_cbranch_execz .LBB53_103
; %bb.96:                               ;   in Loop: Header=BB53_95 Depth=1
	ds_read_b64 v[4:5], v8
	ds_read_b64 v[14:15], v9
	s_waitcnt lgkmcnt(0)
	v_sub_f32_e32 v2, v4, v14
	v_sub_f32_e32 v14, v5, v15
	v_cmp_gt_f32_e32 vcc, 0, v2
	v_cndmask_b32_e64 v2, v2, -v2, vcc
	v_cmp_gt_f32_e32 vcc, 0, v14
	v_cndmask_b32_e64 v4, v14, -v14, vcc
	v_cmp_ngt_f32_e32 vcc, v2, v4
                                        ; implicit-def: $vgpr5
	s_and_saveexec_b64 s[4:5], vcc
	s_xor_b64 s[8:9], exec, s[4:5]
	s_cbranch_execz .LBB53_100
; %bb.97:                               ;   in Loop: Header=BB53_95 Depth=1
	v_mov_b32_e32 v5, 0
	v_cmp_neq_f32_e32 vcc, 0, v14
	s_and_saveexec_b64 s[16:17], vcc
	s_cbranch_execz .LBB53_99
; %bb.98:                               ;   in Loop: Header=BB53_95 Depth=1
	v_div_scale_f32 v5, s[4:5], v4, v4, v2
	v_div_scale_f32 v14, vcc, v2, v4, v2
	v_rcp_f32_e32 v15, v5
	v_fma_f32 v16, -v5, v15, 1.0
	v_fmac_f32_e32 v15, v16, v15
	v_mul_f32_e32 v16, v14, v15
	v_fma_f32 v17, -v5, v16, v14
	v_fmac_f32_e32 v16, v17, v15
	v_fma_f32 v5, -v5, v16, v14
	v_div_fmas_f32 v5, v5, v15, v16
	v_div_fixup_f32 v2, v5, v4, v2
	v_fma_f32 v2, v2, v2, 1.0
	v_mul_f32_e32 v5, 0x4f800000, v2
	v_cmp_gt_f32_e32 vcc, s24, v2
	v_cndmask_b32_e32 v2, v2, v5, vcc
	v_sqrt_f32_e32 v5, v2
	v_add_u32_e32 v14, -1, v5
	v_add_u32_e32 v15, 1, v5
	v_fma_f32 v16, -v14, v5, v2
	v_fma_f32 v17, -v15, v5, v2
	v_cmp_ge_f32_e64 s[4:5], 0, v16
	v_cndmask_b32_e64 v5, v5, v14, s[4:5]
	v_cmp_lt_f32_e64 s[4:5], 0, v17
	v_cndmask_b32_e64 v5, v5, v15, s[4:5]
	v_mul_f32_e32 v14, 0x37800000, v5
	v_cndmask_b32_e32 v5, v5, v14, vcc
	v_cmp_class_f32_e32 vcc, v2, v13
	v_cndmask_b32_e32 v2, v5, v2, vcc
	v_mul_f32_e32 v5, v4, v2
.LBB53_99:                              ;   in Loop: Header=BB53_95 Depth=1
	s_or_b64 exec, exec, s[16:17]
                                        ; implicit-def: $vgpr2
                                        ; implicit-def: $vgpr4
.LBB53_100:                             ;   in Loop: Header=BB53_95 Depth=1
	s_andn2_saveexec_b64 s[8:9], s[8:9]
	s_cbranch_execz .LBB53_102
; %bb.101:                              ;   in Loop: Header=BB53_95 Depth=1
	v_div_scale_f32 v5, s[4:5], v2, v2, v4
	v_div_scale_f32 v14, vcc, v4, v2, v4
	v_rcp_f32_e32 v15, v5
	v_fma_f32 v16, -v5, v15, 1.0
	v_fmac_f32_e32 v15, v16, v15
	v_mul_f32_e32 v16, v14, v15
	v_fma_f32 v17, -v5, v16, v14
	v_fmac_f32_e32 v16, v17, v15
	v_fma_f32 v5, -v5, v16, v14
	v_div_fmas_f32 v5, v5, v15, v16
	v_div_fixup_f32 v4, v5, v2, v4
	v_fma_f32 v4, v4, v4, 1.0
	v_mul_f32_e32 v5, 0x4f800000, v4
	v_cmp_gt_f32_e32 vcc, s24, v4
	v_cndmask_b32_e32 v4, v4, v5, vcc
	v_sqrt_f32_e32 v5, v4
	v_add_u32_e32 v14, -1, v5
	v_add_u32_e32 v15, 1, v5
	v_fma_f32 v16, -v14, v5, v4
	v_fma_f32 v17, -v15, v5, v4
	v_cmp_ge_f32_e64 s[4:5], 0, v16
	v_cndmask_b32_e64 v5, v5, v14, s[4:5]
	v_cmp_lt_f32_e64 s[4:5], 0, v17
	v_cndmask_b32_e64 v5, v5, v15, s[4:5]
	v_mul_f32_e32 v14, 0x37800000, v5
	v_cndmask_b32_e32 v5, v5, v14, vcc
	v_cmp_class_f32_e32 vcc, v4, v13
	v_cndmask_b32_e32 v4, v5, v4, vcc
	v_mul_f32_e32 v5, v2, v4
.LBB53_102:                             ;   in Loop: Header=BB53_95 Depth=1
	s_or_b64 exec, exec, s[8:9]
	v_mul_f32_e32 v2, 0x4f800000, v5
	v_cmp_gt_f32_e32 vcc, s24, v5
	v_cndmask_b32_e32 v2, v5, v2, vcc
	v_sqrt_f32_e32 v4, v2
	v_add_u32_e32 v5, -1, v4
	v_fma_f32 v15, -v5, v4, v2
	v_add_u32_e32 v14, 1, v4
	v_cmp_ge_f32_e64 s[4:5], 0, v15
	v_cndmask_b32_e64 v5, v4, v5, s[4:5]
	v_fma_f32 v4, -v14, v4, v2
	v_cmp_lt_f32_e64 s[4:5], 0, v4
	v_cndmask_b32_e64 v4, v5, v14, s[4:5]
	v_mul_f32_e32 v5, 0x37800000, v4
	v_cndmask_b32_e32 v4, v4, v5, vcc
	v_cmp_class_f32_e32 vcc, v2, v13
	v_cndmask_b32_e32 v2, v4, v2, vcc
	ds_write_b64 v8, v[2:3]
.LBB53_103:                             ;   in Loop: Header=BB53_95 Depth=1
	s_or_b64 exec, exec, s[6:7]
	s_lshl_b32 s4, s18, 3
	s_mul_i32 s5, s18, 0x108
	s_add_i32 s5, s5, s4
	v_mov_b32_e32 v2, s5
	s_waitcnt lgkmcnt(0)
	ds_read_b64 v[14:15], v2 offset:8448
	v_add_u32_e32 v2, s4, v6
	ds_read_b64 v[4:5], v2
	s_waitcnt lgkmcnt(1)
	v_cmp_neq_f32_e32 vcc, 0, v14
	v_cmp_neq_f32_e64 s[4:5], 0, v15
	s_or_b64 vcc, vcc, s[4:5]
	v_cndmask_b32_e32 v15, 0, v15, vcc
	s_nor_b64 s[6:7], vcc, s[2:3]
	v_cndmask_b32_e32 v14, 1.0, v14, vcc
	s_and_saveexec_b64 s[4:5], s[6:7]
	s_cbranch_execz .LBB53_107
; %bb.104:                              ;   in Loop: Header=BB53_95 Depth=1
	v_mbcnt_lo_u32_b32 v14, exec_lo, 0
	v_mbcnt_hi_u32_b32 v14, exec_hi, v14
	v_cmp_eq_u32_e32 vcc, 0, v14
	s_and_saveexec_b64 s[6:7], vcc
	s_cbranch_execz .LBB53_106
; %bb.105:                              ;   in Loop: Header=BB53_95 Depth=1
	v_mov_b32_e32 v14, s19
	global_atomic_smin v3, v14, s[14:15]
.LBB53_106:                             ;   in Loop: Header=BB53_95 Depth=1
	s_or_b64 exec, exec, s[6:7]
	v_mov_b32_e32 v14, 1.0
	v_mov_b32_e32 v15, 0
.LBB53_107:                             ;   in Loop: Header=BB53_95 Depth=1
	s_or_b64 exec, exec, s[4:5]
	v_cmp_lt_u32_e32 vcc, s18, v1
	s_and_saveexec_b64 s[4:5], vcc
	s_cbranch_execz .LBB53_94
; %bb.108:                              ;   in Loop: Header=BB53_95 Depth=1
	v_mul_f32_e32 v18, v15, v15
	v_fmac_f32_e32 v18, v14, v14
	v_div_scale_f32 v16, s[6:7], v18, v18, 1.0
	v_div_scale_f32 v17, vcc, 1.0, v18, 1.0
	v_rcp_f32_e32 v19, v16
	v_fma_f32 v20, -v16, v19, 1.0
	v_fmac_f32_e32 v19, v20, v19
	v_mul_f32_e32 v20, v17, v19
	v_fma_f32 v21, -v16, v20, v17
	v_fmac_f32_e32 v20, v21, v19
	v_fma_f32 v16, -v16, v20, v17
	v_div_fmas_f32 v19, v16, v19, v20
	v_lshl_add_u32 v16, s18, 3, v7
	ds_read_b64 v[16:17], v16
	s_waitcnt lgkmcnt(0)
	v_sub_f32_e32 v4, v4, v16
	v_sub_f32_e32 v5, v5, v17
	v_mul_f32_e32 v16, v15, v5
	v_mul_f32_e64 v15, v15, -v4
	v_fmac_f32_e32 v16, v4, v14
	v_fmac_f32_e32 v15, v5, v14
	v_div_fixup_f32 v5, v19, v18, 1.0
	v_mul_f32_e32 v4, v5, v16
	v_mul_f32_e32 v5, v5, v15
	ds_write_b64 v2, v[4:5]
	s_waitcnt lgkmcnt(0)
	s_and_b64 exec, exec, s[0:1]
	s_cbranch_execz .LBB53_94
; %bb.109:                              ;   in Loop: Header=BB53_95 Depth=1
	s_mov_b64 s[6:7], 0
	v_mov_b32_e32 v2, v12
	v_mov_b32_e32 v14, v10
	;; [unrolled: 1-line block ×3, first 2 shown]
.LBB53_110:                             ;   Parent Loop BB53_95 Depth=1
                                        ; =>  This Inner Loop Header: Depth=2
	ds_read_b64 v[16:17], v2
	ds_read_b64 v[18:19], v14
	v_add_u32_e32 v15, 2, v15
	v_cmp_le_i32_e32 vcc, s46, v15
	s_or_b64 s[6:7], vcc, s[6:7]
	v_add_u32_e32 v2, 0x210, v2
	s_waitcnt lgkmcnt(0)
	v_fma_f32 v18, v4, v16, v18
	v_fmac_f32_e32 v19, v5, v16
	v_fmac_f32_e32 v18, v5, v17
	v_fma_f32 v19, v4, -v17, v19
	ds_write_b64 v14, v[18:19]
	v_add_u32_e32 v14, 16, v14
	s_andn2_b64 exec, exec, s[6:7]
	s_cbranch_execnz .LBB53_110
	s_branch .LBB53_94
.LBB53_111:
	s_and_saveexec_b64 s[2:3], s[0:1]
	s_cbranch_execz .LBB53_120
; %bb.112:
	s_mul_i32 s33, s33, s46
	v_add_u32_e32 v2, s33, v1
	v_mul_lo_u32 v4, v2, s46
	s_cmp_lg_u32 s47, 0
	v_mul_u32_u24_e32 v2, 0x108, v1
	s_movk_i32 s6, 0x2100
	v_cmp_gt_i32_e64 s[0:1], s46, v1
	s_cselect_b64 s[4:5], -1, 0
	v_add3_u32 v5, v2, v11, s6
	s_mov_b64 s[6:7], 0
	v_mov_b32_e32 v6, v0
	s_branch .LBB53_116
.LBB53_113:                             ;   in Loop: Header=BB53_116 Depth=1
	v_add_u32_e32 v2, v4, v6
.LBB53_114:                             ;   in Loop: Header=BB53_116 Depth=1
	v_ashrrev_i32_e32 v3, 31, v2
	ds_read_b64 v[7:8], v5
	v_lshlrev_b64 v[2:3], 3, v[2:3]
	v_mov_b32_e32 v9, s23
	v_add_co_u32_e32 v2, vcc, s22, v2
	v_addc_co_u32_e32 v3, vcc, v9, v3, vcc
	s_waitcnt lgkmcnt(0)
	global_store_dwordx2 v[2:3], v[7:8], off
.LBB53_115:                             ;   in Loop: Header=BB53_116 Depth=1
	s_or_b64 exec, exec, s[8:9]
	v_add_u32_e32 v6, 2, v6
	v_cmp_le_i32_e32 vcc, s46, v6
	s_or_b64 s[6:7], vcc, s[6:7]
	v_add_u32_e32 v5, 16, v5
	s_andn2_b64 exec, exec, s[6:7]
	s_cbranch_execz .LBB53_120
.LBB53_116:                             ; =>This Inner Loop Header: Depth=1
	s_and_saveexec_b64 s[8:9], s[0:1]
	s_cbranch_execz .LBB53_115
; %bb.117:                              ;   in Loop: Header=BB53_116 Depth=1
	s_and_b64 vcc, exec, s[4:5]
	s_cbranch_vccz .LBB53_119
; %bb.118:                              ;   in Loop: Header=BB53_116 Depth=1
	v_add_u32_e32 v2, s33, v6
	v_mad_u64_u32 v[2:3], s[16:17], v2, s46, v[1:2]
	s_cbranch_execnz .LBB53_114
	s_branch .LBB53_113
.LBB53_119:                             ;   in Loop: Header=BB53_116 Depth=1
                                        ; implicit-def: $vgpr2
	s_branch .LBB53_113
.LBB53_120:
	s_or_b64 exec, exec, s[2:3]
	v_or_b32_e32 v2, v0, v1
	v_cmp_eq_u32_e32 vcc, 0, v2
	s_and_saveexec_b64 s[0:1], vcc
	s_cbranch_execz .LBB53_122
; %bb.121:
	s_add_u32 s2, s10, s12
	s_addc_u32 s3, s11, s13
	v_mov_b32_e32 v2, 0
	v_mov_b32_e32 v3, 1
	s_waitcnt vmcnt(0)
	global_store_dword v2, v3, s[2:3]
.LBB53_122:
	s_or_b64 exec, exec, s[0:1]
.LBB53_123:
	s_endpgm
.LBB53_124:
	s_cbranch_execz .LBB53_123
; %bb.125:
	v_or_b32_e32 v0, v0, v1
	v_cmp_eq_u32_e32 vcc, 0, v0
	s_and_saveexec_b64 s[0:1], vcc
	s_cbranch_execz .LBB53_123
; %bb.126:
	v_mbcnt_lo_u32_b32 v0, exec_lo, 0
	v_mbcnt_hi_u32_b32 v0, exec_hi, v0
	v_cmp_eq_u32_e32 vcc, 0, v0
	s_and_saveexec_b64 s[0:1], vcc
	s_cbranch_execz .LBB53_128
; %bb.127:
	s_add_i32 s2, s20, s21
	v_mov_b32_e32 v0, 0
	v_mov_b32_e32 v1, s2
	global_atomic_smin v0, v1, s[14:15]
.LBB53_128:
	s_or_b64 exec, exec, s[0:1]
	s_add_u32 s0, s10, s12
	s_addc_u32 s1, s11, s13
	v_mov_b32_e32 v0, 0
	v_mov_b32_e32 v1, 1
	s_waitcnt vmcnt(0)
	global_store_dword v0, v1, s[0:1]
	s_endpgm
	.section	.rodata,"a",@progbits
	.p2align	6, 0x0
	.amdhsa_kernel _ZN9rocsparseL19bsric0_17_32_kernelILi64ELi64ELi32E21rocsparse_complex_numIfEEEv20rocsparse_direction_iiPKiS5_PT2_S5_PiS5_S8_21rocsparse_index_base_
		.amdhsa_group_segment_fixed_size 26112
		.amdhsa_private_segment_fixed_size 0
		.amdhsa_kernarg_size 76
		.amdhsa_user_sgpr_count 6
		.amdhsa_user_sgpr_private_segment_buffer 1
		.amdhsa_user_sgpr_dispatch_ptr 0
		.amdhsa_user_sgpr_queue_ptr 0
		.amdhsa_user_sgpr_kernarg_segment_ptr 1
		.amdhsa_user_sgpr_dispatch_id 0
		.amdhsa_user_sgpr_flat_scratch_init 0
		.amdhsa_user_sgpr_private_segment_size 0
		.amdhsa_uses_dynamic_stack 0
		.amdhsa_system_sgpr_private_segment_wavefront_offset 0
		.amdhsa_system_sgpr_workgroup_id_x 1
		.amdhsa_system_sgpr_workgroup_id_y 0
		.amdhsa_system_sgpr_workgroup_id_z 0
		.amdhsa_system_sgpr_workgroup_info 0
		.amdhsa_system_vgpr_workitem_id 1
		.amdhsa_next_free_vgpr 129
		.amdhsa_next_free_sgpr 98
		.amdhsa_reserve_vcc 1
		.amdhsa_reserve_flat_scratch 0
		.amdhsa_float_round_mode_32 0
		.amdhsa_float_round_mode_16_64 0
		.amdhsa_float_denorm_mode_32 3
		.amdhsa_float_denorm_mode_16_64 3
		.amdhsa_dx10_clamp 1
		.amdhsa_ieee_mode 1
		.amdhsa_fp16_overflow 0
		.amdhsa_exception_fp_ieee_invalid_op 0
		.amdhsa_exception_fp_denorm_src 0
		.amdhsa_exception_fp_ieee_div_zero 0
		.amdhsa_exception_fp_ieee_overflow 0
		.amdhsa_exception_fp_ieee_underflow 0
		.amdhsa_exception_fp_ieee_inexact 0
		.amdhsa_exception_int_div_zero 0
	.end_amdhsa_kernel
	.section	.text._ZN9rocsparseL19bsric0_17_32_kernelILi64ELi64ELi32E21rocsparse_complex_numIfEEEv20rocsparse_direction_iiPKiS5_PT2_S5_PiS5_S8_21rocsparse_index_base_,"axG",@progbits,_ZN9rocsparseL19bsric0_17_32_kernelILi64ELi64ELi32E21rocsparse_complex_numIfEEEv20rocsparse_direction_iiPKiS5_PT2_S5_PiS5_S8_21rocsparse_index_base_,comdat
.Lfunc_end53:
	.size	_ZN9rocsparseL19bsric0_17_32_kernelILi64ELi64ELi32E21rocsparse_complex_numIfEEEv20rocsparse_direction_iiPKiS5_PT2_S5_PiS5_S8_21rocsparse_index_base_, .Lfunc_end53-_ZN9rocsparseL19bsric0_17_32_kernelILi64ELi64ELi32E21rocsparse_complex_numIfEEEv20rocsparse_direction_iiPKiS5_PT2_S5_PiS5_S8_21rocsparse_index_base_
                                        ; -- End function
	.set _ZN9rocsparseL19bsric0_17_32_kernelILi64ELi64ELi32E21rocsparse_complex_numIfEEEv20rocsparse_direction_iiPKiS5_PT2_S5_PiS5_S8_21rocsparse_index_base_.num_vgpr, 29
	.set _ZN9rocsparseL19bsric0_17_32_kernelILi64ELi64ELi32E21rocsparse_complex_numIfEEEv20rocsparse_direction_iiPKiS5_PT2_S5_PiS5_S8_21rocsparse_index_base_.num_agpr, 0
	.set _ZN9rocsparseL19bsric0_17_32_kernelILi64ELi64ELi32E21rocsparse_complex_numIfEEEv20rocsparse_direction_iiPKiS5_PT2_S5_PiS5_S8_21rocsparse_index_base_.numbered_sgpr, 56
	.set _ZN9rocsparseL19bsric0_17_32_kernelILi64ELi64ELi32E21rocsparse_complex_numIfEEEv20rocsparse_direction_iiPKiS5_PT2_S5_PiS5_S8_21rocsparse_index_base_.num_named_barrier, 0
	.set _ZN9rocsparseL19bsric0_17_32_kernelILi64ELi64ELi32E21rocsparse_complex_numIfEEEv20rocsparse_direction_iiPKiS5_PT2_S5_PiS5_S8_21rocsparse_index_base_.private_seg_size, 0
	.set _ZN9rocsparseL19bsric0_17_32_kernelILi64ELi64ELi32E21rocsparse_complex_numIfEEEv20rocsparse_direction_iiPKiS5_PT2_S5_PiS5_S8_21rocsparse_index_base_.uses_vcc, 1
	.set _ZN9rocsparseL19bsric0_17_32_kernelILi64ELi64ELi32E21rocsparse_complex_numIfEEEv20rocsparse_direction_iiPKiS5_PT2_S5_PiS5_S8_21rocsparse_index_base_.uses_flat_scratch, 0
	.set _ZN9rocsparseL19bsric0_17_32_kernelILi64ELi64ELi32E21rocsparse_complex_numIfEEEv20rocsparse_direction_iiPKiS5_PT2_S5_PiS5_S8_21rocsparse_index_base_.has_dyn_sized_stack, 0
	.set _ZN9rocsparseL19bsric0_17_32_kernelILi64ELi64ELi32E21rocsparse_complex_numIfEEEv20rocsparse_direction_iiPKiS5_PT2_S5_PiS5_S8_21rocsparse_index_base_.has_recursion, 0
	.set _ZN9rocsparseL19bsric0_17_32_kernelILi64ELi64ELi32E21rocsparse_complex_numIfEEEv20rocsparse_direction_iiPKiS5_PT2_S5_PiS5_S8_21rocsparse_index_base_.has_indirect_call, 0
	.section	.AMDGPU.csdata,"",@progbits
; Kernel info:
; codeLenInByte = 4196
; TotalNumSgprs: 60
; NumVgprs: 29
; ScratchSize: 0
; MemoryBound: 0
; FloatMode: 240
; IeeeMode: 1
; LDSByteSize: 26112 bytes/workgroup (compile time only)
; SGPRBlocks: 12
; VGPRBlocks: 32
; NumSGPRsForWavesPerEU: 102
; NumVGPRsForWavesPerEU: 129
; Occupancy: 1
; WaveLimiterHint : 1
; COMPUTE_PGM_RSRC2:SCRATCH_EN: 0
; COMPUTE_PGM_RSRC2:USER_SGPR: 6
; COMPUTE_PGM_RSRC2:TRAP_HANDLER: 0
; COMPUTE_PGM_RSRC2:TGID_X_EN: 1
; COMPUTE_PGM_RSRC2:TGID_Y_EN: 0
; COMPUTE_PGM_RSRC2:TGID_Z_EN: 0
; COMPUTE_PGM_RSRC2:TIDIG_COMP_CNT: 1
	.section	.text._ZN9rocsparseL17bsric0_2_8_kernelILi64ELi128ELi8E21rocsparse_complex_numIfEEEv20rocsparse_direction_iiPKiS5_PT2_S5_PiS5_S8_21rocsparse_index_base_,"axG",@progbits,_ZN9rocsparseL17bsric0_2_8_kernelILi64ELi128ELi8E21rocsparse_complex_numIfEEEv20rocsparse_direction_iiPKiS5_PT2_S5_PiS5_S8_21rocsparse_index_base_,comdat
	.globl	_ZN9rocsparseL17bsric0_2_8_kernelILi64ELi128ELi8E21rocsparse_complex_numIfEEEv20rocsparse_direction_iiPKiS5_PT2_S5_PiS5_S8_21rocsparse_index_base_ ; -- Begin function _ZN9rocsparseL17bsric0_2_8_kernelILi64ELi128ELi8E21rocsparse_complex_numIfEEEv20rocsparse_direction_iiPKiS5_PT2_S5_PiS5_S8_21rocsparse_index_base_
	.p2align	8
	.type	_ZN9rocsparseL17bsric0_2_8_kernelILi64ELi128ELi8E21rocsparse_complex_numIfEEEv20rocsparse_direction_iiPKiS5_PT2_S5_PiS5_S8_21rocsparse_index_base_,@function
_ZN9rocsparseL17bsric0_2_8_kernelILi64ELi128ELi8E21rocsparse_complex_numIfEEEv20rocsparse_direction_iiPKiS5_PT2_S5_PiS5_S8_21rocsparse_index_base_: ; @_ZN9rocsparseL17bsric0_2_8_kernelILi64ELi128ELi8E21rocsparse_complex_numIfEEEv20rocsparse_direction_iiPKiS5_PT2_S5_PiS5_S8_21rocsparse_index_base_
; %bb.0:
	s_load_dwordx8 s[12:19], s[4:5], 0x28
	s_mov_b32 s7, 0
	s_lshl_b64 s[0:1], s[6:7], 2
	s_waitcnt lgkmcnt(0)
	s_add_u32 s0, s16, s0
	s_addc_u32 s1, s17, s1
	s_load_dword s16, s[0:1], 0x0
	s_waitcnt lgkmcnt(0)
	s_ashr_i32 s17, s16, 31
	s_lshl_b64 s[10:11], s[16:17], 2
	s_add_u32 s0, s12, s10
	s_addc_u32 s1, s13, s11
	s_load_dword s40, s[0:1], 0x0
	s_load_dword s17, s[4:5], 0x48
	s_waitcnt lgkmcnt(0)
	s_cmp_lg_u32 s40, -1
	s_cbranch_scc0 .LBB54_82
; %bb.1:
	s_load_dwordx4 s[20:23], s[4:5], 0x10
	s_load_dwordx2 s[24:25], s[4:5], 0x20
	v_lshlrev_b32_e32 v13, 3, v1
	s_waitcnt lgkmcnt(0)
	s_add_u32 s0, s20, s10
	s_addc_u32 s1, s21, s11
	s_load_dword s0, s[0:1], 0x0
	s_waitcnt lgkmcnt(0)
	s_sub_i32 s41, s0, s17
	v_add3_u32 v2, v13, v0, s41
	v_cmp_ge_i32_e32 vcc, s40, v2
	s_and_saveexec_b64 s[0:1], vcc
	s_cbranch_execz .LBB54_4
; %bb.2:
	v_lshlrev_b32_e32 v3, 5, v1
	v_lshlrev_b32_e32 v4, 2, v0
	s_movk_i32 s2, 0xd00
	v_add3_u32 v5, v3, v4, s2
	v_ashrrev_i32_e32 v3, 31, v2
	v_lshlrev_b64 v[3:4], 2, v[2:3]
	v_mov_b32_e32 v6, s23
	v_add_co_u32_e32 v3, vcc, s22, v3
	v_addc_co_u32_e32 v4, vcc, v6, v4, vcc
	s_mov_b64 s[2:3], 0
.LBB54_3:                               ; =>This Inner Loop Header: Depth=1
	global_load_dword v6, v[3:4], off
	v_add_co_u32_e32 v3, vcc, 0x100, v3
	v_add_u32_e32 v2, 64, v2
	v_addc_co_u32_e32 v4, vcc, 0, v4, vcc
	v_cmp_lt_i32_e32 vcc, s40, v2
	s_or_b64 s[2:3], vcc, s[2:3]
	s_waitcnt vmcnt(0)
	v_subrev_u32_e32 v6, s17, v6
	ds_write_b32 v5, v6
	v_add_u32_e32 v5, 0x100, v5
	s_andn2_b64 exec, exec, s[2:3]
	s_cbranch_execnz .LBB54_3
.LBB54_4:
	s_or_b64 exec, exec, s[0:1]
	s_load_dword s42, s[4:5], 0x0
	s_load_dword s33, s[4:5], 0x8
	s_movk_i32 s6, 0x48
	v_mov_b32_e32 v2, 0x6c0
	v_mad_u32_u24 v14, v1, s6, v2
	v_mov_b32_e32 v2, 0
	v_lshl_add_u32 v12, v0, 3, v14
	v_mov_b32_e32 v3, v2
	s_cmp_ge_i32 s41, s40
	ds_write_b64 v12, v[2:3]
	s_waitcnt lgkmcnt(0)
	s_cbranch_scc1 .LBB54_57
; %bb.5:
	s_cmp_lg_u32 s42, 0
	s_cselect_b64 s[26:27], -1, 0
	s_cmp_eq_u32 s42, 0
	v_cmp_gt_i32_e64 s[0:1], s33, v0
	v_cmp_gt_i32_e64 s[2:3], s33, v1
	s_cselect_b64 vcc, -1, 0
	s_and_b64 s[28:29], s[0:1], s[2:3]
	v_mov_b32_e32 v3, 0x480
	v_mov_b32_e32 v5, 0x240
	v_mad_u32_u24 v15, v1, s6, v3
	v_lshlrev_b32_e32 v4, 3, v0
	s_cmp_gt_i32 s33, 0
	v_mul_lo_u32 v18, s33, v0
	v_mul_lo_u32 v19, s33, v1
	v_mad_u32_u24 v20, v1, s6, v5
	v_add_u32_e32 v16, v15, v4
	v_mad_u32_u24 v17, v1, s6, v4
	v_add_u32_e32 v21, v20, v4
	v_or_b32_e32 v4, v0, v1
	v_mad_u32_u24 v22, v0, s6, v3
	s_cselect_b64 s[6:7], -1, 0
	v_cmp_ne_u32_e64 s[4:5], 0, v4
	v_cndmask_b32_e64 v4, 0, 1, s[6:7]
	s_mul_i32 s43, s33, s33
	v_cndmask_b32_e32 v3, v1, v0, vcc
	v_cndmask_b32_e32 v23, v0, v1, vcc
	v_mov_b32_e32 v24, 0
	v_cmp_ne_u32_e64 s[6:7], 1, v4
	s_mov_b32 s30, s41
	s_branch .LBB54_7
.LBB54_6:                               ;   in Loop: Header=BB54_7 Depth=1
	s_or_b64 exec, exec, s[8:9]
	s_add_i32 s30, s30, 1
	s_cmp_ge_i32 s30, s40
	s_cselect_b64 s[8:9], -1, 0
	s_waitcnt vmcnt(0)
	buffer_wbinvl1_vol
	s_and_b64 vcc, exec, s[8:9]
	s_cbranch_vccnz .LBB54_57
.LBB54_7:                               ; =>This Loop Header: Depth=1
                                        ;     Child Loop BB54_12 Depth 2
                                        ;     Child Loop BB54_23 Depth 2
	;; [unrolled: 1-line block ×4, first 2 shown]
                                        ;       Child Loop BB54_53 Depth 3
	s_ashr_i32 s31, s30, 31
	s_lshl_b64 s[8:9], s[30:31], 2
	s_add_u32 s8, s22, s8
	s_addc_u32 s9, s23, s9
	s_load_dword s31, s[8:9], 0x0
	s_waitcnt lgkmcnt(0)
	s_sub_i32 s34, s31, s17
	s_ashr_i32 s35, s34, 31
	s_lshl_b64 s[8:9], s[34:35], 2
	s_add_u32 s36, s12, s8
	s_addc_u32 s37, s13, s9
	s_load_dword s35, s[36:37], 0x0
	s_waitcnt lgkmcnt(0)
	s_cmp_eq_u32 s35, -1
	s_cbranch_scc1 .LBB54_56
; %bb.8:                                ;   in Loop: Header=BB54_7 Depth=1
	s_add_u32 s36, s20, s8
	v_mov_b32_e32 v4, 0
	s_mul_i32 s38, s30, s33
	s_addc_u32 s37, s21, s9
	v_add_u32_e32 v25, s38, v23
	v_mov_b32_e32 v5, v4
	s_and_saveexec_b64 s[38:39], s[28:29]
	s_cbranch_execz .LBB54_10
; %bb.9:                                ;   in Loop: Header=BB54_7 Depth=1
	v_mad_u64_u32 v[4:5], s[44:45], v25, s33, v[3:4]
	v_mov_b32_e32 v6, s25
	v_ashrrev_i32_e32 v5, 31, v4
	v_lshlrev_b64 v[4:5], 3, v[4:5]
	v_add_co_u32_e32 v4, vcc, s24, v4
	v_addc_co_u32_e32 v5, vcc, v6, v5, vcc
	global_load_dwordx2 v[4:5], v[4:5], off
.LBB54_10:                              ;   in Loop: Header=BB54_7 Depth=1
	s_or_b64 exec, exec, s[38:39]
	s_load_dword s36, s[36:37], 0x0
	ds_read_b32 v6, v24 offset:3328
	s_mov_b32 s37, 0
	s_waitcnt vmcnt(0)
	ds_write_b64 v16, v[4:5]
	s_waitcnt lgkmcnt(0)
	s_sub_i32 s36, s36, s17
	s_cmp_le_i32 s36, s35
	v_cmp_ge_i32_e32 vcc, s34, v6
	s_cselect_b64 s[38:39], -1, 0
	s_and_b64 s[38:39], s[38:39], vcc
	s_andn2_b64 vcc, exec, s[38:39]
	s_cbranch_vccnz .LBB54_22
; %bb.11:                               ;   in Loop: Header=BB54_7 Depth=1
	s_mov_b32 s44, 0
	s_mov_b32 s45, 0
.LBB54_12:                              ;   Parent Loop BB54_7 Depth=1
                                        ; =>  This Inner Loop Header: Depth=2
	s_ashr_i32 s37, s36, 31
	s_lshl_b64 s[38:39], s[36:37], 2
	s_add_u32 s38, s22, s38
	s_addc_u32 s39, s23, s39
	s_load_dword s37, s[38:39], 0x0
	s_lshl_b32 s38, s45, 2
	v_mov_b32_e32 v4, s38
	ds_read_b32 v4, v4 offset:3328
	s_mov_b64 s[38:39], -1
	s_waitcnt lgkmcnt(0)
	s_sub_i32 s49, s37, s17
                                        ; implicit-def: $sgpr37
                                        ; implicit-def: $sgpr48
                                        ; implicit-def: $sgpr47
	v_cmp_ge_i32_e32 vcc, s49, v4
	v_readfirstlane_b32 s46, v4
	s_cbranch_vccz .LBB54_18
; %bb.13:                               ;   in Loop: Header=BB54_12 Depth=2
	s_cmp_le_i32 s49, s46
                                        ; implicit-def: $sgpr37
                                        ; implicit-def: $sgpr48
                                        ; implicit-def: $sgpr47
	s_cbranch_scc0 .LBB54_15
; %bb.14:                               ;   in Loop: Header=BB54_12 Depth=2
	s_add_i32 s37, s45, s41
	s_mul_i32 s37, s37, s43
	s_lshl_b32 s38, s44, 2
	v_mov_b32_e32 v5, s37
	s_mul_i32 s37, s36, s43
	v_mov_b32_e32 v4, s38
	v_mov_b32_e32 v6, s37
	ds_write2st64_b32 v4, v6, v5 offset0:9 offset1:11
	s_add_i32 s47, s45, 1
	s_add_i32 s48, s36, 1
	;; [unrolled: 1-line block ×3, first 2 shown]
	s_mov_b64 s[38:39], 0
.LBB54_15:                              ;   in Loop: Header=BB54_12 Depth=2
	s_andn2_b64 vcc, exec, s[38:39]
	s_cbranch_vccnz .LBB54_17
; %bb.16:                               ;   in Loop: Header=BB54_12 Depth=2
	s_add_i32 s47, s45, 1
	s_mov_b32 s37, s44
	s_mov_b32 s48, s36
.LBB54_17:                              ;   in Loop: Header=BB54_12 Depth=2
	s_mov_b64 s[38:39], 0
.LBB54_18:                              ;   in Loop: Header=BB54_12 Depth=2
	s_andn2_b64 vcc, exec, s[38:39]
	s_cbranch_vccnz .LBB54_20
; %bb.19:                               ;   in Loop: Header=BB54_12 Depth=2
	s_add_i32 s48, s36, 1
	s_mov_b32 s47, s45
	s_mov_b32 s37, s44
.LBB54_20:                              ;   in Loop: Header=BB54_12 Depth=2
	s_cmp_le_i32 s48, s35
	s_cselect_b64 s[38:39], -1, 0
	s_cmp_le_i32 s46, s34
	s_cselect_b64 s[44:45], -1, 0
	s_and_b64 s[38:39], s[38:39], s[44:45]
	s_and_b64 vcc, exec, s[38:39]
	s_cbranch_vccz .LBB54_22
; %bb.21:                               ;   in Loop: Header=BB54_12 Depth=2
	s_mov_b32 s44, s37
	s_mov_b32 s36, s48
	;; [unrolled: 1-line block ×3, first 2 shown]
	s_branch .LBB54_12
.LBB54_22:                              ;   in Loop: Header=BB54_7 Depth=1
	s_add_u32 s8, s14, s8
	s_addc_u32 s9, s15, s9
	s_waitcnt lgkmcnt(0)
.LBB54_23:                              ;   Parent Loop BB54_7 Depth=1
                                        ; =>  This Inner Loop Header: Depth=2
	global_load_dword v4, v24, s[8:9] glc
	s_waitcnt vmcnt(0)
	v_cmp_eq_u32_e32 vcc, 0, v4
	s_cbranch_vccnz .LBB54_23
; %bb.24:                               ;   in Loop: Header=BB54_7 Depth=1
	v_mov_b32_e32 v8, 0
	v_mov_b32_e32 v4, 0
	;; [unrolled: 1-line block ×3, first 2 shown]
	buffer_wbinvl1_vol
	s_and_saveexec_b64 s[8:9], s[28:29]
	s_cbranch_execz .LBB54_26
; %bb.25:                               ;   in Loop: Header=BB54_7 Depth=1
	s_mul_i32 s35, s35, s33
	v_add_u32_e32 v4, s35, v23
	v_mad_u64_u32 v[4:5], s[34:35], v4, s33, v[3:4]
	v_mov_b32_e32 v6, s25
	v_ashrrev_i32_e32 v5, 31, v4
	v_lshlrev_b64 v[4:5], 3, v[4:5]
	v_add_co_u32_e32 v4, vcc, s24, v4
	v_addc_co_u32_e32 v5, vcc, v6, v5, vcc
	global_load_dwordx2 v[4:5], v[4:5], off
.LBB54_26:                              ;   in Loop: Header=BB54_7 Depth=1
	s_or_b64 exec, exec, s[8:9]
	s_cmp_lt_i32 s37, 2
	v_mov_b32_e32 v7, 0
	s_waitcnt vmcnt(0)
	ds_write_b64 v17, v[4:5]
	s_waitcnt lgkmcnt(0)
	s_cbranch_scc1 .LBB54_45
; %bb.27:                               ;   in Loop: Header=BB54_7 Depth=1
	s_add_i32 s34, s37, -2
	v_mov_b32_e32 v26, 0
	s_mov_b32 s35, 0
	v_mov_b32_e32 v29, 0
	s_and_b64 vcc, exec, s[6:7]
	s_cbranch_vccz .LBB54_30
	s_branch .LBB54_29
.LBB54_28:                              ;   in Loop: Header=BB54_7 Depth=1
	s_mov_b32 s35, s8
	v_mov_b32_e32 v26, v8
	v_mov_b32_e32 v29, v7
	s_and_b64 vcc, exec, s[6:7]
	s_cbranch_vccz .LBB54_30
.LBB54_29:                              ;   in Loop: Header=BB54_7 Depth=1
	v_mov_b32_e32 v8, v26
	v_mov_b32_e32 v7, v29
	s_branch .LBB54_44
.LBB54_30:                              ;   in Loop: Header=BB54_7 Depth=1
	s_lshl_b32 s8, s35, 2
	v_mov_b32_e32 v4, s8
	ds_read2st64_b32 v[5:6], v4 offset0:9 offset1:11
	s_mov_b32 s36, 0
	s_waitcnt lgkmcnt(0)
	v_add_u32_e32 v27, v5, v18
	v_add_u32_e32 v28, v6, v19
	v_add_u32_e32 v4, v1, v6
	v_add_u32_e32 v6, v0, v5
	s_mov_b64 s[8:9], -1
	s_and_b64 vcc, exec, s[26:27]
                                        ; implicit-def: $vgpr8
	s_cbranch_vccz .LBB54_37
	s_branch .LBB54_32
.LBB54_31:                              ;   in Loop: Header=BB54_37 Depth=2
	v_mov_b32_e32 v26, v8
	v_mov_b32_e32 v29, v7
	s_mov_b64 s[8:9], -1
	s_and_b64 vcc, exec, s[26:27]
                                        ; implicit-def: $vgpr8
	s_cbranch_vccz .LBB54_37
.LBB54_32:                              ;   in Loop: Header=BB54_7 Depth=1
	v_mov_b32_e32 v8, 0
	v_mov_b32_e32 v10, 0
	;; [unrolled: 1-line block ×3, first 2 shown]
	s_and_saveexec_b64 s[8:9], s[0:1]
	s_cbranch_execz .LBB54_34
; %bb.33:                               ;   in Loop: Header=BB54_7 Depth=1
	v_ashrrev_i32_e32 v7, 31, v6
	v_lshlrev_b64 v[9:10], 3, v[6:7]
	v_mov_b32_e32 v5, s25
	v_add_co_u32_e32 v9, vcc, s24, v9
	v_addc_co_u32_e32 v10, vcc, v5, v10, vcc
	global_load_dwordx2 v[10:11], v[9:10], off
.LBB54_34:                              ;   in Loop: Header=BB54_7 Depth=1
	s_or_b64 exec, exec, s[8:9]
	v_mov_b32_e32 v9, 0
	s_and_saveexec_b64 s[8:9], s[2:3]
	s_cbranch_execz .LBB54_36
; %bb.35:                               ;   in Loop: Header=BB54_7 Depth=1
	v_ashrrev_i32_e32 v5, 31, v4
	v_lshlrev_b64 v[7:8], 3, v[4:5]
	v_mov_b32_e32 v5, s25
	v_add_co_u32_e32 v7, vcc, s24, v7
	v_addc_co_u32_e32 v8, vcc, v5, v8, vcc
	global_load_dwordx2 v[8:9], v[7:8], off
.LBB54_36:                              ;   in Loop: Header=BB54_7 Depth=1
	s_or_b64 exec, exec, s[8:9]
	s_waitcnt vmcnt(0)
	v_fma_f32 v7, v10, v8, v29
	v_fma_f32 v5, v11, v8, v26
	v_fmac_f32_e32 v7, v11, v9
	v_fma_f32 v8, v10, -v9, v5
	s_mov_b64 s[8:9], 0
.LBB54_37:                              ;   Parent Loop BB54_7 Depth=1
                                        ; =>  This Inner Loop Header: Depth=2
	s_and_b64 vcc, exec, s[8:9]
	s_cbranch_vccz .LBB54_43
; %bb.38:                               ;   in Loop: Header=BB54_37 Depth=2
	v_mov_b32_e32 v7, 0
	v_mov_b32_e32 v9, 0
	;; [unrolled: 1-line block ×3, first 2 shown]
	s_and_saveexec_b64 s[8:9], s[0:1]
	s_cbranch_execz .LBB54_40
; %bb.39:                               ;   in Loop: Header=BB54_37 Depth=2
	v_add_u32_e32 v8, s36, v27
	v_ashrrev_i32_e32 v9, 31, v8
	v_lshlrev_b64 v[8:9], 3, v[8:9]
	v_mov_b32_e32 v5, s25
	v_add_co_u32_e32 v8, vcc, s24, v8
	v_addc_co_u32_e32 v9, vcc, v5, v9, vcc
	global_load_dwordx2 v[9:10], v[8:9], off
.LBB54_40:                              ;   in Loop: Header=BB54_37 Depth=2
	s_or_b64 exec, exec, s[8:9]
	v_mov_b32_e32 v8, 0
	s_and_saveexec_b64 s[8:9], s[2:3]
	s_cbranch_execz .LBB54_42
; %bb.41:                               ;   in Loop: Header=BB54_37 Depth=2
	v_add_u32_e32 v7, s36, v28
	v_ashrrev_i32_e32 v8, 31, v7
	v_lshlrev_b64 v[7:8], 3, v[7:8]
	v_mov_b32_e32 v5, s25
	v_add_co_u32_e32 v7, vcc, s24, v7
	v_addc_co_u32_e32 v8, vcc, v5, v8, vcc
	global_load_dwordx2 v[7:8], v[7:8], off
.LBB54_42:                              ;   in Loop: Header=BB54_37 Depth=2
	s_or_b64 exec, exec, s[8:9]
	s_waitcnt vmcnt(0)
	v_fmac_f32_e32 v29, v9, v7
	v_fmac_f32_e32 v29, v10, v8
	v_fmac_f32_e32 v26, v10, v7
	v_fma_f32 v8, v9, -v8, v26
	v_mov_b32_e32 v7, v29
.LBB54_43:                              ;   in Loop: Header=BB54_37 Depth=2
	s_add_i32 s36, s36, 1
	v_add_u32_e32 v4, s33, v4
	s_cmp_eq_u32 s33, s36
	v_add_u32_e32 v6, s33, v6
	s_cbranch_scc0 .LBB54_31
.LBB54_44:                              ;   in Loop: Header=BB54_7 Depth=1
	s_add_i32 s8, s35, 1
	s_cmp_eq_u32 s35, s34
	s_cbranch_scc0 .LBB54_28
.LBB54_45:                              ;   in Loop: Header=BB54_7 Depth=1
	s_and_b64 vcc, exec, s[6:7]
	ds_write_b64 v21, v[7:8]
	s_waitcnt lgkmcnt(0)
	s_cbranch_vccnz .LBB54_54
; %bb.46:                               ;   in Loop: Header=BB54_7 Depth=1
	s_mov_b32 s36, 0
	s_mov_b32 s37, 0
	s_branch .LBB54_48
.LBB54_47:                              ;   in Loop: Header=BB54_48 Depth=2
	v_mul_f32_e32 v11, v10, v10
	v_fmac_f32_e32 v11, v9, v9
	v_div_scale_f32 v26, s[8:9], v11, v11, 1.0
	v_div_scale_f32 v27, vcc, 1.0, v11, 1.0
	s_waitcnt lgkmcnt(0)
	v_sub_f32_e32 v4, v4, v6
	v_sub_f32_e32 v5, v5, v7
	v_mul_f32_e32 v7, v10, v5
	v_mul_f32_e64 v10, v10, -v4
	v_fmac_f32_e32 v7, v4, v9
	v_fmac_f32_e32 v10, v5, v9
	v_lshl_add_u32 v6, s37, 3, v22
	s_add_i32 s37, s37, 1
	s_addk_i32 s36, 0x48
	s_cmp_eq_u32 s37, s33
	v_rcp_f32_e32 v28, v26
	v_fma_f32 v29, -v26, v28, 1.0
	v_fmac_f32_e32 v28, v29, v28
	v_mul_f32_e32 v29, v27, v28
	v_fma_f32 v30, -v26, v29, v27
	v_fmac_f32_e32 v29, v30, v28
	v_fma_f32 v26, -v26, v29, v27
	v_div_fmas_f32 v26, v26, v28, v29
	v_div_fixup_f32 v5, v26, v11, 1.0
	v_mul_f32_e32 v4, v5, v7
	v_mul_f32_e32 v5, v5, v10
	ds_write_b64 v8, v[4:5]
	s_waitcnt lgkmcnt(0)
	ds_read_b64 v[6:7], v6
	ds_read_b64 v[8:9], v12
	s_waitcnt lgkmcnt(0)
	v_fma_f32 v8, v4, v6, v8
	v_fmac_f32_e32 v9, v5, v6
	v_fmac_f32_e32 v8, v5, v7
	v_fma_f32 v9, v4, -v7, v9
	ds_write_b64 v12, v[8:9]
	s_waitcnt lgkmcnt(0)
	s_cbranch_scc1 .LBB54_54
.LBB54_48:                              ;   Parent Loop BB54_7 Depth=1
                                        ; =>  This Loop Header: Depth=2
                                        ;       Child Loop BB54_53 Depth 3
	s_lshl_b32 s8, s37, 3
	s_mul_i32 s9, s37, 0x48
	s_add_i32 s9, s9, s8
	v_mov_b32_e32 v4, s9
	ds_read_b64 v[6:7], v4
	v_add_u32_e32 v8, s8, v15
	ds_read_b64 v[4:5], v8
	s_waitcnt lgkmcnt(1)
	v_cmp_neq_f32_e32 vcc, 0, v6
	v_cmp_neq_f32_e64 s[8:9], 0, v7
	s_or_b64 vcc, vcc, s[8:9]
	v_cndmask_b32_e32 v10, 0, v7, vcc
	s_nor_b64 s[34:35], vcc, s[4:5]
	v_cndmask_b32_e32 v9, 1.0, v6, vcc
	s_and_saveexec_b64 s[8:9], s[34:35]
	s_cbranch_execz .LBB54_52
; %bb.49:                               ;   in Loop: Header=BB54_48 Depth=2
	v_mbcnt_lo_u32_b32 v6, exec_lo, 0
	v_mbcnt_hi_u32_b32 v6, exec_hi, v6
	v_cmp_eq_u32_e32 vcc, 0, v6
	s_and_saveexec_b64 s[34:35], vcc
	s_cbranch_execz .LBB54_51
; %bb.50:                               ;   in Loop: Header=BB54_48 Depth=2
	v_mov_b32_e32 v6, s31
	global_atomic_smin v24, v6, s[18:19]
.LBB54_51:                              ;   in Loop: Header=BB54_48 Depth=2
	s_or_b64 exec, exec, s[34:35]
	v_mov_b32_e32 v9, 1.0
	v_mov_b32_e32 v10, 0
.LBB54_52:                              ;   in Loop: Header=BB54_48 Depth=2
	s_or_b64 exec, exec, s[8:9]
	v_lshl_add_u32 v6, s37, 3, v20
	ds_read_b64 v[6:7], v6
	s_cmp_eq_u32 s37, 0
	v_mov_b32_e32 v11, v15
	s_mov_b32 s8, s36
	s_mov_b32 s9, s37
	s_cbranch_scc1 .LBB54_47
.LBB54_53:                              ;   Parent Loop BB54_7 Depth=1
                                        ;     Parent Loop BB54_48 Depth=2
                                        ; =>    This Inner Loop Header: Depth=3
	v_mov_b32_e32 v28, s8
	ds_read_b64 v[26:27], v11
	ds_read_b64 v[28:29], v28
	s_add_i32 s9, s9, -1
	s_add_i32 s8, s8, 8
	v_add_u32_e32 v11, 8, v11
	s_cmp_eq_u32 s9, 0
	s_waitcnt lgkmcnt(0)
	v_fmac_f32_e32 v6, v28, v26
	v_fmac_f32_e32 v7, v29, v26
	;; [unrolled: 1-line block ×3, first 2 shown]
	v_fma_f32 v7, v28, -v27, v7
	s_cbranch_scc0 .LBB54_53
	s_branch .LBB54_47
.LBB54_54:                              ;   in Loop: Header=BB54_7 Depth=1
	s_and_saveexec_b64 s[8:9], s[28:29]
	s_cbranch_execz .LBB54_6
; %bb.55:                               ;   in Loop: Header=BB54_7 Depth=1
	v_mad_u64_u32 v[4:5], s[34:35], v25, s33, v[3:4]
	ds_read_b64 v[6:7], v16
	v_mov_b32_e32 v8, s25
	v_ashrrev_i32_e32 v5, 31, v4
	v_lshlrev_b64 v[4:5], 3, v[4:5]
	v_add_co_u32_e32 v4, vcc, s24, v4
	v_addc_co_u32_e32 v5, vcc, v8, v5, vcc
	s_waitcnt lgkmcnt(0)
	global_store_dwordx2 v[4:5], v[6:7], off
	s_branch .LBB54_6
.LBB54_56:                              ;   in Loop: Header=BB54_7 Depth=1
                                        ; implicit-def: $sgpr30
	s_cbranch_execz .LBB54_7
.LBB54_57:
	s_cmp_eq_u32 s42, 0
	v_max_i32_e32 v3, v0, v1
	s_cselect_b64 vcc, -1, 0
	v_cmp_gt_i32_e64 s[0:1], s33, v3
	v_cndmask_b32_e32 v3, v0, v1, vcc
	s_mul_i32 s40, s40, s33
	v_cndmask_b32_e32 v4, v1, v0, vcc
	v_add_u32_e32 v5, s40, v3
	v_mov_b32_e32 v3, 0
	s_and_saveexec_b64 s[2:3], s[0:1]
	s_cbranch_execz .LBB54_59
; %bb.58:
	v_mad_u64_u32 v[2:3], s[4:5], v5, s33, v[4:5]
	v_mov_b32_e32 v6, s25
	v_ashrrev_i32_e32 v3, 31, v2
	v_lshlrev_b64 v[2:3], 3, v[2:3]
	v_add_co_u32_e32 v2, vcc, s24, v2
	v_addc_co_u32_e32 v3, vcc, v6, v3, vcc
	global_load_dwordx2 v[2:3], v[2:3], off
.LBB54_59:
	s_or_b64 exec, exec, s[2:3]
	s_movk_i32 s4, 0x48
	v_mov_b32_e32 v10, 0x480
	v_mad_u32_u24 v7, v1, s4, v10
	s_movk_i32 s20, 0x480
	v_lshl_add_u32 v6, v0, 3, v7
	s_cmp_lt_i32 s33, 1
	s_waitcnt vmcnt(0)
	ds_write_b64 v6, v[2:3]
	s_waitcnt lgkmcnt(0)
	s_cbranch_scc1 .LBB54_76
; %bb.60:
	v_or_b32_e32 v2, v0, v1
	s_mov_b32 s21, 0
	v_cmp_ne_u32_e64 s[2:3], 0, v2
	s_add_i32 s22, s16, s17
	v_add_u32_e32 v8, v7, v13
	v_add_u32_e32 v9, v14, v13
	v_mad_u32_u24 v10, v0, s4, v10
	s_mov_b32 s23, 0xf800000
	v_mov_b32_e32 v11, 0x260
	v_mov_b32_e32 v3, 0
	s_branch .LBB54_62
.LBB54_61:                              ;   in Loop: Header=BB54_62 Depth=1
	s_or_b64 exec, exec, s[4:5]
	s_add_i32 s21, s21, 1
	s_addk_i32 s20, 0x50
	v_add_u32_e32 v7, 8, v7
	s_cmp_eq_u32 s33, s21
	v_add_u32_e32 v10, 8, v10
	s_waitcnt lgkmcnt(0)
	s_cbranch_scc1 .LBB54_76
.LBB54_62:                              ; =>This Inner Loop Header: Depth=1
	v_cmp_eq_u32_e32 vcc, s21, v1
	s_and_saveexec_b64 s[6:7], vcc
	s_cbranch_execz .LBB54_70
; %bb.63:                               ;   in Loop: Header=BB54_62 Depth=1
	ds_read_b64 v[13:14], v8
	ds_read_b64 v[15:16], v9
	s_waitcnt lgkmcnt(0)
	v_sub_f32_e32 v2, v13, v15
	v_sub_f32_e32 v15, v14, v16
	v_cmp_gt_f32_e32 vcc, 0, v2
	v_cndmask_b32_e64 v2, v2, -v2, vcc
	v_cmp_gt_f32_e32 vcc, 0, v15
	v_cndmask_b32_e64 v13, v15, -v15, vcc
	v_cmp_ngt_f32_e32 vcc, v2, v13
                                        ; implicit-def: $vgpr14
	s_and_saveexec_b64 s[4:5], vcc
	s_xor_b64 s[8:9], exec, s[4:5]
	s_cbranch_execz .LBB54_67
; %bb.64:                               ;   in Loop: Header=BB54_62 Depth=1
	v_mov_b32_e32 v14, 0
	v_cmp_neq_f32_e32 vcc, 0, v15
	s_and_saveexec_b64 s[12:13], vcc
	s_cbranch_execz .LBB54_66
; %bb.65:                               ;   in Loop: Header=BB54_62 Depth=1
	v_div_scale_f32 v14, s[4:5], v13, v13, v2
	v_div_scale_f32 v15, vcc, v2, v13, v2
	v_rcp_f32_e32 v16, v14
	v_fma_f32 v17, -v14, v16, 1.0
	v_fmac_f32_e32 v16, v17, v16
	v_mul_f32_e32 v17, v15, v16
	v_fma_f32 v18, -v14, v17, v15
	v_fmac_f32_e32 v17, v18, v16
	v_fma_f32 v14, -v14, v17, v15
	v_div_fmas_f32 v14, v14, v16, v17
	v_div_fixup_f32 v2, v14, v13, v2
	v_fma_f32 v2, v2, v2, 1.0
	v_mul_f32_e32 v14, 0x4f800000, v2
	v_cmp_gt_f32_e32 vcc, s23, v2
	v_cndmask_b32_e32 v2, v2, v14, vcc
	v_sqrt_f32_e32 v14, v2
	v_add_u32_e32 v15, -1, v14
	v_add_u32_e32 v16, 1, v14
	v_fma_f32 v17, -v15, v14, v2
	v_fma_f32 v18, -v16, v14, v2
	v_cmp_ge_f32_e64 s[4:5], 0, v17
	v_cndmask_b32_e64 v14, v14, v15, s[4:5]
	v_cmp_lt_f32_e64 s[4:5], 0, v18
	v_cndmask_b32_e64 v14, v14, v16, s[4:5]
	v_mul_f32_e32 v15, 0x37800000, v14
	v_cndmask_b32_e32 v14, v14, v15, vcc
	v_cmp_class_f32_e32 vcc, v2, v11
	v_cndmask_b32_e32 v2, v14, v2, vcc
	v_mul_f32_e32 v14, v13, v2
.LBB54_66:                              ;   in Loop: Header=BB54_62 Depth=1
	s_or_b64 exec, exec, s[12:13]
                                        ; implicit-def: $vgpr2
                                        ; implicit-def: $vgpr13
.LBB54_67:                              ;   in Loop: Header=BB54_62 Depth=1
	s_andn2_saveexec_b64 s[8:9], s[8:9]
	s_cbranch_execz .LBB54_69
; %bb.68:                               ;   in Loop: Header=BB54_62 Depth=1
	v_div_scale_f32 v14, s[4:5], v2, v2, v13
	v_div_scale_f32 v15, vcc, v13, v2, v13
	v_rcp_f32_e32 v16, v14
	v_fma_f32 v17, -v14, v16, 1.0
	v_fmac_f32_e32 v16, v17, v16
	v_mul_f32_e32 v17, v15, v16
	v_fma_f32 v18, -v14, v17, v15
	v_fmac_f32_e32 v17, v18, v16
	v_fma_f32 v14, -v14, v17, v15
	v_div_fmas_f32 v14, v14, v16, v17
	v_div_fixup_f32 v13, v14, v2, v13
	v_fma_f32 v13, v13, v13, 1.0
	v_mul_f32_e32 v14, 0x4f800000, v13
	v_cmp_gt_f32_e32 vcc, s23, v13
	v_cndmask_b32_e32 v13, v13, v14, vcc
	v_sqrt_f32_e32 v14, v13
	v_add_u32_e32 v15, -1, v14
	v_add_u32_e32 v16, 1, v14
	v_fma_f32 v17, -v15, v14, v13
	v_fma_f32 v18, -v16, v14, v13
	v_cmp_ge_f32_e64 s[4:5], 0, v17
	v_cndmask_b32_e64 v14, v14, v15, s[4:5]
	v_cmp_lt_f32_e64 s[4:5], 0, v18
	v_cndmask_b32_e64 v14, v14, v16, s[4:5]
	v_mul_f32_e32 v15, 0x37800000, v14
	v_cndmask_b32_e32 v14, v14, v15, vcc
	v_cmp_class_f32_e32 vcc, v13, v11
	v_cndmask_b32_e32 v13, v14, v13, vcc
	v_mul_f32_e32 v14, v2, v13
.LBB54_69:                              ;   in Loop: Header=BB54_62 Depth=1
	s_or_b64 exec, exec, s[8:9]
	v_mul_f32_e32 v2, 0x4f800000, v14
	v_cmp_gt_f32_e32 vcc, s23, v14
	v_cndmask_b32_e32 v2, v14, v2, vcc
	v_sqrt_f32_e32 v13, v2
	v_add_u32_e32 v14, -1, v13
	v_fma_f32 v16, -v14, v13, v2
	v_add_u32_e32 v15, 1, v13
	v_cmp_ge_f32_e64 s[4:5], 0, v16
	v_cndmask_b32_e64 v14, v13, v14, s[4:5]
	v_fma_f32 v13, -v15, v13, v2
	v_cmp_lt_f32_e64 s[4:5], 0, v13
	v_cndmask_b32_e64 v13, v14, v15, s[4:5]
	v_mul_f32_e32 v14, 0x37800000, v13
	v_cndmask_b32_e32 v13, v13, v14, vcc
	v_cmp_class_f32_e32 vcc, v2, v11
	v_cndmask_b32_e32 v2, v13, v2, vcc
	ds_write_b64 v8, v[2:3]
.LBB54_70:                              ;   in Loop: Header=BB54_62 Depth=1
	s_or_b64 exec, exec, s[6:7]
	v_mov_b32_e32 v2, s20
	s_waitcnt lgkmcnt(0)
	ds_read_b64 v[14:15], v2
	s_waitcnt lgkmcnt(0)
	v_cmp_neq_f32_e32 vcc, 0, v14
	v_cmp_neq_f32_e64 s[4:5], 0, v15
	s_or_b64 vcc, vcc, s[4:5]
	v_cndmask_b32_e32 v13, 0, v15, vcc
	s_nor_b64 s[6:7], vcc, s[2:3]
	v_cndmask_b32_e32 v2, 1.0, v14, vcc
	s_and_saveexec_b64 s[4:5], s[6:7]
	s_cbranch_execz .LBB54_74
; %bb.71:                               ;   in Loop: Header=BB54_62 Depth=1
	v_mbcnt_lo_u32_b32 v2, exec_lo, 0
	v_mbcnt_hi_u32_b32 v2, exec_hi, v2
	v_cmp_eq_u32_e32 vcc, 0, v2
	s_and_saveexec_b64 s[6:7], vcc
	s_cbranch_execz .LBB54_73
; %bb.72:                               ;   in Loop: Header=BB54_62 Depth=1
	v_mov_b32_e32 v2, s22
	global_atomic_smin v3, v2, s[18:19]
.LBB54_73:                              ;   in Loop: Header=BB54_62 Depth=1
	s_or_b64 exec, exec, s[6:7]
	v_mov_b32_e32 v2, 1.0
	v_mov_b32_e32 v13, 0
.LBB54_74:                              ;   in Loop: Header=BB54_62 Depth=1
	s_or_b64 exec, exec, s[4:5]
	v_cmp_lt_u32_e32 vcc, s21, v1
	s_and_saveexec_b64 s[4:5], vcc
	s_cbranch_execz .LBB54_61
; %bb.75:                               ;   in Loop: Header=BB54_62 Depth=1
	v_mul_f32_e32 v18, v13, v13
	v_fmac_f32_e32 v18, v2, v2
	v_div_scale_f32 v14, s[6:7], v18, v18, 1.0
	v_div_scale_f32 v15, vcc, 1.0, v18, 1.0
	v_rcp_f32_e32 v16, v14
	v_fma_f32 v17, -v14, v16, 1.0
	v_fmac_f32_e32 v16, v17, v16
	v_mul_f32_e32 v17, v15, v16
	v_fma_f32 v19, -v14, v17, v15
	v_fmac_f32_e32 v17, v19, v16
	v_fma_f32 v14, -v14, v17, v15
	v_div_fmas_f32 v19, v14, v16, v17
	ds_read2_b64 v[14:17], v7 offset1:72
	s_waitcnt lgkmcnt(0)
	v_sub_f32_e32 v14, v14, v16
	v_sub_f32_e32 v15, v15, v17
	v_mul_f32_e32 v16, v13, v15
	v_mul_f32_e64 v17, v13, -v14
	v_fmac_f32_e32 v16, v14, v2
	v_fmac_f32_e32 v17, v15, v2
	v_div_fixup_f32 v2, v19, v18, 1.0
	v_mul_f32_e32 v13, v2, v16
	v_mul_f32_e32 v14, v2, v17
	ds_write_b64 v7, v[13:14]
	s_waitcnt lgkmcnt(0)
	ds_read_b64 v[15:16], v10
	ds_read_b64 v[17:18], v12
	s_waitcnt lgkmcnt(0)
	v_fma_f32 v17, v13, v15, v17
	v_fmac_f32_e32 v18, v14, v15
	v_fmac_f32_e32 v17, v14, v16
	v_fma_f32 v18, v13, -v16, v18
	ds_write_b64 v12, v[17:18]
	s_branch .LBB54_61
.LBB54_76:
	s_and_saveexec_b64 s[2:3], s[0:1]
	s_cbranch_execz .LBB54_78
; %bb.77:
	v_mad_u64_u32 v[2:3], s[0:1], v5, s33, v[4:5]
	ds_read_b64 v[4:5], v6
	v_mov_b32_e32 v6, s25
	v_ashrrev_i32_e32 v3, 31, v2
	v_lshlrev_b64 v[2:3], 3, v[2:3]
	v_add_co_u32_e32 v2, vcc, s24, v2
	v_addc_co_u32_e32 v3, vcc, v6, v3, vcc
	s_waitcnt lgkmcnt(0)
	global_store_dwordx2 v[2:3], v[4:5], off
.LBB54_78:
	s_or_b64 exec, exec, s[2:3]
	v_or_b32_e32 v2, v0, v1
	v_cmp_eq_u32_e32 vcc, 0, v2
	s_and_saveexec_b64 s[0:1], vcc
	s_cbranch_execz .LBB54_80
; %bb.79:
	s_add_u32 s2, s14, s10
	s_addc_u32 s3, s15, s11
	v_mov_b32_e32 v2, 0
	v_mov_b32_e32 v3, 1
	s_waitcnt vmcnt(0)
	global_store_dword v2, v3, s[2:3]
.LBB54_80:
	s_or_b64 exec, exec, s[0:1]
.LBB54_81:
	s_endpgm
.LBB54_82:
	s_cbranch_execz .LBB54_81
; %bb.83:
	v_or_b32_e32 v0, v0, v1
	v_cmp_eq_u32_e32 vcc, 0, v0
	s_and_saveexec_b64 s[0:1], vcc
	s_cbranch_execz .LBB54_81
; %bb.84:
	v_mbcnt_lo_u32_b32 v0, exec_lo, 0
	v_mbcnt_hi_u32_b32 v0, exec_hi, v0
	v_cmp_eq_u32_e32 vcc, 0, v0
	s_and_saveexec_b64 s[0:1], vcc
	s_cbranch_execz .LBB54_86
; %bb.85:
	s_add_i32 s2, s16, s17
	v_mov_b32_e32 v0, 0
	v_mov_b32_e32 v1, s2
	global_atomic_smin v0, v1, s[18:19]
.LBB54_86:
	s_or_b64 exec, exec, s[0:1]
	s_add_u32 s0, s14, s10
	s_addc_u32 s1, s15, s11
	v_mov_b32_e32 v0, 0
	v_mov_b32_e32 v1, 1
	s_waitcnt vmcnt(0)
	global_store_dword v0, v1, s[0:1]
	s_endpgm
	.section	.rodata,"a",@progbits
	.p2align	6, 0x0
	.amdhsa_kernel _ZN9rocsparseL17bsric0_2_8_kernelILi64ELi128ELi8E21rocsparse_complex_numIfEEEv20rocsparse_direction_iiPKiS5_PT2_S5_PiS5_S8_21rocsparse_index_base_
		.amdhsa_group_segment_fixed_size 3840
		.amdhsa_private_segment_fixed_size 0
		.amdhsa_kernarg_size 76
		.amdhsa_user_sgpr_count 6
		.amdhsa_user_sgpr_private_segment_buffer 1
		.amdhsa_user_sgpr_dispatch_ptr 0
		.amdhsa_user_sgpr_queue_ptr 0
		.amdhsa_user_sgpr_kernarg_segment_ptr 1
		.amdhsa_user_sgpr_dispatch_id 0
		.amdhsa_user_sgpr_flat_scratch_init 0
		.amdhsa_user_sgpr_private_segment_size 0
		.amdhsa_uses_dynamic_stack 0
		.amdhsa_system_sgpr_private_segment_wavefront_offset 0
		.amdhsa_system_sgpr_workgroup_id_x 1
		.amdhsa_system_sgpr_workgroup_id_y 0
		.amdhsa_system_sgpr_workgroup_id_z 0
		.amdhsa_system_sgpr_workgroup_info 0
		.amdhsa_system_vgpr_workitem_id 1
		.amdhsa_next_free_vgpr 41
		.amdhsa_next_free_sgpr 98
		.amdhsa_reserve_vcc 1
		.amdhsa_reserve_flat_scratch 0
		.amdhsa_float_round_mode_32 0
		.amdhsa_float_round_mode_16_64 0
		.amdhsa_float_denorm_mode_32 3
		.amdhsa_float_denorm_mode_16_64 3
		.amdhsa_dx10_clamp 1
		.amdhsa_ieee_mode 1
		.amdhsa_fp16_overflow 0
		.amdhsa_exception_fp_ieee_invalid_op 0
		.amdhsa_exception_fp_denorm_src 0
		.amdhsa_exception_fp_ieee_div_zero 0
		.amdhsa_exception_fp_ieee_overflow 0
		.amdhsa_exception_fp_ieee_underflow 0
		.amdhsa_exception_fp_ieee_inexact 0
		.amdhsa_exception_int_div_zero 0
	.end_amdhsa_kernel
	.section	.text._ZN9rocsparseL17bsric0_2_8_kernelILi64ELi128ELi8E21rocsparse_complex_numIfEEEv20rocsparse_direction_iiPKiS5_PT2_S5_PiS5_S8_21rocsparse_index_base_,"axG",@progbits,_ZN9rocsparseL17bsric0_2_8_kernelILi64ELi128ELi8E21rocsparse_complex_numIfEEEv20rocsparse_direction_iiPKiS5_PT2_S5_PiS5_S8_21rocsparse_index_base_,comdat
.Lfunc_end54:
	.size	_ZN9rocsparseL17bsric0_2_8_kernelILi64ELi128ELi8E21rocsparse_complex_numIfEEEv20rocsparse_direction_iiPKiS5_PT2_S5_PiS5_S8_21rocsparse_index_base_, .Lfunc_end54-_ZN9rocsparseL17bsric0_2_8_kernelILi64ELi128ELi8E21rocsparse_complex_numIfEEEv20rocsparse_direction_iiPKiS5_PT2_S5_PiS5_S8_21rocsparse_index_base_
                                        ; -- End function
	.set _ZN9rocsparseL17bsric0_2_8_kernelILi64ELi128ELi8E21rocsparse_complex_numIfEEEv20rocsparse_direction_iiPKiS5_PT2_S5_PiS5_S8_21rocsparse_index_base_.num_vgpr, 31
	.set _ZN9rocsparseL17bsric0_2_8_kernelILi64ELi128ELi8E21rocsparse_complex_numIfEEEv20rocsparse_direction_iiPKiS5_PT2_S5_PiS5_S8_21rocsparse_index_base_.num_agpr, 0
	.set _ZN9rocsparseL17bsric0_2_8_kernelILi64ELi128ELi8E21rocsparse_complex_numIfEEEv20rocsparse_direction_iiPKiS5_PT2_S5_PiS5_S8_21rocsparse_index_base_.numbered_sgpr, 50
	.set _ZN9rocsparseL17bsric0_2_8_kernelILi64ELi128ELi8E21rocsparse_complex_numIfEEEv20rocsparse_direction_iiPKiS5_PT2_S5_PiS5_S8_21rocsparse_index_base_.num_named_barrier, 0
	.set _ZN9rocsparseL17bsric0_2_8_kernelILi64ELi128ELi8E21rocsparse_complex_numIfEEEv20rocsparse_direction_iiPKiS5_PT2_S5_PiS5_S8_21rocsparse_index_base_.private_seg_size, 0
	.set _ZN9rocsparseL17bsric0_2_8_kernelILi64ELi128ELi8E21rocsparse_complex_numIfEEEv20rocsparse_direction_iiPKiS5_PT2_S5_PiS5_S8_21rocsparse_index_base_.uses_vcc, 1
	.set _ZN9rocsparseL17bsric0_2_8_kernelILi64ELi128ELi8E21rocsparse_complex_numIfEEEv20rocsparse_direction_iiPKiS5_PT2_S5_PiS5_S8_21rocsparse_index_base_.uses_flat_scratch, 0
	.set _ZN9rocsparseL17bsric0_2_8_kernelILi64ELi128ELi8E21rocsparse_complex_numIfEEEv20rocsparse_direction_iiPKiS5_PT2_S5_PiS5_S8_21rocsparse_index_base_.has_dyn_sized_stack, 0
	.set _ZN9rocsparseL17bsric0_2_8_kernelILi64ELi128ELi8E21rocsparse_complex_numIfEEEv20rocsparse_direction_iiPKiS5_PT2_S5_PiS5_S8_21rocsparse_index_base_.has_recursion, 0
	.set _ZN9rocsparseL17bsric0_2_8_kernelILi64ELi128ELi8E21rocsparse_complex_numIfEEEv20rocsparse_direction_iiPKiS5_PT2_S5_PiS5_S8_21rocsparse_index_base_.has_indirect_call, 0
	.section	.AMDGPU.csdata,"",@progbits
; Kernel info:
; codeLenInByte = 3484
; TotalNumSgprs: 54
; NumVgprs: 31
; ScratchSize: 0
; MemoryBound: 0
; FloatMode: 240
; IeeeMode: 1
; LDSByteSize: 3840 bytes/workgroup (compile time only)
; SGPRBlocks: 12
; VGPRBlocks: 10
; NumSGPRsForWavesPerEU: 102
; NumVGPRsForWavesPerEU: 41
; Occupancy: 5
; WaveLimiterHint : 1
; COMPUTE_PGM_RSRC2:SCRATCH_EN: 0
; COMPUTE_PGM_RSRC2:USER_SGPR: 6
; COMPUTE_PGM_RSRC2:TRAP_HANDLER: 0
; COMPUTE_PGM_RSRC2:TGID_X_EN: 1
; COMPUTE_PGM_RSRC2:TGID_Y_EN: 0
; COMPUTE_PGM_RSRC2:TGID_Z_EN: 0
; COMPUTE_PGM_RSRC2:TIDIG_COMP_CNT: 1
	.section	.text._ZN9rocsparseL18bsric0_9_16_kernelILi64ELi128ELi16E21rocsparse_complex_numIfEEEv20rocsparse_direction_iiPKiS5_PT2_S5_PiS5_S8_21rocsparse_index_base_,"axG",@progbits,_ZN9rocsparseL18bsric0_9_16_kernelILi64ELi128ELi16E21rocsparse_complex_numIfEEEv20rocsparse_direction_iiPKiS5_PT2_S5_PiS5_S8_21rocsparse_index_base_,comdat
	.globl	_ZN9rocsparseL18bsric0_9_16_kernelILi64ELi128ELi16E21rocsparse_complex_numIfEEEv20rocsparse_direction_iiPKiS5_PT2_S5_PiS5_S8_21rocsparse_index_base_ ; -- Begin function _ZN9rocsparseL18bsric0_9_16_kernelILi64ELi128ELi16E21rocsparse_complex_numIfEEEv20rocsparse_direction_iiPKiS5_PT2_S5_PiS5_S8_21rocsparse_index_base_
	.p2align	8
	.type	_ZN9rocsparseL18bsric0_9_16_kernelILi64ELi128ELi16E21rocsparse_complex_numIfEEEv20rocsparse_direction_iiPKiS5_PT2_S5_PiS5_S8_21rocsparse_index_base_,@function
_ZN9rocsparseL18bsric0_9_16_kernelILi64ELi128ELi16E21rocsparse_complex_numIfEEEv20rocsparse_direction_iiPKiS5_PT2_S5_PiS5_S8_21rocsparse_index_base_: ; @_ZN9rocsparseL18bsric0_9_16_kernelILi64ELi128ELi16E21rocsparse_complex_numIfEEEv20rocsparse_direction_iiPKiS5_PT2_S5_PiS5_S8_21rocsparse_index_base_
; %bb.0:
	s_load_dwordx8 s[8:15], s[4:5], 0x28
	s_mov_b32 s7, 0
	s_lshl_b64 s[0:1], s[6:7], 2
	s_waitcnt lgkmcnt(0)
	s_add_u32 s0, s12, s0
	s_addc_u32 s1, s13, s1
	s_load_dword s20, s[0:1], 0x0
	s_waitcnt lgkmcnt(0)
	s_ashr_i32 s21, s20, 31
	s_lshl_b64 s[12:13], s[20:21], 2
	s_add_u32 s0, s8, s12
	s_addc_u32 s1, s9, s13
	s_load_dword s33, s[0:1], 0x0
	s_load_dword s21, s[4:5], 0x48
	s_waitcnt lgkmcnt(0)
	s_cmp_lg_u32 s33, -1
	s_cbranch_scc0 .LBB55_134
; %bb.1:
	s_load_dwordx4 s[16:19], s[4:5], 0x10
	s_load_dwordx2 s[22:23], s[4:5], 0x20
	v_lshlrev_b32_e32 v2, 2, v1
	s_waitcnt lgkmcnt(0)
	s_add_u32 s0, s16, s12
	s_addc_u32 s1, s17, s13
	s_load_dword s0, s[0:1], 0x0
	s_waitcnt lgkmcnt(0)
	s_sub_i32 s46, s0, s21
	v_add3_u32 v2, v2, v0, s46
	v_cmp_ge_i32_e32 vcc, s33, v2
	s_and_saveexec_b64 s[0:1], vcc
	s_cbranch_execz .LBB55_4
; %bb.2:
	v_lshlrev_b32_e32 v3, 4, v1
	v_lshlrev_b32_e32 v4, 2, v0
	s_movk_i32 s2, 0x2600
	v_add3_u32 v4, v3, v4, s2
	s_mov_b64 s[2:3], 0
	v_mov_b32_e32 v5, s19
.LBB55_3:                               ; =>This Inner Loop Header: Depth=1
	v_ashrrev_i32_e32 v3, 31, v2
	v_lshlrev_b64 v[6:7], 2, v[2:3]
	v_add_u32_e32 v2, 64, v2
	v_add_co_u32_e32 v6, vcc, s18, v6
	v_addc_co_u32_e32 v7, vcc, v5, v7, vcc
	global_load_dword v3, v[6:7], off
	v_cmp_lt_i32_e32 vcc, s33, v2
	s_or_b64 s[2:3], vcc, s[2:3]
	s_waitcnt vmcnt(0)
	v_subrev_u32_e32 v3, s21, v3
	ds_write_b32 v4, v3
	v_add_u32_e32 v4, 0x100, v4
	s_andn2_b64 exec, exec, s[2:3]
	s_cbranch_execnz .LBB55_3
.LBB55_4:
	s_or_b64 exec, exec, s[0:1]
	v_cmp_gt_u32_e32 vcc, 16, v0
	v_lshlrev_b32_e32 v11, 3, v0
	s_and_saveexec_b64 s[0:1], vcc
	s_cbranch_execz .LBB55_7
; %bb.5:
	v_mul_u32_u24_e32 v2, 0x88, v1
	s_movk_i32 s2, 0x1980
	v_add3_u32 v5, v2, v11, s2
	v_mov_b32_e32 v2, 0
	v_add_u32_e32 v4, -4, v0
	s_mov_b64 s[2:3], 0
	v_mov_b32_e32 v3, v2
.LBB55_6:                               ; =>This Inner Loop Header: Depth=1
	v_add_u32_e32 v4, 4, v4
	v_cmp_lt_u32_e32 vcc, 11, v4
	ds_write_b64 v5, v[2:3]
	s_or_b64 s[2:3], vcc, s[2:3]
	v_add_u32_e32 v5, 32, v5
	s_andn2_b64 exec, exec, s[2:3]
	s_cbranch_execnz .LBB55_6
.LBB55_7:
	s_or_b64 exec, exec, s[0:1]
	s_load_dword s44, s[4:5], 0x8
	s_load_dword s45, s[4:5], 0x0
	s_cmp_ge_i32 s46, s33
	s_waitcnt lgkmcnt(0)
	v_cmp_gt_i32_e64 s[0:1], s44, v0
	s_cbranch_scc1 .LBB55_89
; %bb.8:
	s_movk_i32 s6, 0x88
	v_mov_b32_e32 v3, 0x880
	v_mad_u32_u24 v13, v1, s6, v3
	v_or_b32_e32 v3, v0, v1
	s_mul_i32 s7, s44, s46
	v_cmp_ne_u32_e64 s[4:5], 0, v3
	v_add_u32_e32 v3, s7, v1
	v_mul_lo_u32 v14, s44, v1
	v_mul_lo_u32 v18, s44, v3
	;; [unrolled: 1-line block ×3, first 2 shown]
	s_cmp_lg_u32 s45, 0
	s_cselect_b64 s[24:25], -1, 0
	v_mov_b32_e32 v2, 0x1100
	s_cmp_gt_i32 s44, 0
	v_mad_u32_u24 v15, v1, s6, v11
	v_cmp_gt_i32_e64 s[2:3], s44, v1
	v_mad_u32_u24 v12, v1, s6, v2
	s_mul_i32 s47, s44, s44
	s_cselect_b64 s[26:27], -1, 0
	v_add_u32_e32 v16, 0x880, v15
	s_lshl_b32 s48, s44, 2
	v_add_u32_e32 v19, 0x1980, v15
	v_mad_u32_u24 v20, v0, s6, v2
	v_add_u32_e32 v21, 0x1100, v15
	v_mov_b32_e32 v2, 0
	s_mov_b32 s28, s46
	s_branch .LBB55_10
.LBB55_9:                               ;   in Loop: Header=BB55_10 Depth=1
	s_or_b64 exec, exec, s[6:7]
	s_add_i32 s28, s28, 1
	s_cmp_ge_i32 s28, s33
	s_waitcnt vmcnt(0)
	buffer_wbinvl1_vol
	v_add_u32_e32 v18, s47, v18
	s_cselect_b64 s[6:7], -1, 0
	s_and_b64 vcc, exec, s[6:7]
	s_cbranch_vccnz .LBB55_89
.LBB55_10:                              ; =>This Loop Header: Depth=1
                                        ;     Child Loop BB55_14 Depth 2
                                        ;     Child Loop BB55_26 Depth 2
	;; [unrolled: 1-line block ×5, first 2 shown]
                                        ;       Child Loop BB55_56 Depth 3
                                        ;     Child Loop BB55_70 Depth 2
                                        ;       Child Loop BB55_75 Depth 3
                                        ;       Child Loop BB55_78 Depth 3
                                        ;     Child Loop BB55_84 Depth 2
	s_ashr_i32 s29, s28, 31
	s_lshl_b64 s[6:7], s[28:29], 2
	s_add_u32 s6, s18, s6
	s_addc_u32 s7, s19, s7
	s_load_dword s49, s[6:7], 0x0
	s_waitcnt lgkmcnt(0)
	s_sub_i32 s30, s49, s21
	s_ashr_i32 s31, s30, 31
	s_lshl_b64 s[6:7], s[30:31], 2
	s_add_u32 s34, s8, s6
	s_addc_u32 s35, s9, s7
	s_load_dword s31, s[34:35], 0x0
	s_waitcnt lgkmcnt(0)
	s_cmp_eq_u32 s31, -1
	s_cbranch_scc1 .LBB55_88
; %bb.11:                               ;   in Loop: Header=BB55_10 Depth=1
	s_add_u32 s34, s16, s6
	s_addc_u32 s35, s17, s7
	s_load_dword s50, s[34:35], 0x0
	s_mul_i32 s29, s28, s44
	s_and_saveexec_b64 s[34:35], s[0:1]
	s_cbranch_execz .LBB55_24
; %bb.12:                               ;   in Loop: Header=BB55_10 Depth=1
	s_mov_b64 s[36:37], 0
	v_mov_b32_e32 v6, v16
	v_mov_b32_e32 v7, v0
	s_branch .LBB55_14
.LBB55_13:                              ;   in Loop: Header=BB55_14 Depth=2
	s_or_b64 exec, exec, s[40:41]
	v_add_u32_e32 v7, 4, v7
	v_mov_b32_e32 v3, v2
	v_cmp_le_i32_e32 vcc, s44, v7
	s_waitcnt vmcnt(0)
	ds_write_b64 v6, v[4:5] offset:2176
	ds_write_b64 v6, v[2:3]
	s_or_b64 s[36:37], vcc, s[36:37]
	v_add_u32_e32 v6, 32, v6
	s_andn2_b64 exec, exec, s[36:37]
	s_cbranch_execz .LBB55_24
.LBB55_14:                              ;   Parent Loop BB55_10 Depth=1
                                        ; =>  This Inner Loop Header: Depth=2
	s_and_b64 vcc, exec, s[24:25]
	s_cbranch_vccz .LBB55_21
; %bb.15:                               ;   in Loop: Header=BB55_14 Depth=2
	s_mov_b64 s[40:41], 0
	s_mov_b64 s[38:39], 0
                                        ; implicit-def: $vgpr3
	s_and_saveexec_b64 s[42:43], s[2:3]
	s_xor_b64 s[42:43], exec, s[42:43]
; %bb.16:                               ;   in Loop: Header=BB55_14 Depth=2
	v_add_u32_e32 v3, s29, v7
	s_mov_b64 s[38:39], exec
	v_mad_u64_u32 v[3:4], s[52:53], v3, s44, v[1:2]
; %bb.17:                               ;   in Loop: Header=BB55_14 Depth=2
	s_or_b64 exec, exec, s[42:43]
	s_and_b64 vcc, exec, s[40:41]
	s_cbranch_vccz .LBB55_22
.LBB55_18:                              ;   in Loop: Header=BB55_14 Depth=2
                                        ; implicit-def: $vgpr3
	s_and_saveexec_b64 s[40:41], s[2:3]
; %bb.19:                               ;   in Loop: Header=BB55_14 Depth=2
	v_add_u32_e32 v3, v18, v7
	s_or_b64 s[38:39], s[38:39], exec
; %bb.20:                               ;   in Loop: Header=BB55_14 Depth=2
	s_or_b64 exec, exec, s[40:41]
	v_mov_b32_e32 v4, 0
	v_mov_b32_e32 v5, 0
	s_and_saveexec_b64 s[40:41], s[38:39]
	s_cbranch_execz .LBB55_13
	s_branch .LBB55_23
.LBB55_21:                              ;   in Loop: Header=BB55_14 Depth=2
	s_mov_b64 s[38:39], 0
                                        ; implicit-def: $vgpr3
	s_cbranch_execnz .LBB55_18
.LBB55_22:                              ;   in Loop: Header=BB55_14 Depth=2
	v_mov_b32_e32 v4, 0
	v_mov_b32_e32 v5, 0
	s_and_saveexec_b64 s[40:41], s[38:39]
	s_cbranch_execz .LBB55_13
.LBB55_23:                              ;   in Loop: Header=BB55_14 Depth=2
	v_ashrrev_i32_e32 v4, 31, v3
	v_lshlrev_b64 v[3:4], 3, v[3:4]
	v_mov_b32_e32 v5, s23
	v_add_co_u32_e32 v3, vcc, s22, v3
	v_addc_co_u32_e32 v4, vcc, v5, v4, vcc
	global_load_dwordx2 v[4:5], v[3:4], off
	s_branch .LBB55_13
.LBB55_24:                              ;   in Loop: Header=BB55_10 Depth=1
	s_or_b64 exec, exec, s[34:35]
	ds_read_b32 v3, v2 offset:9728
	s_waitcnt lgkmcnt(0)
	s_sub_i32 s34, s50, s21
	s_cmp_le_i32 s34, s31
	s_cselect_b64 s[36:37], -1, 0
	s_mov_b32 s40, 0
	v_cmp_ge_i32_e32 vcc, s30, v3
	s_and_b64 s[36:37], s[36:37], vcc
	s_andn2_b64 vcc, exec, s[36:37]
	s_cbranch_vccnz .LBB55_36
; %bb.25:                               ;   in Loop: Header=BB55_10 Depth=1
	s_mov_b32 s38, 0
	s_mov_b32 s39, 0
.LBB55_26:                              ;   Parent Loop BB55_10 Depth=1
                                        ; =>  This Inner Loop Header: Depth=2
	s_ashr_i32 s35, s34, 31
	s_lshl_b64 s[36:37], s[34:35], 2
	s_add_u32 s36, s18, s36
	s_addc_u32 s37, s19, s37
	s_load_dword s35, s[36:37], 0x0
	s_lshl_b32 s36, s39, 2
	v_mov_b32_e32 v3, s36
	ds_read_b32 v3, v3 offset:9728
	s_mov_b64 s[36:37], -1
	s_waitcnt lgkmcnt(0)
	s_sub_i32 s43, s35, s21
                                        ; implicit-def: $sgpr40
                                        ; implicit-def: $sgpr42
                                        ; implicit-def: $sgpr41
	v_cmp_ge_i32_e32 vcc, s43, v3
	v_readfirstlane_b32 s35, v3
	s_cbranch_vccz .LBB55_32
; %bb.27:                               ;   in Loop: Header=BB55_26 Depth=2
	s_cmp_le_i32 s43, s35
                                        ; implicit-def: $sgpr40
                                        ; implicit-def: $sgpr42
                                        ; implicit-def: $sgpr41
	s_cbranch_scc0 .LBB55_29
; %bb.28:                               ;   in Loop: Header=BB55_26 Depth=2
	s_add_i32 s36, s39, s46
	s_mul_i32 s36, s36, s47
	s_lshl_b32 s37, s38, 2
	v_mov_b32_e32 v4, s36
	s_mul_i32 s36, s34, s47
	v_mov_b32_e32 v3, s37
	v_mov_b32_e32 v5, s36
	ds_write2st64_b32 v3, v5, v4 offset0:34 offset1:36
	s_add_i32 s41, s39, 1
	s_add_i32 s42, s34, 1
	;; [unrolled: 1-line block ×3, first 2 shown]
	s_mov_b64 s[36:37], 0
.LBB55_29:                              ;   in Loop: Header=BB55_26 Depth=2
	s_andn2_b64 vcc, exec, s[36:37]
	s_cbranch_vccnz .LBB55_31
; %bb.30:                               ;   in Loop: Header=BB55_26 Depth=2
	s_add_i32 s41, s39, 1
	s_mov_b32 s40, s38
	s_mov_b32 s42, s34
.LBB55_31:                              ;   in Loop: Header=BB55_26 Depth=2
	s_mov_b64 s[36:37], 0
.LBB55_32:                              ;   in Loop: Header=BB55_26 Depth=2
	s_andn2_b64 vcc, exec, s[36:37]
	s_cbranch_vccnz .LBB55_34
; %bb.33:                               ;   in Loop: Header=BB55_26 Depth=2
	s_add_i32 s42, s34, 1
	s_mov_b32 s41, s39
	s_mov_b32 s40, s38
.LBB55_34:                              ;   in Loop: Header=BB55_26 Depth=2
	s_cmp_le_i32 s42, s31
	s_cselect_b64 s[36:37], -1, 0
	s_cmp_le_i32 s35, s30
	s_cselect_b64 s[34:35], -1, 0
	s_and_b64 s[34:35], s[36:37], s[34:35]
	s_and_b64 vcc, exec, s[34:35]
	s_cbranch_vccz .LBB55_36
; %bb.35:                               ;   in Loop: Header=BB55_26 Depth=2
	s_mov_b32 s38, s40
	s_mov_b32 s34, s42
	;; [unrolled: 1-line block ×3, first 2 shown]
	s_branch .LBB55_26
.LBB55_36:                              ;   in Loop: Header=BB55_10 Depth=1
	s_add_u32 s6, s10, s6
	s_addc_u32 s7, s11, s7
	s_waitcnt lgkmcnt(0)
.LBB55_37:                              ;   Parent Loop BB55_10 Depth=1
                                        ; =>  This Inner Loop Header: Depth=2
	global_load_dword v3, v2, s[6:7] glc
	s_waitcnt vmcnt(0)
	v_cmp_eq_u32_e32 vcc, 0, v3
	s_cbranch_vccnz .LBB55_37
; %bb.38:                               ;   in Loop: Header=BB55_10 Depth=1
	buffer_wbinvl1_vol
	s_and_saveexec_b64 s[6:7], s[0:1]
	s_cbranch_execz .LBB55_51
; %bb.39:                               ;   in Loop: Header=BB55_10 Depth=1
	s_mul_i32 s41, s31, s44
	v_add_u32_e32 v3, s41, v1
	v_mul_lo_u32 v6, v3, s44
	s_mov_b64 s[30:31], 0
	v_mov_b32_e32 v7, v15
	v_mov_b32_e32 v8, v0
	s_branch .LBB55_41
.LBB55_40:                              ;   in Loop: Header=BB55_41 Depth=2
	s_or_b64 exec, exec, s[36:37]
	v_add_u32_e32 v8, 4, v8
	v_cmp_le_i32_e32 vcc, s44, v8
	s_waitcnt vmcnt(0)
	ds_write_b64 v7, v[4:5]
	s_or_b64 s[30:31], vcc, s[30:31]
	v_add_u32_e32 v7, 32, v7
	s_andn2_b64 exec, exec, s[30:31]
	s_cbranch_execz .LBB55_51
.LBB55_41:                              ;   Parent Loop BB55_10 Depth=1
                                        ; =>  This Inner Loop Header: Depth=2
	s_and_b64 vcc, exec, s[24:25]
	s_cbranch_vccz .LBB55_48
; %bb.42:                               ;   in Loop: Header=BB55_41 Depth=2
	s_mov_b64 s[36:37], 0
	s_mov_b64 s[34:35], 0
                                        ; implicit-def: $vgpr3
	s_and_saveexec_b64 s[38:39], s[2:3]
	s_xor_b64 s[38:39], exec, s[38:39]
; %bb.43:                               ;   in Loop: Header=BB55_41 Depth=2
	v_add_u32_e32 v3, s41, v8
	s_mov_b64 s[34:35], exec
	v_mad_u64_u32 v[3:4], s[42:43], v3, s44, v[1:2]
; %bb.44:                               ;   in Loop: Header=BB55_41 Depth=2
	s_or_b64 exec, exec, s[38:39]
	s_and_b64 vcc, exec, s[36:37]
	s_cbranch_vccz .LBB55_49
.LBB55_45:                              ;   in Loop: Header=BB55_41 Depth=2
                                        ; implicit-def: $vgpr3
	s_and_saveexec_b64 s[36:37], s[2:3]
; %bb.46:                               ;   in Loop: Header=BB55_41 Depth=2
	v_add_u32_e32 v3, v6, v8
	s_or_b64 s[34:35], s[34:35], exec
; %bb.47:                               ;   in Loop: Header=BB55_41 Depth=2
	s_or_b64 exec, exec, s[36:37]
	v_mov_b32_e32 v4, 0
	v_mov_b32_e32 v5, 0
	s_and_saveexec_b64 s[36:37], s[34:35]
	s_cbranch_execz .LBB55_40
	s_branch .LBB55_50
.LBB55_48:                              ;   in Loop: Header=BB55_41 Depth=2
	s_mov_b64 s[34:35], 0
                                        ; implicit-def: $vgpr3
	s_cbranch_execnz .LBB55_45
.LBB55_49:                              ;   in Loop: Header=BB55_41 Depth=2
	v_mov_b32_e32 v4, 0
	v_mov_b32_e32 v5, 0
	s_and_saveexec_b64 s[36:37], s[34:35]
	s_cbranch_execz .LBB55_40
.LBB55_50:                              ;   in Loop: Header=BB55_41 Depth=2
	v_ashrrev_i32_e32 v4, 31, v3
	v_lshlrev_b64 v[3:4], 3, v[3:4]
	v_mov_b32_e32 v5, s23
	v_add_co_u32_e32 v3, vcc, s22, v3
	v_addc_co_u32_e32 v4, vcc, v5, v4, vcc
	global_load_dwordx2 v[4:5], v[3:4], off
	s_branch .LBB55_40
.LBB55_51:                              ;   in Loop: Header=BB55_10 Depth=1
	s_or_b64 exec, exec, s[6:7]
	s_cmp_lt_i32 s40, 2
	s_cbranch_scc1 .LBB55_67
; %bb.52:                               ;   in Loop: Header=BB55_10 Depth=1
	s_add_i32 s36, s40, -2
	s_mov_b32 s37, 0
	s_branch .LBB55_54
.LBB55_53:                              ;   in Loop: Header=BB55_54 Depth=2
	s_or_b64 exec, exec, s[6:7]
	s_add_i32 s6, s37, 1
	s_cmp_eq_u32 s37, s36
	s_mov_b32 s37, s6
	s_cbranch_scc1 .LBB55_67
.LBB55_54:                              ;   Parent Loop BB55_10 Depth=1
                                        ; =>  This Loop Header: Depth=2
                                        ;       Child Loop BB55_56 Depth 3
	s_and_saveexec_b64 s[6:7], s[0:1]
	s_cbranch_execz .LBB55_53
; %bb.55:                               ;   in Loop: Header=BB55_54 Depth=2
	s_lshl_b32 s30, s37, 2
	v_mov_b32_e32 v3, s30
	ds_read2st64_b32 v[3:4], v3 offset0:34 offset1:36
	s_mov_b64 s[30:31], 0
	v_mov_b32_e32 v26, v0
	s_waitcnt lgkmcnt(0)
	v_add_u32_e32 v22, v4, v14
	v_add_u32_e32 v23, v1, v4
	;; [unrolled: 1-line block ×4, first 2 shown]
.LBB55_56:                              ;   Parent Loop BB55_10 Depth=1
                                        ;     Parent Loop BB55_54 Depth=2
                                        ; =>    This Inner Loop Header: Depth=3
	v_mov_b32_e32 v27, 0
	s_mov_b32 s38, 0
	v_mov_b32_e32 v3, v24
	v_mov_b32_e32 v5, v23
	;; [unrolled: 1-line block ×3, first 2 shown]
	s_and_b64 vcc, exec, s[24:25]
	s_cbranch_vccnz .LBB55_59
	s_branch .LBB55_58
.LBB55_57:                              ;   in Loop: Header=BB55_56 Depth=3
	v_mov_b32_e32 v27, v6
	v_mov_b32_e32 v28, v4
	s_and_b64 vcc, exec, s[24:25]
	s_cbranch_vccnz .LBB55_59
.LBB55_58:                              ;   in Loop: Header=BB55_56 Depth=3
                                        ; implicit-def: $vgpr6
                                        ; implicit-def: $vgpr4
	s_cbranch_execz .LBB55_65
	s_branch .LBB55_62
.LBB55_59:                              ;   in Loop: Header=BB55_56 Depth=3
	v_ashrrev_i32_e32 v4, 31, v3
	v_lshlrev_b64 v[6:7], 3, v[3:4]
	v_mov_b32_e32 v4, s23
	v_add_co_u32_e32 v6, vcc, s22, v6
	v_addc_co_u32_e32 v7, vcc, v4, v7, vcc
	global_load_dwordx2 v[7:8], v[6:7], off
	v_mov_b32_e32 v9, 0
	v_mov_b32_e32 v10, 0
	s_and_saveexec_b64 s[34:35], s[2:3]
	s_cbranch_execz .LBB55_61
; %bb.60:                               ;   in Loop: Header=BB55_56 Depth=3
	v_ashrrev_i32_e32 v6, 31, v5
	v_lshlrev_b64 v[9:10], 3, v[5:6]
	v_mov_b32_e32 v4, s23
	v_add_co_u32_e32 v9, vcc, s22, v9
	v_addc_co_u32_e32 v10, vcc, v4, v10, vcc
	global_load_dwordx2 v[9:10], v[9:10], off
.LBB55_61:                              ;   in Loop: Header=BB55_56 Depth=3
	s_or_b64 exec, exec, s[34:35]
	s_waitcnt vmcnt(0)
	v_fma_f32 v4, v7, v9, v28
	v_fma_f32 v6, v8, v9, v27
	v_fmac_f32_e32 v4, v8, v10
	v_fma_f32 v6, v7, -v10, v6
	s_branch .LBB55_65
.LBB55_62:                              ;   in Loop: Header=BB55_56 Depth=3
	v_add_u32_e32 v6, s38, v25
	v_ashrrev_i32_e32 v7, 31, v6
	v_lshlrev_b64 v[6:7], 3, v[6:7]
	v_mov_b32_e32 v4, s23
	v_add_co_u32_e32 v6, vcc, s22, v6
	v_addc_co_u32_e32 v7, vcc, v4, v7, vcc
	global_load_dwordx2 v[6:7], v[6:7], off
	v_mov_b32_e32 v8, 0
	v_mov_b32_e32 v9, 0
	s_and_saveexec_b64 s[34:35], s[2:3]
	s_cbranch_execz .LBB55_64
; %bb.63:                               ;   in Loop: Header=BB55_56 Depth=3
	v_add_u32_e32 v8, s38, v22
	v_ashrrev_i32_e32 v9, 31, v8
	v_lshlrev_b64 v[8:9], 3, v[8:9]
	v_mov_b32_e32 v4, s23
	v_add_co_u32_e32 v8, vcc, s22, v8
	v_addc_co_u32_e32 v9, vcc, v4, v9, vcc
	global_load_dwordx2 v[8:9], v[8:9], off
.LBB55_64:                              ;   in Loop: Header=BB55_56 Depth=3
	s_or_b64 exec, exec, s[34:35]
	s_waitcnt vmcnt(0)
	v_fmac_f32_e32 v28, v6, v8
	v_fmac_f32_e32 v28, v7, v9
	;; [unrolled: 1-line block ×3, first 2 shown]
	v_fma_f32 v6, v6, -v9, v27
	v_mov_b32_e32 v4, v28
.LBB55_65:                              ;   in Loop: Header=BB55_56 Depth=3
	s_add_i32 s38, s38, 1
	v_add_u32_e32 v5, s44, v5
	s_cmp_eq_u32 s44, s38
	v_add_u32_e32 v3, s44, v3
	s_cbranch_scc0 .LBB55_57
; %bb.66:                               ;   in Loop: Header=BB55_56 Depth=3
	v_lshl_add_u32 v5, v26, 3, v13
	ds_read_b64 v[7:8], v5
	v_add_u32_e32 v26, 4, v26
	v_cmp_le_i32_e32 vcc, s44, v26
	v_add_u32_e32 v24, 4, v24
	s_or_b64 s[30:31], vcc, s[30:31]
	s_waitcnt lgkmcnt(0)
	v_add_f32_e32 v3, v4, v7
	v_add_f32_e32 v4, v6, v8
	v_add_u32_e32 v25, s48, v25
	ds_write_b64 v5, v[3:4]
	s_andn2_b64 exec, exec, s[30:31]
	s_cbranch_execnz .LBB55_56
	s_branch .LBB55_53
.LBB55_67:                              ;   in Loop: Header=BB55_10 Depth=1
	s_andn2_b64 vcc, exec, s[26:27]
	s_waitcnt lgkmcnt(0)
	s_cbranch_vccnz .LBB55_79
; %bb.68:                               ;   in Loop: Header=BB55_10 Depth=1
	s_mov_b32 s34, 0
	v_mov_b32_e32 v7, v20
	s_mov_b32 s35, 0
	s_branch .LBB55_70
.LBB55_69:                              ;   in Loop: Header=BB55_70 Depth=2
	s_or_b64 exec, exec, s[6:7]
	s_add_i32 s35, s35, 1
	s_addk_i32 s34, 0x88
	s_cmp_eq_u32 s35, s44
	v_add_u32_e32 v7, 8, v7
	s_waitcnt lgkmcnt(0)
	s_cbranch_scc1 .LBB55_79
.LBB55_70:                              ;   Parent Loop BB55_10 Depth=1
                                        ; =>  This Loop Header: Depth=2
                                        ;       Child Loop BB55_75 Depth 3
                                        ;       Child Loop BB55_78 Depth 3
	s_lshl_b32 s6, s35, 3
	s_mul_i32 s7, s35, 0x88
	s_add_i32 s7, s7, s6
	v_mov_b32_e32 v3, s7
	ds_read_b64 v[5:6], v3
	v_add_u32_e32 v8, s6, v12
	ds_read_b64 v[3:4], v8
	s_waitcnt lgkmcnt(1)
	v_cmp_neq_f32_e32 vcc, 0, v5
	v_cmp_neq_f32_e64 s[6:7], 0, v6
	s_or_b64 vcc, vcc, s[6:7]
	v_cndmask_b32_e32 v9, 1.0, v5, vcc
	s_nor_b64 s[30:31], vcc, s[4:5]
	v_cndmask_b32_e32 v10, 0, v6, vcc
	s_and_saveexec_b64 s[6:7], s[30:31]
	s_cbranch_execz .LBB55_74
; %bb.71:                               ;   in Loop: Header=BB55_70 Depth=2
	v_mbcnt_lo_u32_b32 v5, exec_lo, 0
	v_mbcnt_hi_u32_b32 v5, exec_hi, v5
	v_cmp_eq_u32_e32 vcc, 0, v5
	s_and_saveexec_b64 s[30:31], vcc
	s_cbranch_execz .LBB55_73
; %bb.72:                               ;   in Loop: Header=BB55_70 Depth=2
	v_mov_b32_e32 v5, s49
	global_atomic_smin v2, v5, s[14:15]
.LBB55_73:                              ;   in Loop: Header=BB55_70 Depth=2
	s_or_b64 exec, exec, s[30:31]
	v_mov_b32_e32 v10, 0
	v_mov_b32_e32 v9, 1.0
.LBB55_74:                              ;   in Loop: Header=BB55_70 Depth=2
	s_or_b64 exec, exec, s[6:7]
	v_lshl_add_u32 v5, s35, 3, v13
	ds_read_b64 v[5:6], v5
	s_cmp_eq_u32 s35, 0
	v_mov_b32_e32 v22, v12
	s_mov_b32 s6, s34
	s_mov_b32 s7, s35
	s_cbranch_scc1 .LBB55_76
.LBB55_75:                              ;   Parent Loop BB55_10 Depth=1
                                        ;     Parent Loop BB55_70 Depth=2
                                        ; =>    This Inner Loop Header: Depth=3
	v_mov_b32_e32 v25, s6
	ds_read_b64 v[23:24], v22
	ds_read_b64 v[25:26], v25
	s_add_i32 s7, s7, -1
	s_add_i32 s6, s6, 8
	v_add_u32_e32 v22, 8, v22
	s_cmp_eq_u32 s7, 0
	s_waitcnt lgkmcnt(0)
	v_fmac_f32_e32 v5, v25, v23
	v_fmac_f32_e32 v6, v26, v23
	;; [unrolled: 1-line block ×3, first 2 shown]
	v_fma_f32 v6, v25, -v24, v6
	s_cbranch_scc0 .LBB55_75
.LBB55_76:                              ;   in Loop: Header=BB55_70 Depth=2
	v_mul_f32_e32 v22, v10, v10
	v_fmac_f32_e32 v22, v9, v9
	v_div_scale_f32 v23, s[6:7], v22, v22, 1.0
	v_div_scale_f32 v24, vcc, 1.0, v22, 1.0
	s_waitcnt lgkmcnt(0)
	v_sub_f32_e32 v3, v3, v5
	v_sub_f32_e32 v4, v4, v6
	v_mul_f32_e32 v5, v10, v4
	v_mul_f32_e64 v6, v10, -v3
	v_fmac_f32_e32 v5, v3, v9
	v_fmac_f32_e32 v6, v4, v9
	v_rcp_f32_e32 v25, v23
	v_fma_f32 v26, -v23, v25, 1.0
	v_fmac_f32_e32 v25, v26, v25
	v_mul_f32_e32 v26, v24, v25
	v_fma_f32 v27, -v23, v26, v24
	v_fmac_f32_e32 v26, v27, v25
	v_fma_f32 v23, -v23, v26, v24
	v_div_fmas_f32 v23, v23, v25, v26
	v_div_fixup_f32 v4, v23, v22, 1.0
	v_mul_f32_e32 v3, v4, v5
	v_mul_f32_e32 v4, v4, v6
	ds_write_b64 v8, v[3:4]
	s_waitcnt lgkmcnt(0)
	s_and_saveexec_b64 s[6:7], s[0:1]
	s_cbranch_execz .LBB55_69
; %bb.77:                               ;   in Loop: Header=BB55_70 Depth=2
	s_mov_b64 s[30:31], 0
	v_mov_b32_e32 v5, v7
	v_mov_b32_e32 v6, v19
	;; [unrolled: 1-line block ×3, first 2 shown]
.LBB55_78:                              ;   Parent Loop BB55_10 Depth=1
                                        ;     Parent Loop BB55_70 Depth=2
                                        ; =>    This Inner Loop Header: Depth=3
	ds_read_b64 v[9:10], v5
	ds_read_b64 v[22:23], v6
	v_add_u32_e32 v8, 4, v8
	v_cmp_le_i32_e32 vcc, s44, v8
	s_or_b64 s[30:31], vcc, s[30:31]
	v_add_u32_e32 v5, 0x220, v5
	s_waitcnt lgkmcnt(0)
	v_fma_f32 v22, v3, v9, v22
	v_fmac_f32_e32 v23, v4, v9
	v_fmac_f32_e32 v22, v4, v10
	v_fma_f32 v23, v3, -v10, v23
	ds_write_b64 v6, v[22:23]
	v_add_u32_e32 v6, 32, v6
	s_andn2_b64 exec, exec, s[30:31]
	s_cbranch_execnz .LBB55_78
	s_branch .LBB55_69
.LBB55_79:                              ;   in Loop: Header=BB55_10 Depth=1
	s_and_saveexec_b64 s[6:7], s[0:1]
	s_cbranch_execz .LBB55_9
; %bb.80:                               ;   in Loop: Header=BB55_10 Depth=1
	s_mov_b64 s[30:31], 0
	v_mov_b32_e32 v5, v21
	v_mov_b32_e32 v6, v0
	s_branch .LBB55_84
.LBB55_81:                              ;   in Loop: Header=BB55_84 Depth=2
	v_add_u32_e32 v3, v18, v6
.LBB55_82:                              ;   in Loop: Header=BB55_84 Depth=2
	v_ashrrev_i32_e32 v4, 31, v3
	ds_read_b64 v[7:8], v5
	v_lshlrev_b64 v[3:4], 3, v[3:4]
	v_mov_b32_e32 v9, s23
	v_add_co_u32_e32 v3, vcc, s22, v3
	v_addc_co_u32_e32 v4, vcc, v9, v4, vcc
	s_waitcnt lgkmcnt(0)
	global_store_dwordx2 v[3:4], v[7:8], off
.LBB55_83:                              ;   in Loop: Header=BB55_84 Depth=2
	s_or_b64 exec, exec, s[34:35]
	v_add_u32_e32 v6, 4, v6
	v_cmp_le_i32_e32 vcc, s44, v6
	s_or_b64 s[30:31], vcc, s[30:31]
	v_add_u32_e32 v5, 32, v5
	s_andn2_b64 exec, exec, s[30:31]
	s_cbranch_execz .LBB55_9
.LBB55_84:                              ;   Parent Loop BB55_10 Depth=1
                                        ; =>  This Inner Loop Header: Depth=2
	s_and_saveexec_b64 s[34:35], s[2:3]
	s_cbranch_execz .LBB55_83
; %bb.85:                               ;   in Loop: Header=BB55_84 Depth=2
	s_and_b64 vcc, exec, s[24:25]
	s_cbranch_vccz .LBB55_87
; %bb.86:                               ;   in Loop: Header=BB55_84 Depth=2
	v_add_u32_e32 v3, s29, v6
	v_mad_u64_u32 v[3:4], s[36:37], v3, s44, v[1:2]
	s_cbranch_execnz .LBB55_82
	s_branch .LBB55_81
.LBB55_87:                              ;   in Loop: Header=BB55_84 Depth=2
                                        ; implicit-def: $vgpr3
	s_branch .LBB55_81
.LBB55_88:                              ;   in Loop: Header=BB55_10 Depth=1
                                        ; implicit-def: $sgpr28
                                        ; implicit-def: $vgpr18
	s_cbranch_execz .LBB55_10
.LBB55_89:
	v_cmp_gt_i32_e64 s[0:1], s44, v0
	s_and_saveexec_b64 s[4:5], s[0:1]
	s_cbranch_execz .LBB55_102
; %bb.90:
	s_mul_i32 s26, s33, s44
	v_add_u32_e32 v2, s26, v1
	v_mul_lo_u32 v5, v2, s44
	s_cmp_lg_u32 s45, 0
	v_mul_u32_u24_e32 v2, 0x88, v1
	s_movk_i32 s8, 0x1100
	s_cselect_b64 s[6:7], -1, 0
	v_cmp_gt_i32_e64 s[2:3], s44, v1
	v_add3_u32 v6, v2, v11, s8
	s_mov_b64 s[8:9], 0
	v_mov_b32_e32 v7, v0
	s_branch .LBB55_92
.LBB55_91:                              ;   in Loop: Header=BB55_92 Depth=1
	s_or_b64 exec, exec, s[18:19]
	v_add_u32_e32 v7, 4, v7
	v_cmp_le_i32_e32 vcc, s44, v7
	s_waitcnt vmcnt(0)
	ds_write_b64 v6, v[3:4]
	s_or_b64 s[8:9], vcc, s[8:9]
	v_add_u32_e32 v6, 32, v6
	s_andn2_b64 exec, exec, s[8:9]
	s_cbranch_execz .LBB55_102
.LBB55_92:                              ; =>This Inner Loop Header: Depth=1
	s_and_b64 vcc, exec, s[6:7]
	s_cbranch_vccz .LBB55_99
; %bb.93:                               ;   in Loop: Header=BB55_92 Depth=1
	s_mov_b64 s[18:19], 0
	s_mov_b64 s[16:17], 0
                                        ; implicit-def: $vgpr2
	s_and_saveexec_b64 s[24:25], s[2:3]
	s_xor_b64 s[24:25], exec, s[24:25]
; %bb.94:                               ;   in Loop: Header=BB55_92 Depth=1
	v_add_u32_e32 v2, s26, v7
	s_mov_b64 s[16:17], exec
	v_mad_u64_u32 v[2:3], s[28:29], v2, s44, v[1:2]
; %bb.95:                               ;   in Loop: Header=BB55_92 Depth=1
	s_or_b64 exec, exec, s[24:25]
	s_and_b64 vcc, exec, s[18:19]
	s_cbranch_vccz .LBB55_100
.LBB55_96:                              ;   in Loop: Header=BB55_92 Depth=1
                                        ; implicit-def: $vgpr2
	s_and_saveexec_b64 s[18:19], s[2:3]
; %bb.97:                               ;   in Loop: Header=BB55_92 Depth=1
	v_add_u32_e32 v2, v5, v7
	s_or_b64 s[16:17], s[16:17], exec
; %bb.98:                               ;   in Loop: Header=BB55_92 Depth=1
	s_or_b64 exec, exec, s[18:19]
	v_mov_b32_e32 v3, 0
	v_mov_b32_e32 v4, 0
	s_and_saveexec_b64 s[18:19], s[16:17]
	s_cbranch_execz .LBB55_91
	s_branch .LBB55_101
.LBB55_99:                              ;   in Loop: Header=BB55_92 Depth=1
	s_mov_b64 s[16:17], 0
                                        ; implicit-def: $vgpr2
	s_cbranch_execnz .LBB55_96
.LBB55_100:                             ;   in Loop: Header=BB55_92 Depth=1
	v_mov_b32_e32 v3, 0
	v_mov_b32_e32 v4, 0
	s_and_saveexec_b64 s[18:19], s[16:17]
	s_cbranch_execz .LBB55_91
.LBB55_101:                             ;   in Loop: Header=BB55_92 Depth=1
	v_ashrrev_i32_e32 v3, 31, v2
	v_lshlrev_b64 v[2:3], 3, v[2:3]
	v_mov_b32_e32 v4, s23
	v_add_co_u32_e32 v2, vcc, s22, v2
	v_addc_co_u32_e32 v3, vcc, v4, v3, vcc
	global_load_dwordx2 v[3:4], v[2:3], off
	s_branch .LBB55_91
.LBB55_102:
	s_or_b64 exec, exec, s[4:5]
	s_cmp_lt_i32 s44, 1
	s_waitcnt lgkmcnt(0)
	s_cbranch_scc1 .LBB55_121
; %bb.103:
	v_or_b32_e32 v4, v0, v1
	s_movk_i32 s4, 0x88
	v_mov_b32_e32 v2, 0x1100
	v_cmp_ne_u32_e64 s[2:3], 0, v4
	v_mov_b32_e32 v4, 0x1980
	v_mad_u32_u24 v6, v1, s4, v2
	v_mul_u32_u24_e32 v3, 0x88, v1
	s_movk_i32 s5, 0x1980
	v_mad_u32_u24 v7, v1, s4, v4
	v_lshlrev_b32_e32 v4, 3, v1
	s_mov_b32 s18, 0
	s_add_i32 s19, s20, s21
	v_add_u32_e32 v8, v6, v4
	v_add_u32_e32 v9, v7, v4
	v_add3_u32 v10, v3, v11, s5
	v_mad_u32_u24 v12, v0, s4, v2
	s_mov_b32 s24, 0xf800000
	v_mov_b32_e32 v13, 0x260
	v_mov_b32_e32 v3, 0
	s_branch .LBB55_105
.LBB55_104:                             ;   in Loop: Header=BB55_105 Depth=1
	s_or_b64 exec, exec, s[4:5]
	s_add_i32 s18, s18, 1
	s_cmp_eq_u32 s18, s44
	v_add_u32_e32 v12, 8, v12
	s_waitcnt lgkmcnt(0)
	s_cbranch_scc1 .LBB55_121
.LBB55_105:                             ; =>This Loop Header: Depth=1
                                        ;     Child Loop BB55_120 Depth 2
	v_cmp_eq_u32_e32 vcc, s18, v1
	s_and_saveexec_b64 s[6:7], vcc
	s_cbranch_execz .LBB55_113
; %bb.106:                              ;   in Loop: Header=BB55_105 Depth=1
	ds_read_b64 v[4:5], v8
	ds_read_b64 v[14:15], v9
	s_waitcnt lgkmcnt(0)
	v_sub_f32_e32 v2, v4, v14
	v_sub_f32_e32 v14, v5, v15
	v_cmp_gt_f32_e32 vcc, 0, v2
	v_cndmask_b32_e64 v2, v2, -v2, vcc
	v_cmp_gt_f32_e32 vcc, 0, v14
	v_cndmask_b32_e64 v4, v14, -v14, vcc
	v_cmp_ngt_f32_e32 vcc, v2, v4
                                        ; implicit-def: $vgpr5
	s_and_saveexec_b64 s[4:5], vcc
	s_xor_b64 s[8:9], exec, s[4:5]
	s_cbranch_execz .LBB55_110
; %bb.107:                              ;   in Loop: Header=BB55_105 Depth=1
	v_mov_b32_e32 v5, 0
	v_cmp_neq_f32_e32 vcc, 0, v14
	s_and_saveexec_b64 s[16:17], vcc
	s_cbranch_execz .LBB55_109
; %bb.108:                              ;   in Loop: Header=BB55_105 Depth=1
	v_div_scale_f32 v5, s[4:5], v4, v4, v2
	v_div_scale_f32 v14, vcc, v2, v4, v2
	v_rcp_f32_e32 v15, v5
	v_fma_f32 v16, -v5, v15, 1.0
	v_fmac_f32_e32 v15, v16, v15
	v_mul_f32_e32 v16, v14, v15
	v_fma_f32 v17, -v5, v16, v14
	v_fmac_f32_e32 v16, v17, v15
	v_fma_f32 v5, -v5, v16, v14
	v_div_fmas_f32 v5, v5, v15, v16
	v_div_fixup_f32 v2, v5, v4, v2
	v_fma_f32 v2, v2, v2, 1.0
	v_mul_f32_e32 v5, 0x4f800000, v2
	v_cmp_gt_f32_e32 vcc, s24, v2
	v_cndmask_b32_e32 v2, v2, v5, vcc
	v_sqrt_f32_e32 v5, v2
	v_add_u32_e32 v14, -1, v5
	v_add_u32_e32 v15, 1, v5
	v_fma_f32 v16, -v14, v5, v2
	v_fma_f32 v17, -v15, v5, v2
	v_cmp_ge_f32_e64 s[4:5], 0, v16
	v_cndmask_b32_e64 v5, v5, v14, s[4:5]
	v_cmp_lt_f32_e64 s[4:5], 0, v17
	v_cndmask_b32_e64 v5, v5, v15, s[4:5]
	v_mul_f32_e32 v14, 0x37800000, v5
	v_cndmask_b32_e32 v5, v5, v14, vcc
	v_cmp_class_f32_e32 vcc, v2, v13
	v_cndmask_b32_e32 v2, v5, v2, vcc
	v_mul_f32_e32 v5, v4, v2
.LBB55_109:                             ;   in Loop: Header=BB55_105 Depth=1
	s_or_b64 exec, exec, s[16:17]
                                        ; implicit-def: $vgpr2
                                        ; implicit-def: $vgpr4
.LBB55_110:                             ;   in Loop: Header=BB55_105 Depth=1
	s_andn2_saveexec_b64 s[8:9], s[8:9]
	s_cbranch_execz .LBB55_112
; %bb.111:                              ;   in Loop: Header=BB55_105 Depth=1
	v_div_scale_f32 v5, s[4:5], v2, v2, v4
	v_div_scale_f32 v14, vcc, v4, v2, v4
	v_rcp_f32_e32 v15, v5
	v_fma_f32 v16, -v5, v15, 1.0
	v_fmac_f32_e32 v15, v16, v15
	v_mul_f32_e32 v16, v14, v15
	v_fma_f32 v17, -v5, v16, v14
	v_fmac_f32_e32 v16, v17, v15
	v_fma_f32 v5, -v5, v16, v14
	v_div_fmas_f32 v5, v5, v15, v16
	v_div_fixup_f32 v4, v5, v2, v4
	v_fma_f32 v4, v4, v4, 1.0
	v_mul_f32_e32 v5, 0x4f800000, v4
	v_cmp_gt_f32_e32 vcc, s24, v4
	v_cndmask_b32_e32 v4, v4, v5, vcc
	v_sqrt_f32_e32 v5, v4
	v_add_u32_e32 v14, -1, v5
	v_add_u32_e32 v15, 1, v5
	v_fma_f32 v16, -v14, v5, v4
	v_fma_f32 v17, -v15, v5, v4
	v_cmp_ge_f32_e64 s[4:5], 0, v16
	v_cndmask_b32_e64 v5, v5, v14, s[4:5]
	v_cmp_lt_f32_e64 s[4:5], 0, v17
	v_cndmask_b32_e64 v5, v5, v15, s[4:5]
	v_mul_f32_e32 v14, 0x37800000, v5
	v_cndmask_b32_e32 v5, v5, v14, vcc
	v_cmp_class_f32_e32 vcc, v4, v13
	v_cndmask_b32_e32 v4, v5, v4, vcc
	v_mul_f32_e32 v5, v2, v4
.LBB55_112:                             ;   in Loop: Header=BB55_105 Depth=1
	s_or_b64 exec, exec, s[8:9]
	v_mul_f32_e32 v2, 0x4f800000, v5
	v_cmp_gt_f32_e32 vcc, s24, v5
	v_cndmask_b32_e32 v2, v5, v2, vcc
	v_sqrt_f32_e32 v4, v2
	v_add_u32_e32 v5, -1, v4
	v_fma_f32 v15, -v5, v4, v2
	v_add_u32_e32 v14, 1, v4
	v_cmp_ge_f32_e64 s[4:5], 0, v15
	v_cndmask_b32_e64 v5, v4, v5, s[4:5]
	v_fma_f32 v4, -v14, v4, v2
	v_cmp_lt_f32_e64 s[4:5], 0, v4
	v_cndmask_b32_e64 v4, v5, v14, s[4:5]
	v_mul_f32_e32 v5, 0x37800000, v4
	v_cndmask_b32_e32 v4, v4, v5, vcc
	v_cmp_class_f32_e32 vcc, v2, v13
	v_cndmask_b32_e32 v2, v4, v2, vcc
	ds_write_b64 v8, v[2:3]
.LBB55_113:                             ;   in Loop: Header=BB55_105 Depth=1
	s_or_b64 exec, exec, s[6:7]
	s_lshl_b32 s4, s18, 3
	s_mul_i32 s5, s18, 0x88
	s_add_i32 s5, s5, s4
	v_mov_b32_e32 v2, s5
	s_waitcnt lgkmcnt(0)
	ds_read_b64 v[14:15], v2 offset:4352
	v_add_u32_e32 v2, s4, v6
	ds_read_b64 v[4:5], v2
	s_waitcnt lgkmcnt(1)
	v_cmp_neq_f32_e32 vcc, 0, v14
	v_cmp_neq_f32_e64 s[4:5], 0, v15
	s_or_b64 vcc, vcc, s[4:5]
	v_cndmask_b32_e32 v15, 0, v15, vcc
	s_nor_b64 s[6:7], vcc, s[2:3]
	v_cndmask_b32_e32 v14, 1.0, v14, vcc
	s_and_saveexec_b64 s[4:5], s[6:7]
	s_cbranch_execz .LBB55_117
; %bb.114:                              ;   in Loop: Header=BB55_105 Depth=1
	v_mbcnt_lo_u32_b32 v14, exec_lo, 0
	v_mbcnt_hi_u32_b32 v14, exec_hi, v14
	v_cmp_eq_u32_e32 vcc, 0, v14
	s_and_saveexec_b64 s[6:7], vcc
	s_cbranch_execz .LBB55_116
; %bb.115:                              ;   in Loop: Header=BB55_105 Depth=1
	v_mov_b32_e32 v14, s19
	global_atomic_smin v3, v14, s[14:15]
.LBB55_116:                             ;   in Loop: Header=BB55_105 Depth=1
	s_or_b64 exec, exec, s[6:7]
	v_mov_b32_e32 v14, 1.0
	v_mov_b32_e32 v15, 0
.LBB55_117:                             ;   in Loop: Header=BB55_105 Depth=1
	s_or_b64 exec, exec, s[4:5]
	v_cmp_lt_u32_e32 vcc, s18, v1
	s_and_saveexec_b64 s[4:5], vcc
	s_cbranch_execz .LBB55_104
; %bb.118:                              ;   in Loop: Header=BB55_105 Depth=1
	v_mul_f32_e32 v18, v15, v15
	v_fmac_f32_e32 v18, v14, v14
	v_div_scale_f32 v16, s[6:7], v18, v18, 1.0
	v_div_scale_f32 v17, vcc, 1.0, v18, 1.0
	v_rcp_f32_e32 v19, v16
	v_fma_f32 v20, -v16, v19, 1.0
	v_fmac_f32_e32 v19, v20, v19
	v_mul_f32_e32 v20, v17, v19
	v_fma_f32 v21, -v16, v20, v17
	v_fmac_f32_e32 v20, v21, v19
	v_fma_f32 v16, -v16, v20, v17
	v_div_fmas_f32 v19, v16, v19, v20
	v_lshl_add_u32 v16, s18, 3, v7
	ds_read_b64 v[16:17], v16
	s_waitcnt lgkmcnt(0)
	v_sub_f32_e32 v4, v4, v16
	v_sub_f32_e32 v5, v5, v17
	v_mul_f32_e32 v16, v15, v5
	v_mul_f32_e64 v15, v15, -v4
	v_fmac_f32_e32 v16, v4, v14
	v_fmac_f32_e32 v15, v5, v14
	v_div_fixup_f32 v5, v19, v18, 1.0
	v_mul_f32_e32 v4, v5, v16
	v_mul_f32_e32 v5, v5, v15
	ds_write_b64 v2, v[4:5]
	s_waitcnt lgkmcnt(0)
	s_and_b64 exec, exec, s[0:1]
	s_cbranch_execz .LBB55_104
; %bb.119:                              ;   in Loop: Header=BB55_105 Depth=1
	s_mov_b64 s[6:7], 0
	v_mov_b32_e32 v2, v12
	v_mov_b32_e32 v14, v10
	;; [unrolled: 1-line block ×3, first 2 shown]
.LBB55_120:                             ;   Parent Loop BB55_105 Depth=1
                                        ; =>  This Inner Loop Header: Depth=2
	ds_read_b64 v[16:17], v2
	ds_read_b64 v[18:19], v14
	v_add_u32_e32 v15, 4, v15
	v_cmp_le_i32_e32 vcc, s44, v15
	s_or_b64 s[6:7], vcc, s[6:7]
	v_add_u32_e32 v2, 0x220, v2
	s_waitcnt lgkmcnt(0)
	v_fma_f32 v18, v4, v16, v18
	v_fmac_f32_e32 v19, v5, v16
	v_fmac_f32_e32 v18, v5, v17
	v_fma_f32 v19, v4, -v17, v19
	ds_write_b64 v14, v[18:19]
	v_add_u32_e32 v14, 32, v14
	s_andn2_b64 exec, exec, s[6:7]
	s_cbranch_execnz .LBB55_120
	s_branch .LBB55_104
.LBB55_121:
	s_and_saveexec_b64 s[2:3], s[0:1]
	s_cbranch_execz .LBB55_130
; %bb.122:
	s_mul_i32 s33, s33, s44
	v_add_u32_e32 v2, s33, v1
	v_mul_lo_u32 v4, v2, s44
	s_cmp_lg_u32 s45, 0
	v_mul_u32_u24_e32 v2, 0x88, v1
	s_movk_i32 s6, 0x1100
	v_cmp_gt_i32_e64 s[0:1], s44, v1
	s_cselect_b64 s[4:5], -1, 0
	v_add3_u32 v5, v2, v11, s6
	s_mov_b64 s[6:7], 0
	v_mov_b32_e32 v6, v0
	s_branch .LBB55_126
.LBB55_123:                             ;   in Loop: Header=BB55_126 Depth=1
	v_add_u32_e32 v2, v4, v6
.LBB55_124:                             ;   in Loop: Header=BB55_126 Depth=1
	v_ashrrev_i32_e32 v3, 31, v2
	ds_read_b64 v[7:8], v5
	v_lshlrev_b64 v[2:3], 3, v[2:3]
	v_mov_b32_e32 v9, s23
	v_add_co_u32_e32 v2, vcc, s22, v2
	v_addc_co_u32_e32 v3, vcc, v9, v3, vcc
	s_waitcnt lgkmcnt(0)
	global_store_dwordx2 v[2:3], v[7:8], off
.LBB55_125:                             ;   in Loop: Header=BB55_126 Depth=1
	s_or_b64 exec, exec, s[8:9]
	v_add_u32_e32 v6, 4, v6
	v_cmp_le_i32_e32 vcc, s44, v6
	s_or_b64 s[6:7], vcc, s[6:7]
	v_add_u32_e32 v5, 32, v5
	s_andn2_b64 exec, exec, s[6:7]
	s_cbranch_execz .LBB55_130
.LBB55_126:                             ; =>This Inner Loop Header: Depth=1
	s_and_saveexec_b64 s[8:9], s[0:1]
	s_cbranch_execz .LBB55_125
; %bb.127:                              ;   in Loop: Header=BB55_126 Depth=1
	s_and_b64 vcc, exec, s[4:5]
	s_cbranch_vccz .LBB55_129
; %bb.128:                              ;   in Loop: Header=BB55_126 Depth=1
	v_add_u32_e32 v2, s33, v6
	v_mad_u64_u32 v[2:3], s[16:17], v2, s44, v[1:2]
	s_cbranch_execnz .LBB55_124
	s_branch .LBB55_123
.LBB55_129:                             ;   in Loop: Header=BB55_126 Depth=1
                                        ; implicit-def: $vgpr2
	s_branch .LBB55_123
.LBB55_130:
	s_or_b64 exec, exec, s[2:3]
	v_or_b32_e32 v2, v0, v1
	v_cmp_eq_u32_e32 vcc, 0, v2
	s_and_saveexec_b64 s[0:1], vcc
	s_cbranch_execz .LBB55_132
; %bb.131:
	s_add_u32 s2, s10, s12
	s_addc_u32 s3, s11, s13
	v_mov_b32_e32 v2, 0
	v_mov_b32_e32 v3, 1
	s_waitcnt vmcnt(0)
	global_store_dword v2, v3, s[2:3]
.LBB55_132:
	s_or_b64 exec, exec, s[0:1]
.LBB55_133:
	s_endpgm
.LBB55_134:
	s_cbranch_execz .LBB55_133
; %bb.135:
	v_or_b32_e32 v0, v0, v1
	v_cmp_eq_u32_e32 vcc, 0, v0
	s_and_saveexec_b64 s[0:1], vcc
	s_cbranch_execz .LBB55_133
; %bb.136:
	v_mbcnt_lo_u32_b32 v0, exec_lo, 0
	v_mbcnt_hi_u32_b32 v0, exec_hi, v0
	v_cmp_eq_u32_e32 vcc, 0, v0
	s_and_saveexec_b64 s[0:1], vcc
	s_cbranch_execz .LBB55_138
; %bb.137:
	s_add_i32 s2, s20, s21
	v_mov_b32_e32 v0, 0
	v_mov_b32_e32 v1, s2
	global_atomic_smin v0, v1, s[14:15]
.LBB55_138:
	s_or_b64 exec, exec, s[0:1]
	s_add_u32 s0, s10, s12
	s_addc_u32 s1, s11, s13
	v_mov_b32_e32 v0, 0
	v_mov_b32_e32 v1, 1
	s_waitcnt vmcnt(0)
	global_store_dword v0, v1, s[0:1]
	s_endpgm
	.section	.rodata,"a",@progbits
	.p2align	6, 0x0
	.amdhsa_kernel _ZN9rocsparseL18bsric0_9_16_kernelILi64ELi128ELi16E21rocsparse_complex_numIfEEEv20rocsparse_direction_iiPKiS5_PT2_S5_PiS5_S8_21rocsparse_index_base_
		.amdhsa_group_segment_fixed_size 10240
		.amdhsa_private_segment_fixed_size 0
		.amdhsa_kernarg_size 76
		.amdhsa_user_sgpr_count 6
		.amdhsa_user_sgpr_private_segment_buffer 1
		.amdhsa_user_sgpr_dispatch_ptr 0
		.amdhsa_user_sgpr_queue_ptr 0
		.amdhsa_user_sgpr_kernarg_segment_ptr 1
		.amdhsa_user_sgpr_dispatch_id 0
		.amdhsa_user_sgpr_flat_scratch_init 0
		.amdhsa_user_sgpr_private_segment_size 0
		.amdhsa_uses_dynamic_stack 0
		.amdhsa_system_sgpr_private_segment_wavefront_offset 0
		.amdhsa_system_sgpr_workgroup_id_x 1
		.amdhsa_system_sgpr_workgroup_id_y 0
		.amdhsa_system_sgpr_workgroup_id_z 0
		.amdhsa_system_sgpr_workgroup_info 0
		.amdhsa_system_vgpr_workitem_id 1
		.amdhsa_next_free_vgpr 85
		.amdhsa_next_free_sgpr 98
		.amdhsa_reserve_vcc 1
		.amdhsa_reserve_flat_scratch 0
		.amdhsa_float_round_mode_32 0
		.amdhsa_float_round_mode_16_64 0
		.amdhsa_float_denorm_mode_32 3
		.amdhsa_float_denorm_mode_16_64 3
		.amdhsa_dx10_clamp 1
		.amdhsa_ieee_mode 1
		.amdhsa_fp16_overflow 0
		.amdhsa_exception_fp_ieee_invalid_op 0
		.amdhsa_exception_fp_denorm_src 0
		.amdhsa_exception_fp_ieee_div_zero 0
		.amdhsa_exception_fp_ieee_overflow 0
		.amdhsa_exception_fp_ieee_underflow 0
		.amdhsa_exception_fp_ieee_inexact 0
		.amdhsa_exception_int_div_zero 0
	.end_amdhsa_kernel
	.section	.text._ZN9rocsparseL18bsric0_9_16_kernelILi64ELi128ELi16E21rocsparse_complex_numIfEEEv20rocsparse_direction_iiPKiS5_PT2_S5_PiS5_S8_21rocsparse_index_base_,"axG",@progbits,_ZN9rocsparseL18bsric0_9_16_kernelILi64ELi128ELi16E21rocsparse_complex_numIfEEEv20rocsparse_direction_iiPKiS5_PT2_S5_PiS5_S8_21rocsparse_index_base_,comdat
.Lfunc_end55:
	.size	_ZN9rocsparseL18bsric0_9_16_kernelILi64ELi128ELi16E21rocsparse_complex_numIfEEEv20rocsparse_direction_iiPKiS5_PT2_S5_PiS5_S8_21rocsparse_index_base_, .Lfunc_end55-_ZN9rocsparseL18bsric0_9_16_kernelILi64ELi128ELi16E21rocsparse_complex_numIfEEEv20rocsparse_direction_iiPKiS5_PT2_S5_PiS5_S8_21rocsparse_index_base_
                                        ; -- End function
	.set _ZN9rocsparseL18bsric0_9_16_kernelILi64ELi128ELi16E21rocsparse_complex_numIfEEEv20rocsparse_direction_iiPKiS5_PT2_S5_PiS5_S8_21rocsparse_index_base_.num_vgpr, 29
	.set _ZN9rocsparseL18bsric0_9_16_kernelILi64ELi128ELi16E21rocsparse_complex_numIfEEEv20rocsparse_direction_iiPKiS5_PT2_S5_PiS5_S8_21rocsparse_index_base_.num_agpr, 0
	.set _ZN9rocsparseL18bsric0_9_16_kernelILi64ELi128ELi16E21rocsparse_complex_numIfEEEv20rocsparse_direction_iiPKiS5_PT2_S5_PiS5_S8_21rocsparse_index_base_.numbered_sgpr, 54
	.set _ZN9rocsparseL18bsric0_9_16_kernelILi64ELi128ELi16E21rocsparse_complex_numIfEEEv20rocsparse_direction_iiPKiS5_PT2_S5_PiS5_S8_21rocsparse_index_base_.num_named_barrier, 0
	.set _ZN9rocsparseL18bsric0_9_16_kernelILi64ELi128ELi16E21rocsparse_complex_numIfEEEv20rocsparse_direction_iiPKiS5_PT2_S5_PiS5_S8_21rocsparse_index_base_.private_seg_size, 0
	.set _ZN9rocsparseL18bsric0_9_16_kernelILi64ELi128ELi16E21rocsparse_complex_numIfEEEv20rocsparse_direction_iiPKiS5_PT2_S5_PiS5_S8_21rocsparse_index_base_.uses_vcc, 1
	.set _ZN9rocsparseL18bsric0_9_16_kernelILi64ELi128ELi16E21rocsparse_complex_numIfEEEv20rocsparse_direction_iiPKiS5_PT2_S5_PiS5_S8_21rocsparse_index_base_.uses_flat_scratch, 0
	.set _ZN9rocsparseL18bsric0_9_16_kernelILi64ELi128ELi16E21rocsparse_complex_numIfEEEv20rocsparse_direction_iiPKiS5_PT2_S5_PiS5_S8_21rocsparse_index_base_.has_dyn_sized_stack, 0
	.set _ZN9rocsparseL18bsric0_9_16_kernelILi64ELi128ELi16E21rocsparse_complex_numIfEEEv20rocsparse_direction_iiPKiS5_PT2_S5_PiS5_S8_21rocsparse_index_base_.has_recursion, 0
	.set _ZN9rocsparseL18bsric0_9_16_kernelILi64ELi128ELi16E21rocsparse_complex_numIfEEEv20rocsparse_direction_iiPKiS5_PT2_S5_PiS5_S8_21rocsparse_index_base_.has_indirect_call, 0
	.section	.AMDGPU.csdata,"",@progbits
; Kernel info:
; codeLenInByte = 4360
; TotalNumSgprs: 58
; NumVgprs: 29
; ScratchSize: 0
; MemoryBound: 0
; FloatMode: 240
; IeeeMode: 1
; LDSByteSize: 10240 bytes/workgroup (compile time only)
; SGPRBlocks: 12
; VGPRBlocks: 21
; NumSGPRsForWavesPerEU: 102
; NumVGPRsForWavesPerEU: 85
; Occupancy: 2
; WaveLimiterHint : 1
; COMPUTE_PGM_RSRC2:SCRATCH_EN: 0
; COMPUTE_PGM_RSRC2:USER_SGPR: 6
; COMPUTE_PGM_RSRC2:TRAP_HANDLER: 0
; COMPUTE_PGM_RSRC2:TGID_X_EN: 1
; COMPUTE_PGM_RSRC2:TGID_Y_EN: 0
; COMPUTE_PGM_RSRC2:TGID_Z_EN: 0
; COMPUTE_PGM_RSRC2:TIDIG_COMP_CNT: 1
	.section	.text._ZN9rocsparseL19bsric0_17_32_kernelILi64ELi128ELi32E21rocsparse_complex_numIfEEEv20rocsparse_direction_iiPKiS5_PT2_S5_PiS5_S8_21rocsparse_index_base_,"axG",@progbits,_ZN9rocsparseL19bsric0_17_32_kernelILi64ELi128ELi32E21rocsparse_complex_numIfEEEv20rocsparse_direction_iiPKiS5_PT2_S5_PiS5_S8_21rocsparse_index_base_,comdat
	.globl	_ZN9rocsparseL19bsric0_17_32_kernelILi64ELi128ELi32E21rocsparse_complex_numIfEEEv20rocsparse_direction_iiPKiS5_PT2_S5_PiS5_S8_21rocsparse_index_base_ ; -- Begin function _ZN9rocsparseL19bsric0_17_32_kernelILi64ELi128ELi32E21rocsparse_complex_numIfEEEv20rocsparse_direction_iiPKiS5_PT2_S5_PiS5_S8_21rocsparse_index_base_
	.p2align	8
	.type	_ZN9rocsparseL19bsric0_17_32_kernelILi64ELi128ELi32E21rocsparse_complex_numIfEEEv20rocsparse_direction_iiPKiS5_PT2_S5_PiS5_S8_21rocsparse_index_base_,@function
_ZN9rocsparseL19bsric0_17_32_kernelILi64ELi128ELi32E21rocsparse_complex_numIfEEEv20rocsparse_direction_iiPKiS5_PT2_S5_PiS5_S8_21rocsparse_index_base_: ; @_ZN9rocsparseL19bsric0_17_32_kernelILi64ELi128ELi32E21rocsparse_complex_numIfEEEv20rocsparse_direction_iiPKiS5_PT2_S5_PiS5_S8_21rocsparse_index_base_
; %bb.0:
	s_load_dwordx8 s[8:15], s[4:5], 0x28
	s_mov_b32 s7, 0
	s_lshl_b64 s[0:1], s[6:7], 2
	s_waitcnt lgkmcnt(0)
	s_add_u32 s0, s12, s0
	s_addc_u32 s1, s13, s1
	s_load_dword s20, s[0:1], 0x0
	s_waitcnt lgkmcnt(0)
	s_ashr_i32 s21, s20, 31
	s_lshl_b64 s[12:13], s[20:21], 2
	s_add_u32 s0, s8, s12
	s_addc_u32 s1, s9, s13
	s_load_dword s33, s[0:1], 0x0
	s_load_dword s21, s[4:5], 0x48
	s_waitcnt lgkmcnt(0)
	s_cmp_lg_u32 s33, -1
	s_cbranch_scc0 .LBB56_124
; %bb.1:
	s_load_dwordx4 s[16:19], s[4:5], 0x10
	s_load_dwordx2 s[22:23], s[4:5], 0x20
	v_lshlrev_b32_e32 v2, 1, v1
	v_lshlrev_b32_e32 v12, 3, v1
	s_waitcnt lgkmcnt(0)
	s_add_u32 s0, s16, s12
	s_addc_u32 s1, s17, s13
	s_load_dword s0, s[0:1], 0x0
	s_waitcnt lgkmcnt(0)
	s_sub_i32 s48, s0, s21
	v_add3_u32 v2, v2, v0, s48
	v_cmp_ge_i32_e32 vcc, s33, v2
	s_and_saveexec_b64 s[0:1], vcc
	s_cbranch_execz .LBB56_4
; %bb.2:
	v_lshlrev_b32_e32 v3, 2, v0
	s_movk_i32 s2, 0x6700
	v_add3_u32 v4, v12, v3, s2
	s_mov_b64 s[2:3], 0
	v_mov_b32_e32 v5, s19
.LBB56_3:                               ; =>This Inner Loop Header: Depth=1
	v_ashrrev_i32_e32 v3, 31, v2
	v_lshlrev_b64 v[6:7], 2, v[2:3]
	v_add_u32_e32 v2, 64, v2
	v_add_co_u32_e32 v6, vcc, s18, v6
	v_addc_co_u32_e32 v7, vcc, v5, v7, vcc
	global_load_dword v3, v[6:7], off
	v_cmp_lt_i32_e32 vcc, s33, v2
	s_or_b64 s[2:3], vcc, s[2:3]
	s_waitcnt vmcnt(0)
	v_subrev_u32_e32 v3, s21, v3
	ds_write_b32 v4, v3
	v_add_u32_e32 v4, 0x100, v4
	s_andn2_b64 exec, exec, s[2:3]
	s_cbranch_execnz .LBB56_3
.LBB56_4:
	s_or_b64 exec, exec, s[0:1]
	v_cmp_gt_u32_e32 vcc, 32, v0
	v_lshlrev_b32_e32 v11, 3, v0
	s_and_saveexec_b64 s[0:1], vcc
	s_cbranch_execz .LBB56_7
; %bb.5:
	v_mul_u32_u24_e32 v2, 0x108, v1
	s_movk_i32 s2, 0x4200
	v_add3_u32 v5, v2, v11, s2
	v_mov_b32_e32 v2, 0
	v_add_u32_e32 v4, -2, v0
	s_mov_b64 s[2:3], 0
	v_mov_b32_e32 v3, v2
.LBB56_6:                               ; =>This Inner Loop Header: Depth=1
	v_add_u32_e32 v4, 2, v4
	v_cmp_lt_u32_e32 vcc, 29, v4
	ds_write_b64 v5, v[2:3]
	s_or_b64 s[2:3], vcc, s[2:3]
	v_add_u32_e32 v5, 16, v5
	s_andn2_b64 exec, exec, s[2:3]
	s_cbranch_execnz .LBB56_6
.LBB56_7:
	s_or_b64 exec, exec, s[0:1]
	s_load_dword s46, s[4:5], 0x8
	s_load_dword s47, s[4:5], 0x0
	s_cmp_ge_i32 s48, s33
	s_waitcnt lgkmcnt(0)
	v_cmp_gt_i32_e64 s[0:1], s46, v0
	s_cbranch_scc1 .LBB56_79
; %bb.8:
	v_or_b32_e32 v3, v0, v1
	s_mul_i32 s7, s46, s48
	v_cmp_ne_u32_e64 s[4:5], 0, v3
	v_add_u32_e32 v3, s7, v1
	s_cmp_eq_u32 s47, 0
	v_mul_lo_u32 v15, s46, v1
	v_mul_lo_u32 v18, s46, v3
	;; [unrolled: 1-line block ×3, first 2 shown]
	s_cselect_b64 s[24:25], -1, 0
	s_cmp_lg_u32 s47, 0
	s_movk_i32 s6, 0x108
	s_cselect_b64 s[26:27], -1, 0
	v_mov_b32_e32 v2, 0x2100
	s_cmp_gt_i32 s46, 0
	v_mad_u32_u24 v16, v1, s6, v11
	s_mul_i32 s49, s46, s46
	v_cmp_gt_i32_e64 s[2:3], s46, v1
	v_mul_u32_u24_e32 v13, 0x108, v1
	v_mad_u32_u24 v14, v1, s6, v2
	s_cselect_b64 s[28:29], -1, 0
	s_lshl_b32 s50, s46, 1
	v_add_u32_e32 v19, 0x4200, v16
	v_mad_u32_u24 v20, v0, s6, v2
	v_add_u32_e32 v21, 0x2100, v16
	v_mov_b32_e32 v2, 0
	s_mov_b32 s30, s48
	s_branch .LBB56_10
.LBB56_9:                               ;   in Loop: Header=BB56_10 Depth=1
	s_or_b64 exec, exec, s[6:7]
	s_add_i32 s30, s30, 1
	s_cmp_ge_i32 s30, s33
	s_waitcnt vmcnt(0)
	buffer_wbinvl1_vol
	v_add_u32_e32 v18, s49, v18
	s_cselect_b64 s[6:7], -1, 0
	s_and_b64 vcc, exec, s[6:7]
	s_cbranch_vccnz .LBB56_79
.LBB56_10:                              ; =>This Loop Header: Depth=1
                                        ;     Child Loop BB56_14 Depth 2
                                        ;     Child Loop BB56_26 Depth 2
	;; [unrolled: 1-line block ×4, first 2 shown]
                                        ;       Child Loop BB56_43 Depth 3
                                        ;         Child Loop BB56_48 Depth 4
                                        ;     Child Loop BB56_57 Depth 2
                                        ;       Child Loop BB56_64 Depth 3
                                        ;       Child Loop BB56_68 Depth 3
                                        ;     Child Loop BB56_73 Depth 2
	s_ashr_i32 s31, s30, 31
	s_lshl_b64 s[6:7], s[30:31], 2
	s_add_u32 s6, s18, s6
	s_addc_u32 s7, s19, s7
	s_load_dword s51, s[6:7], 0x0
	s_waitcnt lgkmcnt(0)
	s_sub_i32 s34, s51, s21
	s_ashr_i32 s35, s34, 31
	s_lshl_b64 s[6:7], s[34:35], 2
	s_add_u32 s36, s8, s6
	s_addc_u32 s37, s9, s7
	s_load_dword s52, s[36:37], 0x0
	s_waitcnt lgkmcnt(0)
	s_cmp_eq_u32 s52, -1
	s_cbranch_scc1 .LBB56_78
; %bb.11:                               ;   in Loop: Header=BB56_10 Depth=1
	s_add_u32 s36, s16, s6
	s_addc_u32 s37, s17, s7
	s_load_dword s35, s[36:37], 0x0
	s_mul_i32 s31, s30, s46
	s_and_saveexec_b64 s[36:37], s[0:1]
	s_cbranch_execz .LBB56_24
; %bb.12:                               ;   in Loop: Header=BB56_10 Depth=1
	s_mov_b64 s[38:39], 0
	v_mov_b32_e32 v6, v16
	v_mov_b32_e32 v7, v0
	s_branch .LBB56_14
.LBB56_13:                              ;   in Loop: Header=BB56_14 Depth=2
	s_or_b64 exec, exec, s[42:43]
	v_add_u32_e32 v7, 2, v7
	v_mov_b32_e32 v3, v2
	v_cmp_le_i32_e32 vcc, s46, v7
	s_waitcnt vmcnt(0)
	ds_write_b64 v6, v[4:5] offset:8448
	ds_write_b64 v6, v[2:3]
	s_or_b64 s[38:39], vcc, s[38:39]
	v_add_u32_e32 v6, 16, v6
	s_andn2_b64 exec, exec, s[38:39]
	s_cbranch_execz .LBB56_24
.LBB56_14:                              ;   Parent Loop BB56_10 Depth=1
                                        ; =>  This Inner Loop Header: Depth=2
	s_mov_b64 s[42:43], -1
	s_and_b64 vcc, exec, s[26:27]
	s_mov_b64 s[40:41], 0
                                        ; implicit-def: $vgpr3
	s_cbranch_vccz .LBB56_19
; %bb.15:                               ;   in Loop: Header=BB56_14 Depth=2
	s_mov_b64 s[42:43], 0
                                        ; implicit-def: $vgpr3
	s_and_saveexec_b64 s[44:45], s[2:3]
	s_xor_b64 s[44:45], exec, s[44:45]
; %bb.16:                               ;   in Loop: Header=BB56_14 Depth=2
	v_add_u32_e32 v3, s31, v7
	v_mad_u64_u32 v[3:4], s[54:55], v3, s46, v[1:2]
	s_mov_b64 s[40:41], exec
; %bb.17:                               ;   in Loop: Header=BB56_14 Depth=2
	s_or_b64 exec, exec, s[44:45]
	s_and_b64 vcc, exec, s[42:43]
	s_cbranch_vccnz .LBB56_20
.LBB56_18:                              ;   in Loop: Header=BB56_14 Depth=2
	v_mov_b32_e32 v4, 0
	v_mov_b32_e32 v5, 0
	s_and_saveexec_b64 s[42:43], s[40:41]
	s_cbranch_execz .LBB56_13
	s_branch .LBB56_23
.LBB56_19:                              ;   in Loop: Header=BB56_14 Depth=2
	s_and_b64 vcc, exec, s[42:43]
	s_cbranch_vccz .LBB56_18
.LBB56_20:                              ;   in Loop: Header=BB56_14 Depth=2
                                        ; implicit-def: $vgpr3
	s_and_saveexec_b64 s[42:43], s[2:3]
; %bb.21:                               ;   in Loop: Header=BB56_14 Depth=2
	v_add_u32_e32 v3, v18, v7
	s_or_b64 s[40:41], s[40:41], exec
; %bb.22:                               ;   in Loop: Header=BB56_14 Depth=2
	s_or_b64 exec, exec, s[42:43]
	v_mov_b32_e32 v4, 0
	v_mov_b32_e32 v5, 0
	s_and_saveexec_b64 s[42:43], s[40:41]
	s_cbranch_execz .LBB56_13
.LBB56_23:                              ;   in Loop: Header=BB56_14 Depth=2
	v_ashrrev_i32_e32 v4, 31, v3
	v_lshlrev_b64 v[3:4], 3, v[3:4]
	v_mov_b32_e32 v5, s23
	v_add_co_u32_e32 v3, vcc, s22, v3
	v_addc_co_u32_e32 v4, vcc, v5, v4, vcc
	global_load_dwordx2 v[4:5], v[3:4], off
	s_branch .LBB56_13
.LBB56_24:                              ;   in Loop: Header=BB56_10 Depth=1
	s_or_b64 exec, exec, s[36:37]
	ds_read_b32 v3, v2 offset:26368
	s_waitcnt lgkmcnt(0)
	s_sub_i32 s36, s35, s21
	s_cmp_le_i32 s36, s52
	s_cselect_b64 s[38:39], -1, 0
	s_mov_b32 s37, 0
	v_cmp_ge_i32_e32 vcc, s34, v3
	s_and_b64 s[38:39], s[38:39], vcc
	s_andn2_b64 vcc, exec, s[38:39]
	s_cbranch_vccnz .LBB56_36
; %bb.25:                               ;   in Loop: Header=BB56_10 Depth=1
	s_mov_b32 s35, 0
	s_mov_b32 s40, 0
.LBB56_26:                              ;   Parent Loop BB56_10 Depth=1
                                        ; =>  This Inner Loop Header: Depth=2
	s_ashr_i32 s37, s36, 31
	s_lshl_b64 s[38:39], s[36:37], 2
	s_add_u32 s38, s18, s38
	s_addc_u32 s39, s19, s39
	s_load_dword s37, s[38:39], 0x0
	s_lshl_b32 s38, s40, 2
	v_mov_b32_e32 v3, s38
	ds_read_b32 v3, v3 offset:26368
	s_mov_b64 s[38:39], -1
	s_waitcnt lgkmcnt(0)
	s_sub_i32 s44, s37, s21
                                        ; implicit-def: $sgpr37
                                        ; implicit-def: $sgpr43
                                        ; implicit-def: $sgpr42
	v_cmp_ge_i32_e32 vcc, s44, v3
	v_readfirstlane_b32 s41, v3
	s_cbranch_vccz .LBB56_32
; %bb.27:                               ;   in Loop: Header=BB56_26 Depth=2
	s_cmp_le_i32 s44, s41
                                        ; implicit-def: $sgpr37
                                        ; implicit-def: $sgpr43
                                        ; implicit-def: $sgpr42
	s_cbranch_scc0 .LBB56_29
; %bb.28:                               ;   in Loop: Header=BB56_26 Depth=2
	s_add_i32 s37, s40, s48
	s_mul_i32 s37, s37, s49
	s_lshl_b32 s38, s35, 2
	v_mov_b32_e32 v4, s37
	s_mul_i32 s37, s36, s49
	v_mov_b32_e32 v3, s38
	v_mov_b32_e32 v5, s37
	ds_write2st64_b32 v3, v5, v4 offset0:99 offset1:101
	s_add_i32 s42, s40, 1
	s_add_i32 s43, s36, 1
	;; [unrolled: 1-line block ×3, first 2 shown]
	s_mov_b64 s[38:39], 0
.LBB56_29:                              ;   in Loop: Header=BB56_26 Depth=2
	s_andn2_b64 vcc, exec, s[38:39]
	s_cbranch_vccnz .LBB56_31
; %bb.30:                               ;   in Loop: Header=BB56_26 Depth=2
	s_add_i32 s42, s40, 1
	s_mov_b32 s37, s35
	s_mov_b32 s43, s36
.LBB56_31:                              ;   in Loop: Header=BB56_26 Depth=2
	s_mov_b64 s[38:39], 0
.LBB56_32:                              ;   in Loop: Header=BB56_26 Depth=2
	s_andn2_b64 vcc, exec, s[38:39]
	s_cbranch_vccnz .LBB56_34
; %bb.33:                               ;   in Loop: Header=BB56_26 Depth=2
	s_add_i32 s43, s36, 1
	s_mov_b32 s42, s40
	s_mov_b32 s37, s35
.LBB56_34:                              ;   in Loop: Header=BB56_26 Depth=2
	s_cmp_le_i32 s43, s52
	s_cselect_b64 s[38:39], -1, 0
	s_cmp_le_i32 s41, s34
	s_cselect_b64 s[40:41], -1, 0
	s_and_b64 s[38:39], s[38:39], s[40:41]
	s_and_b64 vcc, exec, s[38:39]
	s_cbranch_vccz .LBB56_36
; %bb.35:                               ;   in Loop: Header=BB56_26 Depth=2
	s_mov_b32 s35, s37
	s_mov_b32 s36, s43
	s_mov_b32 s40, s42
	s_branch .LBB56_26
.LBB56_36:                              ;   in Loop: Header=BB56_10 Depth=1
	s_add_u32 s6, s10, s6
	s_addc_u32 s7, s11, s7
	s_waitcnt lgkmcnt(0)
.LBB56_37:                              ;   Parent Loop BB56_10 Depth=1
                                        ; =>  This Inner Loop Header: Depth=2
	global_load_dword v3, v2, s[6:7] glc
	s_waitcnt vmcnt(0)
	v_cmp_eq_u32_e32 vcc, 0, v3
	s_cbranch_vccnz .LBB56_37
; %bb.38:                               ;   in Loop: Header=BB56_10 Depth=1
	s_cmp_lt_i32 s37, 2
	buffer_wbinvl1_vol
	s_cbranch_scc1 .LBB56_54
; %bb.39:                               ;   in Loop: Header=BB56_10 Depth=1
	s_add_i32 s38, s37, -2
	s_mov_b32 s39, 0
	s_branch .LBB56_41
.LBB56_40:                              ;   in Loop: Header=BB56_41 Depth=2
	s_or_b64 exec, exec, s[6:7]
	s_add_i32 s6, s39, 1
	s_cmp_eq_u32 s39, s38
	s_mov_b32 s39, s6
	s_cbranch_scc1 .LBB56_54
.LBB56_41:                              ;   Parent Loop BB56_10 Depth=1
                                        ; =>  This Loop Header: Depth=2
                                        ;       Child Loop BB56_43 Depth 3
                                        ;         Child Loop BB56_48 Depth 4
	s_and_saveexec_b64 s[6:7], s[0:1]
	s_cbranch_execz .LBB56_40
; %bb.42:                               ;   in Loop: Header=BB56_41 Depth=2
	s_lshl_b32 s34, s39, 2
	v_mov_b32_e32 v3, s34
	ds_read2st64_b32 v[3:4], v3 offset0:99 offset1:101
	s_mov_b64 s[34:35], 0
	v_mov_b32_e32 v26, v0
	s_waitcnt lgkmcnt(0)
	v_add_u32_e32 v22, v4, v15
	v_add_u32_e32 v23, v1, v4
	;; [unrolled: 1-line block ×4, first 2 shown]
.LBB56_43:                              ;   Parent Loop BB56_10 Depth=1
                                        ;     Parent Loop BB56_41 Depth=2
                                        ; =>    This Loop Header: Depth=3
                                        ;         Child Loop BB56_48 Depth 4
	v_mov_b32_e32 v27, 0
	s_mov_b32 s40, 0
	v_mov_b32_e32 v3, v24
	v_mov_b32_e32 v5, v23
	;; [unrolled: 1-line block ×3, first 2 shown]
	s_mov_b64 s[36:37], -1
	s_and_b64 vcc, exec, s[26:27]
                                        ; implicit-def: $vgpr6
                                        ; implicit-def: $vgpr4
	s_cbranch_vccz .LBB56_48
	s_branch .LBB56_45
.LBB56_44:                              ;   in Loop: Header=BB56_48 Depth=4
	v_mov_b32_e32 v27, v6
	v_mov_b32_e32 v28, v4
	s_mov_b64 s[36:37], -1
	s_and_b64 vcc, exec, s[26:27]
                                        ; implicit-def: $vgpr6
                                        ; implicit-def: $vgpr4
	s_cbranch_vccz .LBB56_48
.LBB56_45:                              ;   in Loop: Header=BB56_43 Depth=3
	v_ashrrev_i32_e32 v4, 31, v3
	v_lshlrev_b64 v[6:7], 3, v[3:4]
	v_mov_b32_e32 v4, s23
	v_add_co_u32_e32 v6, vcc, s22, v6
	v_addc_co_u32_e32 v7, vcc, v4, v7, vcc
	global_load_dwordx2 v[7:8], v[6:7], off
	v_mov_b32_e32 v9, 0
	v_mov_b32_e32 v10, 0
	s_and_saveexec_b64 s[36:37], s[2:3]
	s_cbranch_execz .LBB56_47
; %bb.46:                               ;   in Loop: Header=BB56_43 Depth=3
	v_ashrrev_i32_e32 v6, 31, v5
	v_lshlrev_b64 v[9:10], 3, v[5:6]
	v_mov_b32_e32 v4, s23
	v_add_co_u32_e32 v9, vcc, s22, v9
	v_addc_co_u32_e32 v10, vcc, v4, v10, vcc
	global_load_dwordx2 v[9:10], v[9:10], off
.LBB56_47:                              ;   in Loop: Header=BB56_43 Depth=3
	s_or_b64 exec, exec, s[36:37]
	s_waitcnt vmcnt(0)
	v_fma_f32 v4, v7, v9, v28
	v_fma_f32 v6, v8, v9, v27
	v_fmac_f32_e32 v4, v8, v10
	v_fma_f32 v6, v7, -v10, v6
	s_mov_b64 s[36:37], 0
.LBB56_48:                              ;   Parent Loop BB56_10 Depth=1
                                        ;     Parent Loop BB56_41 Depth=2
                                        ;       Parent Loop BB56_43 Depth=3
                                        ; =>      This Inner Loop Header: Depth=4
	s_and_b64 vcc, exec, s[36:37]
	s_cbranch_vccz .LBB56_52
; %bb.49:                               ;   in Loop: Header=BB56_48 Depth=4
	v_add_u32_e32 v6, s40, v25
	v_ashrrev_i32_e32 v7, 31, v6
	v_lshlrev_b64 v[6:7], 3, v[6:7]
	v_mov_b32_e32 v4, s23
	v_add_co_u32_e32 v6, vcc, s22, v6
	v_addc_co_u32_e32 v7, vcc, v4, v7, vcc
	global_load_dwordx2 v[6:7], v[6:7], off
	v_mov_b32_e32 v8, 0
	v_mov_b32_e32 v9, 0
	s_and_saveexec_b64 s[36:37], s[2:3]
	s_cbranch_execz .LBB56_51
; %bb.50:                               ;   in Loop: Header=BB56_48 Depth=4
	v_add_u32_e32 v8, s40, v22
	v_ashrrev_i32_e32 v9, 31, v8
	v_lshlrev_b64 v[8:9], 3, v[8:9]
	v_mov_b32_e32 v4, s23
	v_add_co_u32_e32 v8, vcc, s22, v8
	v_addc_co_u32_e32 v9, vcc, v4, v9, vcc
	global_load_dwordx2 v[8:9], v[8:9], off
.LBB56_51:                              ;   in Loop: Header=BB56_48 Depth=4
	s_or_b64 exec, exec, s[36:37]
	s_waitcnt vmcnt(0)
	v_fmac_f32_e32 v28, v6, v8
	v_fmac_f32_e32 v28, v7, v9
	;; [unrolled: 1-line block ×3, first 2 shown]
	v_fma_f32 v6, v6, -v9, v27
	v_mov_b32_e32 v4, v28
.LBB56_52:                              ;   in Loop: Header=BB56_48 Depth=4
	s_add_i32 s40, s40, 1
	v_add_u32_e32 v5, s46, v5
	s_cmp_eq_u32 s46, s40
	v_add_u32_e32 v3, s46, v3
	s_cbranch_scc0 .LBB56_44
; %bb.53:                               ;   in Loop: Header=BB56_43 Depth=3
	v_lshl_add_u32 v5, v26, 3, v13
	ds_read_b64 v[7:8], v5
	v_add_u32_e32 v26, 2, v26
	v_cmp_le_i32_e32 vcc, s46, v26
	v_add_u32_e32 v24, 2, v24
	s_or_b64 s[34:35], vcc, s[34:35]
	s_waitcnt lgkmcnt(0)
	v_add_f32_e32 v3, v4, v7
	v_add_f32_e32 v4, v6, v8
	v_add_u32_e32 v25, s50, v25
	ds_write_b64 v5, v[3:4]
	s_andn2_b64 exec, exec, s[34:35]
	s_cbranch_execnz .LBB56_43
	s_branch .LBB56_40
.LBB56_54:                              ;   in Loop: Header=BB56_10 Depth=1
	s_andn2_b64 vcc, exec, s[28:29]
	s_waitcnt lgkmcnt(0)
	s_cbranch_vccnz .LBB56_69
; %bb.55:                               ;   in Loop: Header=BB56_10 Depth=1
	s_mul_i32 s36, s49, s52
	s_mov_b32 s37, 0
	v_mov_b32_e32 v7, v20
	s_mov_b32 s38, s36
	s_branch .LBB56_57
.LBB56_56:                              ;   in Loop: Header=BB56_57 Depth=2
	s_or_b64 exec, exec, s[6:7]
	s_add_i32 s37, s37, 1
	s_add_i32 s38, s38, 1
	s_cmp_eq_u32 s37, s46
	v_add_u32_e32 v7, 8, v7
	s_waitcnt lgkmcnt(0)
	s_cbranch_scc1 .LBB56_69
.LBB56_57:                              ;   Parent Loop BB56_10 Depth=1
                                        ; =>  This Loop Header: Depth=2
                                        ;       Child Loop BB56_64 Depth 3
                                        ;       Child Loop BB56_68 Depth 3
	s_mul_i32 s39, s37, s46
	s_add_i32 s39, s39, s36
	s_add_i32 s6, s39, s37
	s_ashr_i32 s7, s6, 31
	s_lshl_b64 s[6:7], s[6:7], 3
	s_add_u32 s6, s22, s6
	s_addc_u32 s7, s23, s7
	global_load_dwordx2 v[5:6], v2, s[6:7]
	v_lshl_add_u32 v8, s37, 3, v14
	ds_read_b64 v[3:4], v8
	s_waitcnt vmcnt(0)
	v_cmp_neq_f32_e32 vcc, 0, v5
	v_cmp_neq_f32_e64 s[6:7], 0, v6
	s_or_b64 vcc, vcc, s[6:7]
	v_cndmask_b32_e32 v9, 1.0, v5, vcc
	s_nor_b64 s[34:35], vcc, s[4:5]
	v_cndmask_b32_e32 v10, 0, v6, vcc
	s_and_saveexec_b64 s[6:7], s[34:35]
	s_cbranch_execz .LBB56_61
; %bb.58:                               ;   in Loop: Header=BB56_57 Depth=2
	v_mbcnt_lo_u32_b32 v5, exec_lo, 0
	v_mbcnt_hi_u32_b32 v5, exec_hi, v5
	v_cmp_eq_u32_e32 vcc, 0, v5
	s_and_saveexec_b64 s[34:35], vcc
	s_cbranch_execz .LBB56_60
; %bb.59:                               ;   in Loop: Header=BB56_57 Depth=2
	v_mov_b32_e32 v5, s51
	global_atomic_smin v2, v5, s[14:15]
.LBB56_60:                              ;   in Loop: Header=BB56_57 Depth=2
	s_or_b64 exec, exec, s[34:35]
	v_mov_b32_e32 v10, 0
	v_mov_b32_e32 v9, 1.0
.LBB56_61:                              ;   in Loop: Header=BB56_57 Depth=2
	s_or_b64 exec, exec, s[6:7]
	v_lshl_add_u32 v5, s37, 3, v13
	ds_read_b64 v[5:6], v5
	s_cmp_eq_u32 s37, 0
	s_cbranch_scc1 .LBB56_66
; %bb.62:                               ;   in Loop: Header=BB56_57 Depth=2
	s_mov_b32 s34, 0
	s_mov_b32 s35, s37
	;; [unrolled: 1-line block ×3, first 2 shown]
	v_mov_b32_e32 v22, v14
	s_branch .LBB56_64
.LBB56_63:                              ;   in Loop: Header=BB56_64 Depth=3
	s_ashr_i32 s7, s6, 31
	s_lshl_b64 s[6:7], s[6:7], 3
	s_add_u32 s6, s22, s6
	s_addc_u32 s7, s23, s7
	global_load_dwordx2 v[23:24], v2, s[6:7]
	ds_read_b64 v[25:26], v22
	s_add_i32 s34, s34, 1
	s_add_i32 s40, s40, s46
	s_add_i32 s35, s35, -1
	s_cmp_eq_u32 s35, 0
	v_add_u32_e32 v22, 8, v22
	s_waitcnt vmcnt(0) lgkmcnt(0)
	v_fmac_f32_e32 v5, v23, v25
	v_fmac_f32_e32 v6, v24, v25
	;; [unrolled: 1-line block ×3, first 2 shown]
	v_fma_f32 v6, v23, -v26, v6
	s_cbranch_scc1 .LBB56_66
.LBB56_64:                              ;   Parent Loop BB56_10 Depth=1
                                        ;     Parent Loop BB56_57 Depth=2
                                        ; =>    This Inner Loop Header: Depth=3
	s_andn2_b64 vcc, exec, s[24:25]
	s_mov_b32 s6, s40
	s_cbranch_vccnz .LBB56_63
; %bb.65:                               ;   in Loop: Header=BB56_64 Depth=3
	s_add_i32 s6, s34, s39
	s_branch .LBB56_63
.LBB56_66:                              ;   in Loop: Header=BB56_57 Depth=2
	v_mul_f32_e32 v22, v10, v10
	v_fmac_f32_e32 v22, v9, v9
	v_div_scale_f32 v23, s[6:7], v22, v22, 1.0
	v_div_scale_f32 v24, vcc, 1.0, v22, 1.0
	s_waitcnt lgkmcnt(0)
	v_sub_f32_e32 v3, v3, v5
	v_sub_f32_e32 v4, v4, v6
	v_mul_f32_e32 v5, v10, v4
	v_mul_f32_e64 v6, v10, -v3
	v_fmac_f32_e32 v5, v3, v9
	v_fmac_f32_e32 v6, v4, v9
	v_rcp_f32_e32 v25, v23
	v_fma_f32 v26, -v23, v25, 1.0
	v_fmac_f32_e32 v25, v26, v25
	v_mul_f32_e32 v26, v24, v25
	v_fma_f32 v27, -v23, v26, v24
	v_fmac_f32_e32 v26, v27, v25
	v_fma_f32 v23, -v23, v26, v24
	v_div_fmas_f32 v23, v23, v25, v26
	v_div_fixup_f32 v4, v23, v22, 1.0
	v_mul_f32_e32 v3, v4, v5
	v_mul_f32_e32 v4, v4, v6
	ds_write_b64 v8, v[3:4]
	s_waitcnt lgkmcnt(0)
	s_and_saveexec_b64 s[6:7], s[0:1]
	s_cbranch_execz .LBB56_56
; %bb.67:                               ;   in Loop: Header=BB56_57 Depth=2
	s_mov_b64 s[34:35], 0
	v_mov_b32_e32 v5, v7
	v_mov_b32_e32 v6, v19
	v_mov_b32_e32 v8, v0
.LBB56_68:                              ;   Parent Loop BB56_10 Depth=1
                                        ;     Parent Loop BB56_57 Depth=2
                                        ; =>    This Inner Loop Header: Depth=3
	ds_read_b64 v[9:10], v5
	ds_read_b64 v[22:23], v6
	v_add_u32_e32 v8, 2, v8
	v_cmp_le_i32_e32 vcc, s46, v8
	s_or_b64 s[34:35], vcc, s[34:35]
	v_add_u32_e32 v5, 0x210, v5
	s_waitcnt lgkmcnt(0)
	v_fma_f32 v22, v3, v9, v22
	v_fmac_f32_e32 v23, v4, v9
	v_fmac_f32_e32 v22, v4, v10
	v_fma_f32 v23, v3, -v10, v23
	ds_write_b64 v6, v[22:23]
	v_add_u32_e32 v6, 16, v6
	s_andn2_b64 exec, exec, s[34:35]
	s_cbranch_execnz .LBB56_68
	s_branch .LBB56_56
.LBB56_69:                              ;   in Loop: Header=BB56_10 Depth=1
	s_and_saveexec_b64 s[6:7], s[0:1]
	s_cbranch_execz .LBB56_9
; %bb.70:                               ;   in Loop: Header=BB56_10 Depth=1
	s_mov_b64 s[34:35], 0
	v_mov_b32_e32 v5, v21
	v_mov_b32_e32 v6, v0
	s_branch .LBB56_73
.LBB56_71:                              ;   in Loop: Header=BB56_73 Depth=2
	v_ashrrev_i32_e32 v4, 31, v3
	ds_read_b64 v[7:8], v5
	v_lshlrev_b64 v[3:4], 3, v[3:4]
	v_mov_b32_e32 v9, s23
	v_add_co_u32_e32 v3, vcc, s22, v3
	v_addc_co_u32_e32 v4, vcc, v9, v4, vcc
	s_waitcnt lgkmcnt(0)
	global_store_dwordx2 v[3:4], v[7:8], off
.LBB56_72:                              ;   in Loop: Header=BB56_73 Depth=2
	s_or_b64 exec, exec, s[36:37]
	v_add_u32_e32 v6, 2, v6
	v_cmp_le_i32_e32 vcc, s46, v6
	s_or_b64 s[34:35], vcc, s[34:35]
	v_add_u32_e32 v5, 16, v5
	s_andn2_b64 exec, exec, s[34:35]
	s_cbranch_execz .LBB56_9
.LBB56_73:                              ;   Parent Loop BB56_10 Depth=1
                                        ; =>  This Inner Loop Header: Depth=2
	s_and_saveexec_b64 s[36:37], s[2:3]
	s_cbranch_execz .LBB56_72
; %bb.74:                               ;   in Loop: Header=BB56_73 Depth=2
	s_mov_b64 s[38:39], -1
	s_and_b64 vcc, exec, s[26:27]
                                        ; implicit-def: $vgpr3
	s_cbranch_vccz .LBB56_76
; %bb.75:                               ;   in Loop: Header=BB56_73 Depth=2
	v_add_u32_e32 v3, s31, v6
	v_mad_u64_u32 v[3:4], s[38:39], v3, s46, v[1:2]
	s_mov_b64 s[38:39], 0
.LBB56_76:                              ;   in Loop: Header=BB56_73 Depth=2
	s_andn2_b64 vcc, exec, s[38:39]
	s_cbranch_vccnz .LBB56_71
; %bb.77:                               ;   in Loop: Header=BB56_73 Depth=2
	v_add_u32_e32 v3, v18, v6
	s_branch .LBB56_71
.LBB56_78:                              ;   in Loop: Header=BB56_10 Depth=1
                                        ; implicit-def: $sgpr30
                                        ; implicit-def: $vgpr18
	s_cbranch_execz .LBB56_10
.LBB56_79:
	v_cmp_gt_i32_e64 s[0:1], s46, v0
	s_and_saveexec_b64 s[4:5], s[0:1]
	s_cbranch_execz .LBB56_92
; %bb.80:
	s_mul_i32 s26, s33, s46
	v_add_u32_e32 v2, s26, v1
	v_mul_lo_u32 v5, v2, s46
	s_cmp_lg_u32 s47, 0
	v_mul_u32_u24_e32 v2, 0x108, v1
	s_movk_i32 s8, 0x2100
	s_cselect_b64 s[6:7], -1, 0
	v_cmp_gt_i32_e64 s[2:3], s46, v1
	v_add3_u32 v6, v2, v11, s8
	s_mov_b64 s[8:9], 0
	v_mov_b32_e32 v7, v0
	s_branch .LBB56_82
.LBB56_81:                              ;   in Loop: Header=BB56_82 Depth=1
	s_or_b64 exec, exec, s[18:19]
	v_add_u32_e32 v7, 2, v7
	v_cmp_le_i32_e32 vcc, s46, v7
	s_waitcnt vmcnt(0)
	ds_write_b64 v6, v[3:4]
	s_or_b64 s[8:9], vcc, s[8:9]
	v_add_u32_e32 v6, 16, v6
	s_andn2_b64 exec, exec, s[8:9]
	s_cbranch_execz .LBB56_92
.LBB56_82:                              ; =>This Inner Loop Header: Depth=1
	s_and_b64 vcc, exec, s[6:7]
	s_cbranch_vccz .LBB56_89
; %bb.83:                               ;   in Loop: Header=BB56_82 Depth=1
	s_mov_b64 s[18:19], 0
	s_mov_b64 s[16:17], 0
                                        ; implicit-def: $vgpr2
	s_and_saveexec_b64 s[24:25], s[2:3]
	s_xor_b64 s[24:25], exec, s[24:25]
; %bb.84:                               ;   in Loop: Header=BB56_82 Depth=1
	v_add_u32_e32 v2, s26, v7
	s_mov_b64 s[16:17], exec
	v_mad_u64_u32 v[2:3], s[28:29], v2, s46, v[1:2]
; %bb.85:                               ;   in Loop: Header=BB56_82 Depth=1
	s_or_b64 exec, exec, s[24:25]
	s_and_b64 vcc, exec, s[18:19]
	s_cbranch_vccz .LBB56_90
.LBB56_86:                              ;   in Loop: Header=BB56_82 Depth=1
                                        ; implicit-def: $vgpr2
	s_and_saveexec_b64 s[18:19], s[2:3]
; %bb.87:                               ;   in Loop: Header=BB56_82 Depth=1
	v_add_u32_e32 v2, v5, v7
	s_or_b64 s[16:17], s[16:17], exec
; %bb.88:                               ;   in Loop: Header=BB56_82 Depth=1
	s_or_b64 exec, exec, s[18:19]
	v_mov_b32_e32 v3, 0
	v_mov_b32_e32 v4, 0
	s_and_saveexec_b64 s[18:19], s[16:17]
	s_cbranch_execz .LBB56_81
	s_branch .LBB56_91
.LBB56_89:                              ;   in Loop: Header=BB56_82 Depth=1
	s_mov_b64 s[16:17], 0
                                        ; implicit-def: $vgpr2
	s_cbranch_execnz .LBB56_86
.LBB56_90:                              ;   in Loop: Header=BB56_82 Depth=1
	v_mov_b32_e32 v3, 0
	v_mov_b32_e32 v4, 0
	s_and_saveexec_b64 s[18:19], s[16:17]
	s_cbranch_execz .LBB56_81
.LBB56_91:                              ;   in Loop: Header=BB56_82 Depth=1
	v_ashrrev_i32_e32 v3, 31, v2
	v_lshlrev_b64 v[2:3], 3, v[2:3]
	v_mov_b32_e32 v4, s23
	v_add_co_u32_e32 v2, vcc, s22, v2
	v_addc_co_u32_e32 v3, vcc, v4, v3, vcc
	global_load_dwordx2 v[3:4], v[2:3], off
	s_branch .LBB56_81
.LBB56_92:
	s_or_b64 exec, exec, s[4:5]
	s_cmp_lt_i32 s46, 1
	s_waitcnt lgkmcnt(0)
	s_cbranch_scc1 .LBB56_111
; %bb.93:
	v_or_b32_e32 v4, v0, v1
	s_movk_i32 s4, 0x108
	v_mov_b32_e32 v2, 0x2100
	v_cmp_ne_u32_e64 s[2:3], 0, v4
	v_mov_b32_e32 v4, 0x4200
	v_mad_u32_u24 v6, v1, s4, v2
	v_mul_u32_u24_e32 v3, 0x108, v1
	s_movk_i32 s5, 0x4200
	v_mad_u32_u24 v7, v1, s4, v4
	s_mov_b32 s18, 0
	s_add_i32 s19, s20, s21
	v_add_u32_e32 v8, v6, v12
	v_add_u32_e32 v9, v7, v12
	v_add3_u32 v10, v3, v11, s5
	v_mad_u32_u24 v12, v0, s4, v2
	s_mov_b32 s24, 0xf800000
	v_mov_b32_e32 v13, 0x260
	v_mov_b32_e32 v3, 0
	s_branch .LBB56_95
.LBB56_94:                              ;   in Loop: Header=BB56_95 Depth=1
	s_or_b64 exec, exec, s[4:5]
	s_add_i32 s18, s18, 1
	s_cmp_eq_u32 s18, s46
	v_add_u32_e32 v12, 8, v12
	s_waitcnt lgkmcnt(0)
	s_cbranch_scc1 .LBB56_111
.LBB56_95:                              ; =>This Loop Header: Depth=1
                                        ;     Child Loop BB56_110 Depth 2
	v_cmp_eq_u32_e32 vcc, s18, v1
	s_and_saveexec_b64 s[6:7], vcc
	s_cbranch_execz .LBB56_103
; %bb.96:                               ;   in Loop: Header=BB56_95 Depth=1
	ds_read_b64 v[4:5], v8
	ds_read_b64 v[14:15], v9
	s_waitcnt lgkmcnt(0)
	v_sub_f32_e32 v2, v4, v14
	v_sub_f32_e32 v14, v5, v15
	v_cmp_gt_f32_e32 vcc, 0, v2
	v_cndmask_b32_e64 v2, v2, -v2, vcc
	v_cmp_gt_f32_e32 vcc, 0, v14
	v_cndmask_b32_e64 v4, v14, -v14, vcc
	v_cmp_ngt_f32_e32 vcc, v2, v4
                                        ; implicit-def: $vgpr5
	s_and_saveexec_b64 s[4:5], vcc
	s_xor_b64 s[8:9], exec, s[4:5]
	s_cbranch_execz .LBB56_100
; %bb.97:                               ;   in Loop: Header=BB56_95 Depth=1
	v_mov_b32_e32 v5, 0
	v_cmp_neq_f32_e32 vcc, 0, v14
	s_and_saveexec_b64 s[16:17], vcc
	s_cbranch_execz .LBB56_99
; %bb.98:                               ;   in Loop: Header=BB56_95 Depth=1
	v_div_scale_f32 v5, s[4:5], v4, v4, v2
	v_div_scale_f32 v14, vcc, v2, v4, v2
	v_rcp_f32_e32 v15, v5
	v_fma_f32 v16, -v5, v15, 1.0
	v_fmac_f32_e32 v15, v16, v15
	v_mul_f32_e32 v16, v14, v15
	v_fma_f32 v17, -v5, v16, v14
	v_fmac_f32_e32 v16, v17, v15
	v_fma_f32 v5, -v5, v16, v14
	v_div_fmas_f32 v5, v5, v15, v16
	v_div_fixup_f32 v2, v5, v4, v2
	v_fma_f32 v2, v2, v2, 1.0
	v_mul_f32_e32 v5, 0x4f800000, v2
	v_cmp_gt_f32_e32 vcc, s24, v2
	v_cndmask_b32_e32 v2, v2, v5, vcc
	v_sqrt_f32_e32 v5, v2
	v_add_u32_e32 v14, -1, v5
	v_add_u32_e32 v15, 1, v5
	v_fma_f32 v16, -v14, v5, v2
	v_fma_f32 v17, -v15, v5, v2
	v_cmp_ge_f32_e64 s[4:5], 0, v16
	v_cndmask_b32_e64 v5, v5, v14, s[4:5]
	v_cmp_lt_f32_e64 s[4:5], 0, v17
	v_cndmask_b32_e64 v5, v5, v15, s[4:5]
	v_mul_f32_e32 v14, 0x37800000, v5
	v_cndmask_b32_e32 v5, v5, v14, vcc
	v_cmp_class_f32_e32 vcc, v2, v13
	v_cndmask_b32_e32 v2, v5, v2, vcc
	v_mul_f32_e32 v5, v4, v2
.LBB56_99:                              ;   in Loop: Header=BB56_95 Depth=1
	s_or_b64 exec, exec, s[16:17]
                                        ; implicit-def: $vgpr2
                                        ; implicit-def: $vgpr4
.LBB56_100:                             ;   in Loop: Header=BB56_95 Depth=1
	s_andn2_saveexec_b64 s[8:9], s[8:9]
	s_cbranch_execz .LBB56_102
; %bb.101:                              ;   in Loop: Header=BB56_95 Depth=1
	v_div_scale_f32 v5, s[4:5], v2, v2, v4
	v_div_scale_f32 v14, vcc, v4, v2, v4
	v_rcp_f32_e32 v15, v5
	v_fma_f32 v16, -v5, v15, 1.0
	v_fmac_f32_e32 v15, v16, v15
	v_mul_f32_e32 v16, v14, v15
	v_fma_f32 v17, -v5, v16, v14
	v_fmac_f32_e32 v16, v17, v15
	v_fma_f32 v5, -v5, v16, v14
	v_div_fmas_f32 v5, v5, v15, v16
	v_div_fixup_f32 v4, v5, v2, v4
	v_fma_f32 v4, v4, v4, 1.0
	v_mul_f32_e32 v5, 0x4f800000, v4
	v_cmp_gt_f32_e32 vcc, s24, v4
	v_cndmask_b32_e32 v4, v4, v5, vcc
	v_sqrt_f32_e32 v5, v4
	v_add_u32_e32 v14, -1, v5
	v_add_u32_e32 v15, 1, v5
	v_fma_f32 v16, -v14, v5, v4
	v_fma_f32 v17, -v15, v5, v4
	v_cmp_ge_f32_e64 s[4:5], 0, v16
	v_cndmask_b32_e64 v5, v5, v14, s[4:5]
	v_cmp_lt_f32_e64 s[4:5], 0, v17
	v_cndmask_b32_e64 v5, v5, v15, s[4:5]
	v_mul_f32_e32 v14, 0x37800000, v5
	v_cndmask_b32_e32 v5, v5, v14, vcc
	v_cmp_class_f32_e32 vcc, v4, v13
	v_cndmask_b32_e32 v4, v5, v4, vcc
	v_mul_f32_e32 v5, v2, v4
.LBB56_102:                             ;   in Loop: Header=BB56_95 Depth=1
	s_or_b64 exec, exec, s[8:9]
	v_mul_f32_e32 v2, 0x4f800000, v5
	v_cmp_gt_f32_e32 vcc, s24, v5
	v_cndmask_b32_e32 v2, v5, v2, vcc
	v_sqrt_f32_e32 v4, v2
	v_add_u32_e32 v5, -1, v4
	v_fma_f32 v15, -v5, v4, v2
	v_add_u32_e32 v14, 1, v4
	v_cmp_ge_f32_e64 s[4:5], 0, v15
	v_cndmask_b32_e64 v5, v4, v5, s[4:5]
	v_fma_f32 v4, -v14, v4, v2
	v_cmp_lt_f32_e64 s[4:5], 0, v4
	v_cndmask_b32_e64 v4, v5, v14, s[4:5]
	v_mul_f32_e32 v5, 0x37800000, v4
	v_cndmask_b32_e32 v4, v4, v5, vcc
	v_cmp_class_f32_e32 vcc, v2, v13
	v_cndmask_b32_e32 v2, v4, v2, vcc
	ds_write_b64 v8, v[2:3]
.LBB56_103:                             ;   in Loop: Header=BB56_95 Depth=1
	s_or_b64 exec, exec, s[6:7]
	s_lshl_b32 s4, s18, 3
	s_mul_i32 s5, s18, 0x108
	s_add_i32 s5, s5, s4
	v_mov_b32_e32 v2, s5
	s_waitcnt lgkmcnt(0)
	ds_read_b64 v[14:15], v2 offset:8448
	v_add_u32_e32 v2, s4, v6
	ds_read_b64 v[4:5], v2
	s_waitcnt lgkmcnt(1)
	v_cmp_neq_f32_e32 vcc, 0, v14
	v_cmp_neq_f32_e64 s[4:5], 0, v15
	s_or_b64 vcc, vcc, s[4:5]
	v_cndmask_b32_e32 v15, 0, v15, vcc
	s_nor_b64 s[6:7], vcc, s[2:3]
	v_cndmask_b32_e32 v14, 1.0, v14, vcc
	s_and_saveexec_b64 s[4:5], s[6:7]
	s_cbranch_execz .LBB56_107
; %bb.104:                              ;   in Loop: Header=BB56_95 Depth=1
	v_mbcnt_lo_u32_b32 v14, exec_lo, 0
	v_mbcnt_hi_u32_b32 v14, exec_hi, v14
	v_cmp_eq_u32_e32 vcc, 0, v14
	s_and_saveexec_b64 s[6:7], vcc
	s_cbranch_execz .LBB56_106
; %bb.105:                              ;   in Loop: Header=BB56_95 Depth=1
	v_mov_b32_e32 v14, s19
	global_atomic_smin v3, v14, s[14:15]
.LBB56_106:                             ;   in Loop: Header=BB56_95 Depth=1
	s_or_b64 exec, exec, s[6:7]
	v_mov_b32_e32 v14, 1.0
	v_mov_b32_e32 v15, 0
.LBB56_107:                             ;   in Loop: Header=BB56_95 Depth=1
	s_or_b64 exec, exec, s[4:5]
	v_cmp_lt_u32_e32 vcc, s18, v1
	s_and_saveexec_b64 s[4:5], vcc
	s_cbranch_execz .LBB56_94
; %bb.108:                              ;   in Loop: Header=BB56_95 Depth=1
	v_mul_f32_e32 v18, v15, v15
	v_fmac_f32_e32 v18, v14, v14
	v_div_scale_f32 v16, s[6:7], v18, v18, 1.0
	v_div_scale_f32 v17, vcc, 1.0, v18, 1.0
	v_rcp_f32_e32 v19, v16
	v_fma_f32 v20, -v16, v19, 1.0
	v_fmac_f32_e32 v19, v20, v19
	v_mul_f32_e32 v20, v17, v19
	v_fma_f32 v21, -v16, v20, v17
	v_fmac_f32_e32 v20, v21, v19
	v_fma_f32 v16, -v16, v20, v17
	v_div_fmas_f32 v19, v16, v19, v20
	v_lshl_add_u32 v16, s18, 3, v7
	ds_read_b64 v[16:17], v16
	s_waitcnt lgkmcnt(0)
	v_sub_f32_e32 v4, v4, v16
	v_sub_f32_e32 v5, v5, v17
	v_mul_f32_e32 v16, v15, v5
	v_mul_f32_e64 v15, v15, -v4
	v_fmac_f32_e32 v16, v4, v14
	v_fmac_f32_e32 v15, v5, v14
	v_div_fixup_f32 v5, v19, v18, 1.0
	v_mul_f32_e32 v4, v5, v16
	v_mul_f32_e32 v5, v5, v15
	ds_write_b64 v2, v[4:5]
	s_waitcnt lgkmcnt(0)
	s_and_b64 exec, exec, s[0:1]
	s_cbranch_execz .LBB56_94
; %bb.109:                              ;   in Loop: Header=BB56_95 Depth=1
	s_mov_b64 s[6:7], 0
	v_mov_b32_e32 v2, v12
	v_mov_b32_e32 v14, v10
	;; [unrolled: 1-line block ×3, first 2 shown]
.LBB56_110:                             ;   Parent Loop BB56_95 Depth=1
                                        ; =>  This Inner Loop Header: Depth=2
	ds_read_b64 v[16:17], v2
	ds_read_b64 v[18:19], v14
	v_add_u32_e32 v15, 2, v15
	v_cmp_le_i32_e32 vcc, s46, v15
	s_or_b64 s[6:7], vcc, s[6:7]
	v_add_u32_e32 v2, 0x210, v2
	s_waitcnt lgkmcnt(0)
	v_fma_f32 v18, v4, v16, v18
	v_fmac_f32_e32 v19, v5, v16
	v_fmac_f32_e32 v18, v5, v17
	v_fma_f32 v19, v4, -v17, v19
	ds_write_b64 v14, v[18:19]
	v_add_u32_e32 v14, 16, v14
	s_andn2_b64 exec, exec, s[6:7]
	s_cbranch_execnz .LBB56_110
	s_branch .LBB56_94
.LBB56_111:
	s_and_saveexec_b64 s[2:3], s[0:1]
	s_cbranch_execz .LBB56_120
; %bb.112:
	s_mul_i32 s33, s33, s46
	v_add_u32_e32 v2, s33, v1
	v_mul_lo_u32 v4, v2, s46
	s_cmp_lg_u32 s47, 0
	v_mul_u32_u24_e32 v2, 0x108, v1
	s_movk_i32 s6, 0x2100
	v_cmp_gt_i32_e64 s[0:1], s46, v1
	s_cselect_b64 s[4:5], -1, 0
	v_add3_u32 v5, v2, v11, s6
	s_mov_b64 s[6:7], 0
	v_mov_b32_e32 v6, v0
	s_branch .LBB56_116
.LBB56_113:                             ;   in Loop: Header=BB56_116 Depth=1
	v_add_u32_e32 v2, v4, v6
.LBB56_114:                             ;   in Loop: Header=BB56_116 Depth=1
	v_ashrrev_i32_e32 v3, 31, v2
	ds_read_b64 v[7:8], v5
	v_lshlrev_b64 v[2:3], 3, v[2:3]
	v_mov_b32_e32 v9, s23
	v_add_co_u32_e32 v2, vcc, s22, v2
	v_addc_co_u32_e32 v3, vcc, v9, v3, vcc
	s_waitcnt lgkmcnt(0)
	global_store_dwordx2 v[2:3], v[7:8], off
.LBB56_115:                             ;   in Loop: Header=BB56_116 Depth=1
	s_or_b64 exec, exec, s[8:9]
	v_add_u32_e32 v6, 2, v6
	v_cmp_le_i32_e32 vcc, s46, v6
	s_or_b64 s[6:7], vcc, s[6:7]
	v_add_u32_e32 v5, 16, v5
	s_andn2_b64 exec, exec, s[6:7]
	s_cbranch_execz .LBB56_120
.LBB56_116:                             ; =>This Inner Loop Header: Depth=1
	s_and_saveexec_b64 s[8:9], s[0:1]
	s_cbranch_execz .LBB56_115
; %bb.117:                              ;   in Loop: Header=BB56_116 Depth=1
	s_and_b64 vcc, exec, s[4:5]
	s_cbranch_vccz .LBB56_119
; %bb.118:                              ;   in Loop: Header=BB56_116 Depth=1
	v_add_u32_e32 v2, s33, v6
	v_mad_u64_u32 v[2:3], s[16:17], v2, s46, v[1:2]
	s_cbranch_execnz .LBB56_114
	s_branch .LBB56_113
.LBB56_119:                             ;   in Loop: Header=BB56_116 Depth=1
                                        ; implicit-def: $vgpr2
	s_branch .LBB56_113
.LBB56_120:
	s_or_b64 exec, exec, s[2:3]
	v_or_b32_e32 v2, v0, v1
	v_cmp_eq_u32_e32 vcc, 0, v2
	s_and_saveexec_b64 s[0:1], vcc
	s_cbranch_execz .LBB56_122
; %bb.121:
	s_add_u32 s2, s10, s12
	s_addc_u32 s3, s11, s13
	v_mov_b32_e32 v2, 0
	v_mov_b32_e32 v3, 1
	s_waitcnt vmcnt(0)
	global_store_dword v2, v3, s[2:3]
.LBB56_122:
	s_or_b64 exec, exec, s[0:1]
.LBB56_123:
	s_endpgm
.LBB56_124:
	s_cbranch_execz .LBB56_123
; %bb.125:
	v_or_b32_e32 v0, v0, v1
	v_cmp_eq_u32_e32 vcc, 0, v0
	s_and_saveexec_b64 s[0:1], vcc
	s_cbranch_execz .LBB56_123
; %bb.126:
	v_mbcnt_lo_u32_b32 v0, exec_lo, 0
	v_mbcnt_hi_u32_b32 v0, exec_hi, v0
	v_cmp_eq_u32_e32 vcc, 0, v0
	s_and_saveexec_b64 s[0:1], vcc
	s_cbranch_execz .LBB56_128
; %bb.127:
	s_add_i32 s2, s20, s21
	v_mov_b32_e32 v0, 0
	v_mov_b32_e32 v1, s2
	global_atomic_smin v0, v1, s[14:15]
.LBB56_128:
	s_or_b64 exec, exec, s[0:1]
	s_add_u32 s0, s10, s12
	s_addc_u32 s1, s11, s13
	v_mov_b32_e32 v0, 0
	v_mov_b32_e32 v1, 1
	s_waitcnt vmcnt(0)
	global_store_dword v0, v1, s[0:1]
	s_endpgm
	.section	.rodata,"a",@progbits
	.p2align	6, 0x0
	.amdhsa_kernel _ZN9rocsparseL19bsric0_17_32_kernelILi64ELi128ELi32E21rocsparse_complex_numIfEEEv20rocsparse_direction_iiPKiS5_PT2_S5_PiS5_S8_21rocsparse_index_base_
		.amdhsa_group_segment_fixed_size 26880
		.amdhsa_private_segment_fixed_size 0
		.amdhsa_kernarg_size 76
		.amdhsa_user_sgpr_count 6
		.amdhsa_user_sgpr_private_segment_buffer 1
		.amdhsa_user_sgpr_dispatch_ptr 0
		.amdhsa_user_sgpr_queue_ptr 0
		.amdhsa_user_sgpr_kernarg_segment_ptr 1
		.amdhsa_user_sgpr_dispatch_id 0
		.amdhsa_user_sgpr_flat_scratch_init 0
		.amdhsa_user_sgpr_private_segment_size 0
		.amdhsa_uses_dynamic_stack 0
		.amdhsa_system_sgpr_private_segment_wavefront_offset 0
		.amdhsa_system_sgpr_workgroup_id_x 1
		.amdhsa_system_sgpr_workgroup_id_y 0
		.amdhsa_system_sgpr_workgroup_id_z 0
		.amdhsa_system_sgpr_workgroup_info 0
		.amdhsa_system_vgpr_workitem_id 1
		.amdhsa_next_free_vgpr 129
		.amdhsa_next_free_sgpr 98
		.amdhsa_reserve_vcc 1
		.amdhsa_reserve_flat_scratch 0
		.amdhsa_float_round_mode_32 0
		.amdhsa_float_round_mode_16_64 0
		.amdhsa_float_denorm_mode_32 3
		.amdhsa_float_denorm_mode_16_64 3
		.amdhsa_dx10_clamp 1
		.amdhsa_ieee_mode 1
		.amdhsa_fp16_overflow 0
		.amdhsa_exception_fp_ieee_invalid_op 0
		.amdhsa_exception_fp_denorm_src 0
		.amdhsa_exception_fp_ieee_div_zero 0
		.amdhsa_exception_fp_ieee_overflow 0
		.amdhsa_exception_fp_ieee_underflow 0
		.amdhsa_exception_fp_ieee_inexact 0
		.amdhsa_exception_int_div_zero 0
	.end_amdhsa_kernel
	.section	.text._ZN9rocsparseL19bsric0_17_32_kernelILi64ELi128ELi32E21rocsparse_complex_numIfEEEv20rocsparse_direction_iiPKiS5_PT2_S5_PiS5_S8_21rocsparse_index_base_,"axG",@progbits,_ZN9rocsparseL19bsric0_17_32_kernelILi64ELi128ELi32E21rocsparse_complex_numIfEEEv20rocsparse_direction_iiPKiS5_PT2_S5_PiS5_S8_21rocsparse_index_base_,comdat
.Lfunc_end56:
	.size	_ZN9rocsparseL19bsric0_17_32_kernelILi64ELi128ELi32E21rocsparse_complex_numIfEEEv20rocsparse_direction_iiPKiS5_PT2_S5_PiS5_S8_21rocsparse_index_base_, .Lfunc_end56-_ZN9rocsparseL19bsric0_17_32_kernelILi64ELi128ELi32E21rocsparse_complex_numIfEEEv20rocsparse_direction_iiPKiS5_PT2_S5_PiS5_S8_21rocsparse_index_base_
                                        ; -- End function
	.set _ZN9rocsparseL19bsric0_17_32_kernelILi64ELi128ELi32E21rocsparse_complex_numIfEEEv20rocsparse_direction_iiPKiS5_PT2_S5_PiS5_S8_21rocsparse_index_base_.num_vgpr, 29
	.set _ZN9rocsparseL19bsric0_17_32_kernelILi64ELi128ELi32E21rocsparse_complex_numIfEEEv20rocsparse_direction_iiPKiS5_PT2_S5_PiS5_S8_21rocsparse_index_base_.num_agpr, 0
	.set _ZN9rocsparseL19bsric0_17_32_kernelILi64ELi128ELi32E21rocsparse_complex_numIfEEEv20rocsparse_direction_iiPKiS5_PT2_S5_PiS5_S8_21rocsparse_index_base_.numbered_sgpr, 56
	.set _ZN9rocsparseL19bsric0_17_32_kernelILi64ELi128ELi32E21rocsparse_complex_numIfEEEv20rocsparse_direction_iiPKiS5_PT2_S5_PiS5_S8_21rocsparse_index_base_.num_named_barrier, 0
	.set _ZN9rocsparseL19bsric0_17_32_kernelILi64ELi128ELi32E21rocsparse_complex_numIfEEEv20rocsparse_direction_iiPKiS5_PT2_S5_PiS5_S8_21rocsparse_index_base_.private_seg_size, 0
	.set _ZN9rocsparseL19bsric0_17_32_kernelILi64ELi128ELi32E21rocsparse_complex_numIfEEEv20rocsparse_direction_iiPKiS5_PT2_S5_PiS5_S8_21rocsparse_index_base_.uses_vcc, 1
	.set _ZN9rocsparseL19bsric0_17_32_kernelILi64ELi128ELi32E21rocsparse_complex_numIfEEEv20rocsparse_direction_iiPKiS5_PT2_S5_PiS5_S8_21rocsparse_index_base_.uses_flat_scratch, 0
	.set _ZN9rocsparseL19bsric0_17_32_kernelILi64ELi128ELi32E21rocsparse_complex_numIfEEEv20rocsparse_direction_iiPKiS5_PT2_S5_PiS5_S8_21rocsparse_index_base_.has_dyn_sized_stack, 0
	.set _ZN9rocsparseL19bsric0_17_32_kernelILi64ELi128ELi32E21rocsparse_complex_numIfEEEv20rocsparse_direction_iiPKiS5_PT2_S5_PiS5_S8_21rocsparse_index_base_.has_recursion, 0
	.set _ZN9rocsparseL19bsric0_17_32_kernelILi64ELi128ELi32E21rocsparse_complex_numIfEEEv20rocsparse_direction_iiPKiS5_PT2_S5_PiS5_S8_21rocsparse_index_base_.has_indirect_call, 0
	.section	.AMDGPU.csdata,"",@progbits
; Kernel info:
; codeLenInByte = 4196
; TotalNumSgprs: 60
; NumVgprs: 29
; ScratchSize: 0
; MemoryBound: 0
; FloatMode: 240
; IeeeMode: 1
; LDSByteSize: 26880 bytes/workgroup (compile time only)
; SGPRBlocks: 12
; VGPRBlocks: 32
; NumSGPRsForWavesPerEU: 102
; NumVGPRsForWavesPerEU: 129
; Occupancy: 1
; WaveLimiterHint : 1
; COMPUTE_PGM_RSRC2:SCRATCH_EN: 0
; COMPUTE_PGM_RSRC2:USER_SGPR: 6
; COMPUTE_PGM_RSRC2:TRAP_HANDLER: 0
; COMPUTE_PGM_RSRC2:TGID_X_EN: 1
; COMPUTE_PGM_RSRC2:TGID_Y_EN: 0
; COMPUTE_PGM_RSRC2:TGID_Z_EN: 0
; COMPUTE_PGM_RSRC2:TIDIG_COMP_CNT: 1
	.section	.text._ZN9rocsparseL23bsric0_binsearch_kernelILj32ELj32ELb0E21rocsparse_complex_numIdEEEv20rocsparse_direction_iiPKiS5_PT2_S5_PiS5_S8_21rocsparse_index_base_,"axG",@progbits,_ZN9rocsparseL23bsric0_binsearch_kernelILj32ELj32ELb0E21rocsparse_complex_numIdEEEv20rocsparse_direction_iiPKiS5_PT2_S5_PiS5_S8_21rocsparse_index_base_,comdat
	.globl	_ZN9rocsparseL23bsric0_binsearch_kernelILj32ELj32ELb0E21rocsparse_complex_numIdEEEv20rocsparse_direction_iiPKiS5_PT2_S5_PiS5_S8_21rocsparse_index_base_ ; -- Begin function _ZN9rocsparseL23bsric0_binsearch_kernelILj32ELj32ELb0E21rocsparse_complex_numIdEEEv20rocsparse_direction_iiPKiS5_PT2_S5_PiS5_S8_21rocsparse_index_base_
	.p2align	8
	.type	_ZN9rocsparseL23bsric0_binsearch_kernelILj32ELj32ELb0E21rocsparse_complex_numIdEEEv20rocsparse_direction_iiPKiS5_PT2_S5_PiS5_S8_21rocsparse_index_base_,@function
_ZN9rocsparseL23bsric0_binsearch_kernelILj32ELj32ELb0E21rocsparse_complex_numIdEEEv20rocsparse_direction_iiPKiS5_PT2_S5_PiS5_S8_21rocsparse_index_base_: ; @_ZN9rocsparseL23bsric0_binsearch_kernelILj32ELj32ELb0E21rocsparse_complex_numIdEEEv20rocsparse_direction_iiPKiS5_PT2_S5_PiS5_S8_21rocsparse_index_base_
; %bb.0:
	s_load_dwordx8 s[16:23], s[4:5], 0x28
	s_ashr_i32 s7, s6, 31
	s_lshl_b64 s[0:1], s[6:7], 2
	v_mov_b32_e32 v1, 0
	s_load_dword s33, s[4:5], 0x48
	s_waitcnt lgkmcnt(0)
	s_add_u32 s0, s20, s0
	s_addc_u32 s1, s21, s1
	global_load_dword v1, v1, s[0:1]
	v_mov_b32_e32 v3, s17
	s_waitcnt vmcnt(0)
	v_ashrrev_i32_e32 v2, 31, v1
	v_lshlrev_b64 v[8:9], 2, v[1:2]
	v_add_co_u32_e32 v2, vcc, s16, v8
	v_addc_co_u32_e32 v3, vcc, v3, v9, vcc
	global_load_dword v31, v[2:3], off
	s_waitcnt vmcnt(0)
	v_readfirstlane_b32 s0, v31
	s_cmp_lg_u32 s0, -1
	s_cselect_b64 s[0:1], -1, 0
	s_and_saveexec_b64 s[2:3], s[0:1]
	s_xor_b64 s[14:15], exec, s[2:3]
	s_cbranch_execz .LBB57_76
; %bb.1:
	s_load_dword s52, s[4:5], 0x8
	s_waitcnt lgkmcnt(0)
	v_cmp_gt_i32_e32 vcc, s52, v0
	s_and_saveexec_b64 s[20:21], vcc
	s_cbranch_execz .LBB57_73
; %bb.2:
	s_load_dwordx4 s[24:27], s[4:5], 0x10
	s_load_dword s6, s[4:5], 0x0
	v_add_u32_e32 v32, s33, v1
	s_mul_i32 s53, s52, s52
	s_load_dwordx2 s[28:29], s[4:5], 0x20
	s_waitcnt lgkmcnt(0)
	v_mov_b32_e32 v3, s25
	v_add_co_u32_e32 v2, vcc, s24, v8
	v_addc_co_u32_e32 v3, vcc, v3, v9, vcc
	global_load_dwordx2 v[2:3], v[2:3], off
	v_mul_lo_u32 v38, v31, s53
	s_cmp_eq_u32 s6, 0
	s_mov_b32 s34, 0
	v_mov_b32_e32 v4, s27
	s_cselect_b64 s[2:3], -1, 0
	s_cmp_lg_u32 s6, 0
	v_cmp_ne_u32_e64 s[0:1], 0, v0
	s_mov_b64 s[30:31], 0
	s_brev_b32 s35, 8
	v_mov_b32_e32 v33, 0x260
	v_mov_b32_e32 v34, 0x3ff00000
	;; [unrolled: 1-line block ×5, first 2 shown]
	s_cselect_b64 s[36:37], -1, 0
	s_waitcnt vmcnt(0)
	v_subrev_u32_e32 v39, s33, v2
	v_xad_u32 v40, s33, -1, v3
	v_add_u32_e32 v1, v40, v39
	v_ashrrev_i32_e32 v10, 1, v1
	v_mul_lo_u32 v41, s53, v39
	v_ashrrev_i32_e32 v11, 31, v10
	v_lshlrev_b64 v[1:2], 2, v[10:11]
	v_cmp_lt_i32_e64 s[4:5], v39, v31
	v_add_co_u32_e32 v11, vcc, s26, v1
	v_cmp_ge_i32_e64 s[6:7], v39, v31
	v_cmp_lt_i32_e64 s[8:9], v39, v40
	v_add_u32_e32 v42, v41, v0
	v_addc_co_u32_e32 v12, vcc, v4, v2, vcc
	v_mov_b32_e32 v3, 0
	s_branch .LBB57_4
.LBB57_3:                               ;   in Loop: Header=BB57_4 Depth=1
	v_add_u32_e32 v37, 32, v37
	v_cmp_le_i32_e32 vcc, s52, v37
	s_or_b64 s[30:31], vcc, s[30:31]
	v_add_u32_e32 v42, 32, v42
	s_andn2_b64 exec, exec, s[30:31]
	s_cbranch_execz .LBB57_73
.LBB57_4:                               ; =>This Loop Header: Depth=1
                                        ;     Child Loop BB57_10 Depth 2
                                        ;       Child Loop BB57_13 Depth 3
                                        ;       Child Loop BB57_17 Depth 3
                                        ;         Child Loop BB57_19 Depth 4
                                        ;         Child Loop BB57_26 Depth 4
                                        ;           Child Loop BB57_28 Depth 5
                                        ;           Child Loop BB57_34 Depth 5
                                        ;     Child Loop BB57_41 Depth 2
                                        ;       Child Loop BB57_51 Depth 3
                                        ;       Child Loop BB57_59 Depth 3
                                        ;         Child Loop BB57_61 Depth 4
                                        ;       Child Loop BB57_69 Depth 3
	v_mul_lo_u32 v43, v37, s52
	s_and_saveexec_b64 s[10:11], s[6:7]
	s_xor_b64 s[10:11], exec, s[10:11]
; %bb.5:                                ;   in Loop: Header=BB57_4 Depth=1
	v_mul_lo_u32 v43, v37, s52
; %bb.6:                                ;   in Loop: Header=BB57_4 Depth=1
	s_or_saveexec_b64 s[38:39], s[10:11]
	v_mov_b32_e32 v13, 0
	v_mov_b32_e32 v15, 0
	;; [unrolled: 1-line block ×4, first 2 shown]
	s_xor_b64 exec, exec, s[38:39]
	s_cbranch_execz .LBB57_38
; %bb.7:                                ;   in Loop: Header=BB57_4 Depth=1
	v_mov_b32_e32 v13, 0
	v_mov_b32_e32 v15, 0
	;; [unrolled: 1-line block ×3, first 2 shown]
	s_mov_b64 s[40:41], 0
	v_mov_b32_e32 v16, 0
	v_mov_b32_e32 v1, v39
                                        ; implicit-def: $sgpr42_sgpr43
	s_branch .LBB57_10
.LBB57_8:                               ;   in Loop: Header=BB57_10 Depth=2
	v_add_u32_e32 v1, 1, v1
	v_cmp_ge_i32_e32 vcc, v1, v31
	s_andn2_b64 s[10:11], s[42:43], exec
	s_and_b64 s[12:13], vcc, exec
	s_or_b64 s[42:43], s[10:11], s[12:13]
.LBB57_9:                               ;   in Loop: Header=BB57_10 Depth=2
	s_or_b64 exec, exec, s[44:45]
	s_and_b64 s[10:11], exec, s[42:43]
	s_or_b64 s[40:41], s[10:11], s[40:41]
	s_andn2_b64 exec, exec, s[40:41]
	s_cbranch_execz .LBB57_37
.LBB57_10:                              ;   Parent Loop BB57_4 Depth=1
                                        ; =>  This Loop Header: Depth=2
                                        ;       Child Loop BB57_13 Depth 3
                                        ;       Child Loop BB57_17 Depth 3
                                        ;         Child Loop BB57_19 Depth 4
                                        ;         Child Loop BB57_26 Depth 4
                                        ;           Child Loop BB57_28 Depth 5
                                        ;           Child Loop BB57_34 Depth 5
	v_ashrrev_i32_e32 v2, 31, v1
	v_lshlrev_b64 v[4:5], 2, v[1:2]
	v_mov_b32_e32 v2, s27
	v_add_co_u32_e32 v4, vcc, s26, v4
	v_addc_co_u32_e32 v5, vcc, v2, v5, vcc
	global_load_dword v2, v[4:5], off
	v_mov_b32_e32 v7, s17
	s_or_b64 s[42:43], s[42:43], exec
	s_waitcnt vmcnt(0)
	v_subrev_u32_e32 v4, s33, v2
	v_ashrrev_i32_e32 v5, 31, v4
	v_lshlrev_b64 v[5:6], 2, v[4:5]
	v_add_co_u32_e32 v17, vcc, s16, v5
	v_addc_co_u32_e32 v18, vcc, v7, v6, vcc
	global_load_dword v44, v[17:18], off
	s_waitcnt vmcnt(0)
	v_cmp_ne_u32_e32 vcc, -1, v44
	s_and_saveexec_b64 s[44:45], vcc
	s_cbranch_execz .LBB57_9
; %bb.11:                               ;   in Loop: Header=BB57_10 Depth=2
	v_mov_b32_e32 v7, s25
	v_add_co_u32_e32 v17, vcc, s24, v5
	v_addc_co_u32_e32 v18, vcc, v7, v6, vcc
	global_load_dword v7, v[17:18], off
	v_mov_b32_e32 v17, s19
	v_add_co_u32_e32 v5, vcc, s18, v5
	v_addc_co_u32_e32 v6, vcc, v17, v6, vcc
	global_load_dword v17, v[5:6], off glc
	s_waitcnt vmcnt(0)
	v_cmp_eq_u32_e32 vcc, 0, v17
	s_and_saveexec_b64 s[10:11], vcc
	s_cbranch_execz .LBB57_14
; %bb.12:                               ;   in Loop: Header=BB57_10 Depth=2
	s_mov_b64 s[12:13], 0
.LBB57_13:                              ;   Parent Loop BB57_4 Depth=1
                                        ;     Parent Loop BB57_10 Depth=2
                                        ; =>    This Inner Loop Header: Depth=3
	global_load_dword v17, v[5:6], off glc
	s_waitcnt vmcnt(0)
	v_cmp_ne_u32_e32 vcc, 0, v17
	s_or_b64 s[12:13], vcc, s[12:13]
	s_andn2_b64 exec, exec, s[12:13]
	s_cbranch_execnz .LBB57_13
.LBB57_14:                              ;   in Loop: Header=BB57_10 Depth=2
	s_or_b64 exec, exec, s[10:11]
	v_mul_lo_u32 v5, v1, s53
	v_subrev_u32_e32 v45, s33, v7
	v_mul_lo_u32 v46, v4, s52
	v_mul_lo_u32 v48, s53, v45
	v_add_u32_e32 v47, v5, v37
	v_add_u32_e32 v49, v5, v43
	v_cmp_le_i32_e64 s[10:11], v45, v44
	s_mov_b32 s54, 0
	buffer_wbinvl1_vol
	s_branch .LBB57_17
.LBB57_15:                              ;   in Loop: Header=BB57_17 Depth=3
	s_or_b64 exec, exec, s[46:47]
.LBB57_16:                              ;   in Loop: Header=BB57_17 Depth=3
	s_or_b64 exec, exec, s[12:13]
	v_mul_f64 v[27:28], v[19:20], v[19:20]
	s_waitcnt vmcnt(0)
	v_add_f64 v[6:7], v[6:7], -v[23:24]
	v_add_f64 v[4:5], v[4:5], -v[25:26]
	s_add_i32 s54, s54, 1
	s_cmp_eq_u32 s54, s52
	v_add_u32_e32 v48, 1, v48
	v_fma_f64 v[27:28], v[17:18], v[17:18], v[27:28]
	v_mul_f64 v[25:26], v[19:20], v[6:7]
	v_mul_f64 v[19:20], v[19:20], -v[4:5]
	v_div_scale_f64 v[29:30], s[12:13], v[27:28], v[27:28], 1.0
	v_fma_f64 v[4:5], v[4:5], v[17:18], v[25:26]
	v_fma_f64 v[6:7], v[6:7], v[17:18], v[19:20]
	v_rcp_f64_e32 v[50:51], v[29:30]
	v_fma_f64 v[52:53], -v[29:30], v[50:51], 1.0
	v_fma_f64 v[50:51], v[50:51], v[52:53], v[50:51]
	v_div_scale_f64 v[52:53], vcc, 1.0, v[27:28], 1.0
	v_fma_f64 v[54:55], -v[29:30], v[50:51], 1.0
	v_fma_f64 v[50:51], v[50:51], v[54:55], v[50:51]
	v_mul_f64 v[54:55], v[52:53], v[50:51]
	v_fma_f64 v[29:30], -v[29:30], v[54:55], v[52:53]
	v_div_fmas_f64 v[23:24], v[29:30], v[50:51], v[54:55]
	v_div_fixup_f64 v[23:24], v[23:24], v[27:28], 1.0
	v_mul_f64 v[4:5], v[23:24], v[4:5]
	v_mul_f64 v[6:7], v[23:24], v[6:7]
	v_fma_f64 v[15:16], v[4:5], v[4:5], v[15:16]
	v_fma_f64 v[13:14], v[6:7], v[4:5], v[13:14]
	global_store_dwordx4 v[21:22], v[4:7], off
	v_fma_f64 v[15:16], v[6:7], v[6:7], v[15:16]
	v_fma_f64 v[13:14], v[4:5], -v[6:7], v[13:14]
	s_cbranch_scc1 .LBB57_8
.LBB57_17:                              ;   Parent Loop BB57_4 Depth=1
                                        ;     Parent Loop BB57_10 Depth=2
                                        ; =>    This Loop Header: Depth=3
                                        ;         Child Loop BB57_19 Depth 4
                                        ;         Child Loop BB57_26 Depth 4
                                        ;           Child Loop BB57_28 Depth 5
                                        ;           Child Loop BB57_34 Depth 5
	v_mul_lo_u32 v4, v44, s53
	s_mul_i32 s55, s54, s52
	s_add_i32 s12, s55, s54
	v_mov_b32_e32 v6, s29
	v_add_u32_e32 v4, s12, v4
	v_ashrrev_i32_e32 v5, 31, v4
	v_lshlrev_b64 v[4:5], 4, v[4:5]
	v_add_co_u32_e32 v4, vcc, s28, v4
	v_addc_co_u32_e32 v5, vcc, v6, v5, vcc
	global_load_dwordx4 v[4:7], v[4:5], off
	s_waitcnt vmcnt(0)
	v_cmp_neq_f64_e32 vcc, 0, v[4:5]
	v_cmp_neq_f64_e64 s[12:13], 0, v[6:7]
	s_or_b64 vcc, vcc, s[12:13]
	v_cndmask_b32_e32 v18, v34, v5, vcc
	s_nor_b64 s[46:47], vcc, s[0:1]
	v_cndmask_b32_e32 v17, 0, v4, vcc
	v_cndmask_b32_e32 v20, 0, v7, vcc
	;; [unrolled: 1-line block ×3, first 2 shown]
	s_and_saveexec_b64 s[12:13], s[46:47]
	s_cbranch_execz .LBB57_23
; %bb.18:                               ;   in Loop: Header=BB57_17 Depth=3
	s_mov_b64 s[46:47], exec
	s_brev_b32 s48, -2
.LBB57_19:                              ;   Parent Loop BB57_4 Depth=1
                                        ;     Parent Loop BB57_10 Depth=2
                                        ;       Parent Loop BB57_17 Depth=3
                                        ; =>      This Inner Loop Header: Depth=4
	s_ff1_i32_b64 s49, s[46:47]
	v_readlane_b32 s56, v2, s49
	s_lshl_b64 s[50:51], 1, s49
	s_min_i32 s48, s48, s56
	s_andn2_b64 s[46:47], s[46:47], s[50:51]
	s_cmp_lg_u64 s[46:47], 0
	s_cbranch_scc1 .LBB57_19
; %bb.20:                               ;   in Loop: Header=BB57_17 Depth=3
	v_mbcnt_lo_u32_b32 v4, exec_lo, 0
	v_mbcnt_hi_u32_b32 v4, exec_hi, v4
	v_cmp_eq_u32_e32 vcc, 0, v4
	s_and_saveexec_b64 s[46:47], vcc
	s_xor_b64 s[46:47], exec, s[46:47]
	s_cbranch_execz .LBB57_22
; %bb.21:                               ;   in Loop: Header=BB57_17 Depth=3
	v_mov_b32_e32 v4, s48
	global_atomic_smin v3, v4, s[22:23]
.LBB57_22:                              ;   in Loop: Header=BB57_17 Depth=3
	s_or_b64 exec, exec, s[46:47]
	v_mov_b32_e32 v17, 0
	v_mov_b32_e32 v19, 0
	;; [unrolled: 1-line block ×4, first 2 shown]
.LBB57_23:                              ;   in Loop: Header=BB57_17 Depth=3
	s_or_b64 exec, exec, s[12:13]
	v_add_u32_e32 v4, s54, v49
	v_add_u32_e32 v5, s55, v47
	v_cndmask_b32_e64 v4, v5, v4, s[2:3]
	v_ashrrev_i32_e32 v5, 31, v4
	v_lshlrev_b64 v[4:5], 4, v[4:5]
	v_mov_b32_e32 v6, s29
	v_add_co_u32_e32 v21, vcc, s28, v4
	v_addc_co_u32_e32 v22, vcc, v6, v5, vcc
	global_load_dwordx4 v[4:7], v[21:22], off
	v_mov_b32_e32 v23, 0
	v_mov_b32_e32 v25, 0
	;; [unrolled: 1-line block ×4, first 2 shown]
	s_and_saveexec_b64 s[12:13], s[10:11]
	s_cbranch_execz .LBB57_16
; %bb.24:                               ;   in Loop: Header=BB57_17 Depth=3
	global_load_dword v50, v[11:12], off
	v_mov_b32_e32 v23, 0
	v_mov_b32_e32 v25, 0
	;; [unrolled: 1-line block ×3, first 2 shown]
	s_mov_b64 s[46:47], 0
	v_mov_b32_e32 v51, v48
	v_mov_b32_e32 v26, 0
	;; [unrolled: 1-line block ×3, first 2 shown]
	s_branch .LBB57_26
.LBB57_25:                              ;   in Loop: Header=BB57_26 Depth=4
	s_or_b64 exec, exec, s[48:49]
	v_add_u32_e32 v28, 1, v27
	v_cmp_ge_i32_e32 vcc, v27, v44
	v_add_u32_e32 v51, s53, v51
	s_or_b64 s[46:47], vcc, s[46:47]
	v_mov_b32_e32 v27, v28
	s_andn2_b64 exec, exec, s[46:47]
	s_cbranch_execz .LBB57_15
.LBB57_26:                              ;   Parent Loop BB57_4 Depth=1
                                        ;     Parent Loop BB57_10 Depth=2
                                        ;       Parent Loop BB57_17 Depth=3
                                        ; =>      This Loop Header: Depth=4
                                        ;           Child Loop BB57_28 Depth 5
                                        ;           Child Loop BB57_34 Depth 5
	v_ashrrev_i32_e32 v28, 31, v27
	v_lshlrev_b64 v[28:29], 2, v[27:28]
	v_mov_b32_e32 v30, s27
	v_add_co_u32_e32 v28, vcc, s26, v28
	v_addc_co_u32_e32 v29, vcc, v30, v29, vcc
	global_load_dword v30, v[28:29], off
	s_waitcnt vmcnt(1)
	v_mov_b32_e32 v29, v50
	v_mov_b32_e32 v28, v10
	s_and_saveexec_b64 s[48:49], s[8:9]
	s_cbranch_execz .LBB57_30
; %bb.27:                               ;   in Loop: Header=BB57_26 Depth=4
	s_mov_b64 s[50:51], 0
	v_mov_b32_e32 v29, v50
	v_mov_b32_e32 v28, v10
	;; [unrolled: 1-line block ×4, first 2 shown]
.LBB57_28:                              ;   Parent Loop BB57_4 Depth=1
                                        ;     Parent Loop BB57_10 Depth=2
                                        ;       Parent Loop BB57_17 Depth=3
                                        ;         Parent Loop BB57_26 Depth=4
                                        ; =>        This Inner Loop Header: Depth=5
	v_add_u32_e32 v54, 1, v28
	s_waitcnt vmcnt(0)
	v_cmp_lt_i32_e32 vcc, v29, v30
	v_cndmask_b32_e32 v53, v28, v53, vcc
	v_cndmask_b32_e32 v52, v52, v54, vcc
	v_add_u32_e32 v28, v53, v52
	v_ashrrev_i32_e32 v28, 1, v28
	v_ashrrev_i32_e32 v29, 31, v28
	v_lshlrev_b64 v[54:55], 2, v[28:29]
	v_mov_b32_e32 v29, s27
	v_add_co_u32_e32 v54, vcc, s26, v54
	v_addc_co_u32_e32 v55, vcc, v29, v55, vcc
	global_load_dword v29, v[54:55], off
	v_cmp_ge_i32_e32 vcc, v52, v53
	s_or_b64 s[50:51], vcc, s[50:51]
	s_andn2_b64 exec, exec, s[50:51]
	s_cbranch_execnz .LBB57_28
; %bb.29:                               ;   in Loop: Header=BB57_26 Depth=4
	s_or_b64 exec, exec, s[50:51]
.LBB57_30:                              ;   in Loop: Header=BB57_26 Depth=4
	s_or_b64 exec, exec, s[48:49]
	s_waitcnt vmcnt(0)
	v_cmp_eq_u32_e32 vcc, v29, v30
	s_and_saveexec_b64 s[48:49], vcc
	s_cbranch_execz .LBB57_25
; %bb.31:                               ;   in Loop: Header=BB57_26 Depth=4
	v_mul_lo_u32 v29, v27, s53
	v_mul_lo_u32 v28, v28, s53
	v_subrev_u32_e32 v30, s33, v30
	v_mul_lo_u32 v52, v30, s52
	v_add_u32_e32 v53, s55, v29
	v_add_u32_e32 v54, v28, v43
	;; [unrolled: 1-line block ×3, first 2 shown]
	s_mov_b32 s56, 0
	v_mov_b32_e32 v56, v51
	s_branch .LBB57_34
.LBB57_32:                              ;   in Loop: Header=BB57_34 Depth=5
	v_ashrrev_i32_e32 v30, 31, v29
	v_lshlrev_b64 v[29:30], 4, v[29:30]
	v_mov_b32_e32 v58, s29
	v_add_co_u32_e32 v57, vcc, s28, v29
	v_ashrrev_i32_e32 v29, 31, v28
	v_lshlrev_b64 v[28:29], 4, v[28:29]
	v_addc_co_u32_e32 v58, vcc, v58, v30, vcc
	v_mov_b32_e32 v30, s29
	v_add_co_u32_e32 v28, vcc, s28, v28
	v_addc_co_u32_e32 v29, vcc, v30, v29, vcc
	global_load_dwordx4 v[57:60], v[57:58], off
	s_nop 0
	global_load_dwordx4 v[61:64], v[28:29], off
	s_waitcnt vmcnt(0)
	v_fma_f64 v[25:26], v[57:58], v[61:62], v[25:26]
	v_fma_f64 v[23:24], v[59:60], v[61:62], v[23:24]
	;; [unrolled: 1-line block ×3, first 2 shown]
	v_fma_f64 v[23:24], v[57:58], -v[63:64], v[23:24]
.LBB57_33:                              ;   in Loop: Header=BB57_34 Depth=5
	s_or_b64 exec, exec, s[50:51]
	s_add_i32 s56, s56, 1
	v_add_u32_e32 v55, s52, v55
	s_cmp_lg_u32 s52, s56
	v_add_u32_e32 v56, s52, v56
	s_cbranch_scc0 .LBB57_25
.LBB57_34:                              ;   Parent Loop BB57_4 Depth=1
                                        ;     Parent Loop BB57_10 Depth=2
                                        ;       Parent Loop BB57_17 Depth=3
                                        ;         Parent Loop BB57_26 Depth=4
                                        ; =>        This Inner Loop Header: Depth=5
	v_add_u32_e32 v28, s56, v52
	v_add_u32_e32 v29, s54, v46
	v_cmp_lt_i32_e32 vcc, v28, v29
	s_and_saveexec_b64 s[50:51], vcc
	s_cbranch_execz .LBB57_33
; %bb.35:                               ;   in Loop: Header=BB57_34 Depth=5
	s_andn2_b64 vcc, exec, s[2:3]
	v_mov_b32_e32 v28, v55
	v_mov_b32_e32 v29, v56
	s_cbranch_vccnz .LBB57_32
; %bb.36:                               ;   in Loop: Header=BB57_34 Depth=5
	v_add_u32_e32 v29, s56, v53
	v_add_u32_e32 v28, s56, v54
	s_branch .LBB57_32
.LBB57_37:                              ;   in Loop: Header=BB57_4 Depth=1
	s_or_b64 exec, exec, s[40:41]
.LBB57_38:                              ;   in Loop: Header=BB57_4 Depth=1
	s_or_b64 exec, exec, s[38:39]
	v_add_u32_e32 v28, v43, v38
	s_mov_b32 s42, 0
	v_mov_b32_e32 v29, v41
	s_branch .LBB57_41
.LBB57_39:                              ;   in Loop: Header=BB57_41 Depth=2
	v_mul_f64 v[25:26], v[1:2], v[1:2]
	s_waitcnt vmcnt(0)
	v_add_f64 v[6:7], v[6:7], -v[23:24]
	v_add_f64 v[4:5], v[4:5], -v[21:22]
	v_fma_f64 v[25:26], v[17:18], v[17:18], v[25:26]
	v_mul_f64 v[21:22], v[1:2], v[6:7]
	v_mul_f64 v[1:2], v[1:2], -v[4:5]
	v_div_scale_f64 v[44:45], s[12:13], v[25:26], v[25:26], 1.0
	v_fma_f64 v[4:5], v[4:5], v[17:18], v[21:22]
	v_fma_f64 v[1:2], v[6:7], v[17:18], v[1:2]
	v_rcp_f64_e32 v[46:47], v[44:45]
	v_fma_f64 v[48:49], -v[44:45], v[46:47], 1.0
	v_fma_f64 v[46:47], v[46:47], v[48:49], v[46:47]
	v_div_scale_f64 v[48:49], vcc, 1.0, v[25:26], 1.0
	v_fma_f64 v[50:51], -v[44:45], v[46:47], 1.0
	v_fma_f64 v[46:47], v[46:47], v[50:51], v[46:47]
	v_mul_f64 v[50:51], v[48:49], v[46:47]
	v_fma_f64 v[44:45], -v[44:45], v[50:51], v[48:49]
	v_div_fmas_f64 v[23:24], v[44:45], v[46:47], v[50:51]
	v_div_fixup_f64 v[21:22], v[23:24], v[25:26], 1.0
	v_mul_f64 v[4:5], v[21:22], v[4:5]
	v_mul_f64 v[6:7], v[21:22], v[1:2]
	v_fma_f64 v[1:2], v[4:5], v[4:5], v[15:16]
	v_fma_f64 v[13:14], v[6:7], v[4:5], v[13:14]
	global_store_dwordx4 v[19:20], v[4:7], off
	v_fma_f64 v[15:16], v[6:7], v[6:7], v[1:2]
	v_fma_f64 v[13:14], v[4:5], -v[6:7], v[13:14]
.LBB57_40:                              ;   in Loop: Header=BB57_41 Depth=2
	s_or_b64 exec, exec, s[10:11]
	s_add_i32 s42, s42, 1
	s_cmp_eq_u32 s42, s52
	v_add_u32_e32 v29, 1, v29
	s_waitcnt vmcnt(0)
	buffer_wbinvl1_vol
	s_cbranch_scc1 .LBB57_3
.LBB57_41:                              ;   Parent Loop BB57_4 Depth=1
                                        ; =>  This Loop Header: Depth=2
                                        ;       Child Loop BB57_51 Depth 3
                                        ;       Child Loop BB57_59 Depth 3
                                        ;         Child Loop BB57_61 Depth 4
                                        ;       Child Loop BB57_69 Depth 3
	s_mul_i32 s43, s42, s52
	v_add_u32_e32 v30, s43, v38
	v_add_u32_e32 v1, s42, v30
	v_ashrrev_i32_e32 v2, 31, v1
	v_lshlrev_b64 v[5:6], 4, v[1:2]
	v_cmp_eq_u32_e32 vcc, s42, v37
	s_and_saveexec_b64 s[10:11], vcc
	s_cbranch_execz .LBB57_49
; %bb.42:                               ;   in Loop: Header=BB57_41 Depth=2
	v_mov_b32_e32 v1, s29
	v_add_co_u32_e32 v17, vcc, s28, v5
	v_addc_co_u32_e32 v18, vcc, v1, v6, vcc
	global_load_dwordx4 v[19:22], v[17:18], off
	s_waitcnt vmcnt(0)
	v_add_f64 v[1:2], v[19:20], -v[15:16]
	v_add_f64 v[23:24], v[21:22], -v[13:14]
                                        ; implicit-def: $vgpr21_vgpr22
	v_cmp_gt_f64_e32 vcc, 0, v[1:2]
	v_xor_b32_e32 v4, 0x80000000, v2
	v_xor_b32_e32 v7, 0x80000000, v24
	v_mov_b32_e32 v19, v23
	v_cndmask_b32_e32 v2, v2, v4, vcc
	v_cmp_gt_f64_e32 vcc, 0, v[23:24]
	v_cndmask_b32_e32 v20, v24, v7, vcc
	v_cmp_ngt_f64_e32 vcc, v[1:2], v[19:20]
	s_and_saveexec_b64 s[12:13], vcc
	s_xor_b64 s[12:13], exec, s[12:13]
	s_cbranch_execz .LBB57_46
; %bb.43:                               ;   in Loop: Header=BB57_41 Depth=2
	v_cmp_neq_f64_e32 vcc, 0, v[23:24]
	v_mov_b32_e32 v21, 0
	v_mov_b32_e32 v22, 0
	s_and_saveexec_b64 s[38:39], vcc
	s_cbranch_execz .LBB57_45
; %bb.44:                               ;   in Loop: Header=BB57_41 Depth=2
	v_div_scale_f64 v[21:22], s[40:41], v[19:20], v[19:20], v[1:2]
	v_rcp_f64_e32 v[23:24], v[21:22]
	v_fma_f64 v[25:26], -v[21:22], v[23:24], 1.0
	v_fma_f64 v[23:24], v[23:24], v[25:26], v[23:24]
	v_div_scale_f64 v[25:26], vcc, v[1:2], v[19:20], v[1:2]
	v_fma_f64 v[44:45], -v[21:22], v[23:24], 1.0
	v_fma_f64 v[23:24], v[23:24], v[44:45], v[23:24]
	v_mul_f64 v[44:45], v[25:26], v[23:24]
	v_fma_f64 v[21:22], -v[21:22], v[44:45], v[25:26]
	v_div_fmas_f64 v[21:22], v[21:22], v[23:24], v[44:45]
	v_div_fixup_f64 v[1:2], v[21:22], v[19:20], v[1:2]
	v_fma_f64 v[1:2], v[1:2], v[1:2], 1.0
	v_cmp_gt_f64_e32 vcc, s[34:35], v[1:2]
	v_cndmask_b32_e32 v4, 0, v35, vcc
	v_ldexp_f64 v[1:2], v[1:2], v4
	v_cndmask_b32_e32 v4, 0, v36, vcc
	v_rsq_f64_e32 v[21:22], v[1:2]
	v_cmp_class_f64_e32 vcc, v[1:2], v33
	v_mul_f64 v[23:24], v[1:2], v[21:22]
	v_mul_f64 v[21:22], v[21:22], 0.5
	v_fma_f64 v[25:26], -v[21:22], v[23:24], 0.5
	v_fma_f64 v[23:24], v[23:24], v[25:26], v[23:24]
	v_fma_f64 v[21:22], v[21:22], v[25:26], v[21:22]
	v_fma_f64 v[25:26], -v[23:24], v[23:24], v[1:2]
	v_fma_f64 v[23:24], v[25:26], v[21:22], v[23:24]
	v_fma_f64 v[25:26], -v[23:24], v[23:24], v[1:2]
	v_fma_f64 v[21:22], v[25:26], v[21:22], v[23:24]
	v_ldexp_f64 v[21:22], v[21:22], v4
	v_cndmask_b32_e32 v2, v22, v2, vcc
	v_cndmask_b32_e32 v1, v21, v1, vcc
	v_mul_f64 v[21:22], v[19:20], v[1:2]
.LBB57_45:                              ;   in Loop: Header=BB57_41 Depth=2
	s_or_b64 exec, exec, s[38:39]
                                        ; implicit-def: $vgpr1_vgpr2
                                        ; implicit-def: $vgpr19_vgpr20
.LBB57_46:                              ;   in Loop: Header=BB57_41 Depth=2
	s_andn2_saveexec_b64 s[12:13], s[12:13]
	s_cbranch_execz .LBB57_48
; %bb.47:                               ;   in Loop: Header=BB57_41 Depth=2
	v_div_scale_f64 v[21:22], s[38:39], v[1:2], v[1:2], v[19:20]
	v_rcp_f64_e32 v[23:24], v[21:22]
	v_fma_f64 v[25:26], -v[21:22], v[23:24], 1.0
	v_fma_f64 v[23:24], v[23:24], v[25:26], v[23:24]
	v_div_scale_f64 v[25:26], vcc, v[19:20], v[1:2], v[19:20]
	v_fma_f64 v[44:45], -v[21:22], v[23:24], 1.0
	v_fma_f64 v[23:24], v[23:24], v[44:45], v[23:24]
	v_mul_f64 v[44:45], v[25:26], v[23:24]
	v_fma_f64 v[21:22], -v[21:22], v[44:45], v[25:26]
	v_div_fmas_f64 v[21:22], v[21:22], v[23:24], v[44:45]
	v_div_fixup_f64 v[19:20], v[21:22], v[1:2], v[19:20]
	v_fma_f64 v[19:20], v[19:20], v[19:20], 1.0
	v_cmp_gt_f64_e32 vcc, s[34:35], v[19:20]
	v_cndmask_b32_e32 v4, 0, v35, vcc
	v_ldexp_f64 v[19:20], v[19:20], v4
	v_cndmask_b32_e32 v4, 0, v36, vcc
	v_rsq_f64_e32 v[21:22], v[19:20]
	v_cmp_class_f64_e32 vcc, v[19:20], v33
	v_mul_f64 v[23:24], v[19:20], v[21:22]
	v_mul_f64 v[21:22], v[21:22], 0.5
	v_fma_f64 v[25:26], -v[21:22], v[23:24], 0.5
	v_fma_f64 v[23:24], v[23:24], v[25:26], v[23:24]
	v_fma_f64 v[21:22], v[21:22], v[25:26], v[21:22]
	v_fma_f64 v[25:26], -v[23:24], v[23:24], v[19:20]
	v_fma_f64 v[23:24], v[25:26], v[21:22], v[23:24]
	v_fma_f64 v[25:26], -v[23:24], v[23:24], v[19:20]
	v_fma_f64 v[21:22], v[25:26], v[21:22], v[23:24]
	v_ldexp_f64 v[21:22], v[21:22], v4
	v_cndmask_b32_e32 v20, v22, v20, vcc
	v_cndmask_b32_e32 v19, v21, v19, vcc
	v_mul_f64 v[21:22], v[1:2], v[19:20]
.LBB57_48:                              ;   in Loop: Header=BB57_41 Depth=2
	s_or_b64 exec, exec, s[12:13]
	v_cmp_gt_f64_e32 vcc, s[34:35], v[21:22]
	v_cndmask_b32_e32 v1, 0, v35, vcc
	v_ldexp_f64 v[1:2], v[21:22], v1
	v_cndmask_b32_e32 v4, 0, v36, vcc
	v_rsq_f64_e32 v[19:20], v[1:2]
	v_cmp_class_f64_e32 vcc, v[1:2], v33
	v_mul_f64 v[21:22], v[1:2], v[19:20]
	v_mul_f64 v[19:20], v[19:20], 0.5
	v_fma_f64 v[23:24], -v[19:20], v[21:22], 0.5
	v_fma_f64 v[21:22], v[21:22], v[23:24], v[21:22]
	v_fma_f64 v[19:20], v[19:20], v[23:24], v[19:20]
	v_fma_f64 v[23:24], -v[21:22], v[21:22], v[1:2]
	v_fma_f64 v[21:22], v[23:24], v[19:20], v[21:22]
	v_fma_f64 v[23:24], -v[21:22], v[21:22], v[1:2]
	v_fma_f64 v[19:20], v[23:24], v[19:20], v[21:22]
	v_ldexp_f64 v[19:20], v[19:20], v4
	v_mov_b32_e32 v4, v3
	v_cndmask_b32_e32 v2, v20, v2, vcc
	v_cndmask_b32_e32 v1, v19, v1, vcc
	global_store_dwordx4 v[17:18], v[1:4], off
.LBB57_49:                              ;   in Loop: Header=BB57_41 Depth=2
	s_or_b64 exec, exec, s[10:11]
	v_mov_b32_e32 v2, s29
	v_add_co_u32_e32 v1, vcc, s28, v5
	v_addc_co_u32_e32 v2, vcc, v2, v6, vcc
	s_waitcnt vmcnt(0)
	buffer_wbinvl1_vol
	global_load_dwordx4 v[4:7], v[1:2], off
	s_waitcnt vmcnt(0)
	v_cmp_neq_f64_e32 vcc, 0, v[4:5]
	v_cmp_neq_f64_e64 s[10:11], 0, v[6:7]
	s_or_b64 vcc, vcc, s[10:11]
	v_cndmask_b32_e32 v2, 0, v7, vcc
	s_nor_b64 s[12:13], vcc, s[0:1]
	v_cndmask_b32_e32 v1, 0, v6, vcc
	v_cndmask_b32_e32 v18, v34, v5, vcc
	;; [unrolled: 1-line block ×3, first 2 shown]
	s_and_saveexec_b64 s[10:11], s[12:13]
	s_cbranch_execz .LBB57_55
; %bb.50:                               ;   in Loop: Header=BB57_41 Depth=2
	s_mov_b64 s[12:13], exec
	s_brev_b32 s38, -2
.LBB57_51:                              ;   Parent Loop BB57_4 Depth=1
                                        ;     Parent Loop BB57_41 Depth=2
                                        ; =>    This Inner Loop Header: Depth=3
	s_ff1_i32_b64 s39, s[12:13]
	v_readlane_b32 s44, v32, s39
	s_lshl_b64 s[40:41], 1, s39
	s_min_i32 s38, s38, s44
	s_andn2_b64 s[12:13], s[12:13], s[40:41]
	s_cmp_lg_u64 s[12:13], 0
	s_cbranch_scc1 .LBB57_51
; %bb.52:                               ;   in Loop: Header=BB57_41 Depth=2
	v_mbcnt_lo_u32_b32 v1, exec_lo, 0
	v_mbcnt_hi_u32_b32 v1, exec_hi, v1
	v_cmp_eq_u32_e32 vcc, 0, v1
	s_and_saveexec_b64 s[12:13], vcc
	s_xor_b64 s[12:13], exec, s[12:13]
	s_cbranch_execz .LBB57_54
; %bb.53:                               ;   in Loop: Header=BB57_41 Depth=2
	v_mov_b32_e32 v1, s38
	global_atomic_smin v3, v1, s[22:23]
.LBB57_54:                              ;   in Loop: Header=BB57_41 Depth=2
	s_or_b64 exec, exec, s[12:13]
	v_mov_b32_e32 v1, 0
	v_mov_b32_e32 v17, 0
	;; [unrolled: 1-line block ×4, first 2 shown]
.LBB57_55:                              ;   in Loop: Header=BB57_41 Depth=2
	s_or_b64 exec, exec, s[10:11]
	v_cmp_lt_i32_e32 vcc, s42, v37
	s_and_saveexec_b64 s[10:11], vcc
	s_cbranch_execz .LBB57_40
; %bb.56:                               ;   in Loop: Header=BB57_41 Depth=2
	v_add_u32_e32 v4, s42, v28
	v_add_u32_e32 v5, v30, v37
	v_cndmask_b32_e64 v4, v5, v4, s[2:3]
	v_ashrrev_i32_e32 v5, 31, v4
	v_lshlrev_b64 v[4:5], 4, v[4:5]
	v_mov_b32_e32 v6, s29
	v_add_co_u32_e32 v19, vcc, s28, v4
	v_addc_co_u32_e32 v20, vcc, v6, v5, vcc
	global_load_dwordx4 v[4:7], v[19:20], off
	v_mov_b32_e32 v21, 0
	v_mov_b32_e32 v23, 0
	;; [unrolled: 1-line block ×4, first 2 shown]
	s_and_saveexec_b64 s[12:13], s[4:5]
	s_cbranch_execz .LBB57_66
; %bb.57:                               ;   in Loop: Header=BB57_41 Depth=2
	v_mov_b32_e32 v21, 0
	v_mov_b32_e32 v23, 0
	;; [unrolled: 1-line block ×3, first 2 shown]
	s_mov_b64 s[38:39], 0
	v_mov_b32_e32 v44, v29
	v_mov_b32_e32 v45, v42
	;; [unrolled: 1-line block ×4, first 2 shown]
	s_branch .LBB57_59
.LBB57_58:                              ;   in Loop: Header=BB57_59 Depth=3
	v_add_u32_e32 v46, 1, v46
	v_cmp_ge_i32_e32 vcc, v46, v31
	v_add_u32_e32 v45, s53, v45
	s_or_b64 s[38:39], vcc, s[38:39]
	v_add_u32_e32 v44, s53, v44
	s_andn2_b64 exec, exec, s[38:39]
	s_cbranch_execz .LBB57_65
.LBB57_59:                              ;   Parent Loop BB57_4 Depth=1
                                        ;     Parent Loop BB57_41 Depth=2
                                        ; =>    This Loop Header: Depth=3
                                        ;         Child Loop BB57_61 Depth 4
	v_mul_lo_u32 v25, v46, s53
	s_mov_b32 s44, 0
	s_mov_b32 s45, s52
	s_mov_b32 s46, 0
	v_add_u32_e32 v47, s43, v25
	v_add_u32_e32 v48, v25, v43
	s_branch .LBB57_61
.LBB57_60:                              ;   in Loop: Header=BB57_61 Depth=4
	v_ashrrev_i32_e32 v27, 31, v26
	v_lshlrev_b64 v[26:27], 4, v[26:27]
	v_mov_b32_e32 v49, s29
	v_add_co_u32_e32 v57, vcc, s28, v26
	v_ashrrev_i32_e32 v26, 31, v25
	v_lshlrev_b64 v[25:26], 4, v[25:26]
	v_addc_co_u32_e32 v58, vcc, v49, v27, vcc
	v_add_co_u32_e32 v25, vcc, s28, v25
	v_addc_co_u32_e32 v26, vcc, v49, v26, vcc
	global_load_dwordx4 v[49:52], v[57:58], off
	global_load_dwordx4 v[53:56], v[25:26], off
	s_add_i32 s46, s46, 1
	s_add_i32 s44, s44, s52
	s_add_i32 s45, s45, -1
	s_cmp_eq_u32 s45, 0
	s_waitcnt vmcnt(0)
	v_fma_f64 v[21:22], v[53:54], v[49:50], v[21:22]
	v_fma_f64 v[23:24], v[55:56], v[49:50], v[23:24]
	;; [unrolled: 1-line block ×3, first 2 shown]
	v_fma_f64 v[23:24], v[53:54], -v[51:52], v[23:24]
	s_cbranch_scc1 .LBB57_58
.LBB57_61:                              ;   Parent Loop BB57_4 Depth=1
                                        ;     Parent Loop BB57_41 Depth=2
                                        ;       Parent Loop BB57_59 Depth=3
                                        ; =>      This Inner Loop Header: Depth=4
	s_mov_b64 s[40:41], -1
	s_and_b64 vcc, exec, s[36:37]
                                        ; implicit-def: $vgpr26
                                        ; implicit-def: $vgpr25
	s_cbranch_vccz .LBB57_63
; %bb.62:                               ;   in Loop: Header=BB57_61 Depth=4
	v_add_u32_e32 v25, s44, v44
	v_add_u32_e32 v26, s44, v45
	s_mov_b64 s[40:41], 0
.LBB57_63:                              ;   in Loop: Header=BB57_61 Depth=4
	s_andn2_b64 vcc, exec, s[40:41]
	s_cbranch_vccnz .LBB57_60
; %bb.64:                               ;   in Loop: Header=BB57_61 Depth=4
	v_add_u32_e32 v25, s46, v47
	v_add_u32_e32 v26, s46, v48
	s_branch .LBB57_60
.LBB57_65:                              ;   in Loop: Header=BB57_41 Depth=2
	s_or_b64 exec, exec, s[38:39]
.LBB57_66:                              ;   in Loop: Header=BB57_41 Depth=2
	s_or_b64 exec, exec, s[12:13]
	s_cmp_eq_u32 s42, 0
	s_cbranch_scc1 .LBB57_39
; %bb.67:                               ;   in Loop: Header=BB57_41 Depth=2
	s_mov_b32 s38, 0
	v_mov_b32_e32 v44, v38
	s_branch .LBB57_69
.LBB57_68:                              ;   in Loop: Header=BB57_69 Depth=3
	v_ashrrev_i32_e32 v27, 31, v26
	v_lshlrev_b64 v[26:27], 4, v[26:27]
	v_mov_b32_e32 v45, s29
	v_add_co_u32_e32 v53, vcc, s28, v26
	v_ashrrev_i32_e32 v26, 31, v25
	v_lshlrev_b64 v[25:26], 4, v[25:26]
	v_addc_co_u32_e32 v54, vcc, v45, v27, vcc
	v_add_co_u32_e32 v25, vcc, s28, v25
	v_addc_co_u32_e32 v26, vcc, v45, v26, vcc
	global_load_dwordx4 v[45:48], v[53:54], off
	global_load_dwordx4 v[49:52], v[25:26], off
	s_add_i32 s38, s38, 1
	s_cmp_eq_u32 s42, s38
	v_add_u32_e32 v44, s52, v44
	s_waitcnt vmcnt(0)
	v_fma_f64 v[21:22], v[49:50], v[45:46], v[21:22]
	v_fma_f64 v[23:24], v[51:52], v[45:46], v[23:24]
	v_fma_f64 v[21:22], v[51:52], v[47:48], v[21:22]
	v_fma_f64 v[23:24], v[49:50], -v[47:48], v[23:24]
	s_cbranch_scc1 .LBB57_39
.LBB57_69:                              ;   Parent Loop BB57_4 Depth=1
                                        ;     Parent Loop BB57_41 Depth=2
                                        ; =>    This Inner Loop Header: Depth=3
	s_mov_b64 s[12:13], -1
	s_and_b64 vcc, exec, s[36:37]
                                        ; implicit-def: $vgpr26
                                        ; implicit-def: $vgpr25
	s_cbranch_vccz .LBB57_71
; %bb.70:                               ;   in Loop: Header=BB57_69 Depth=3
	v_add_u32_e32 v25, s42, v44
	v_add_u32_e32 v26, v37, v44
	s_mov_b64 s[12:13], 0
.LBB57_71:                              ;   in Loop: Header=BB57_69 Depth=3
	s_andn2_b64 vcc, exec, s[12:13]
	s_cbranch_vccnz .LBB57_68
; %bb.72:                               ;   in Loop: Header=BB57_69 Depth=3
	v_add_u32_e32 v25, s38, v30
	v_add_u32_e32 v26, s38, v28
	s_branch .LBB57_68
.LBB57_73:
	s_or_b64 exec, exec, s[20:21]
	v_cmp_eq_u32_e32 vcc, 31, v0
	s_and_saveexec_b64 s[0:1], vcc
	s_cbranch_execz .LBB57_75
; %bb.74:
	v_mov_b32_e32 v1, s19
	v_add_co_u32_e32 v0, vcc, s18, v8
	v_addc_co_u32_e32 v1, vcc, v1, v9, vcc
	v_mov_b32_e32 v2, 1
	global_store_dword v[0:1], v2, off
.LBB57_75:
	s_or_b64 exec, exec, s[0:1]
                                        ; implicit-def: $vgpr0
                                        ; implicit-def: $vgpr8_vgpr9
                                        ; implicit-def: $vgpr1_vgpr2
.LBB57_76:
	s_andn2_saveexec_b64 s[0:1], s[14:15]
	s_cbranch_execz .LBB57_83
; %bb.77:
	v_cmp_eq_u32_e32 vcc, 31, v0
	s_and_saveexec_b64 s[0:1], vcc
	s_cbranch_execz .LBB57_83
; %bb.78:
	s_mov_b64 s[0:1], exec
	v_add_u32_e32 v0, s33, v1
	s_brev_b32 s2, -2
.LBB57_79:                              ; =>This Inner Loop Header: Depth=1
	s_ff1_i32_b64 s3, s[0:1]
	v_readlane_b32 s6, v0, s3
	s_lshl_b64 s[4:5], 1, s3
	s_min_i32 s2, s2, s6
	s_andn2_b64 s[0:1], s[0:1], s[4:5]
	s_cmp_lg_u64 s[0:1], 0
	s_cbranch_scc1 .LBB57_79
; %bb.80:
	v_mbcnt_lo_u32_b32 v0, exec_lo, 0
	v_mbcnt_hi_u32_b32 v0, exec_hi, v0
	v_cmp_eq_u32_e32 vcc, 0, v0
	s_and_saveexec_b64 s[0:1], vcc
	s_xor_b64 s[0:1], exec, s[0:1]
	s_cbranch_execz .LBB57_82
; %bb.81:
	v_mov_b32_e32 v0, 0
	v_mov_b32_e32 v1, s2
	global_atomic_smin v0, v1, s[22:23]
.LBB57_82:
	s_or_b64 exec, exec, s[0:1]
	v_mov_b32_e32 v1, s19
	v_add_co_u32_e32 v0, vcc, s18, v8
	v_addc_co_u32_e32 v1, vcc, v1, v9, vcc
	v_mov_b32_e32 v2, 1
	s_waitcnt vmcnt(0)
	global_store_dword v[0:1], v2, off
.LBB57_83:
	s_endpgm
	.section	.rodata,"a",@progbits
	.p2align	6, 0x0
	.amdhsa_kernel _ZN9rocsparseL23bsric0_binsearch_kernelILj32ELj32ELb0E21rocsparse_complex_numIdEEEv20rocsparse_direction_iiPKiS5_PT2_S5_PiS5_S8_21rocsparse_index_base_
		.amdhsa_group_segment_fixed_size 0
		.amdhsa_private_segment_fixed_size 0
		.amdhsa_kernarg_size 76
		.amdhsa_user_sgpr_count 6
		.amdhsa_user_sgpr_private_segment_buffer 1
		.amdhsa_user_sgpr_dispatch_ptr 0
		.amdhsa_user_sgpr_queue_ptr 0
		.amdhsa_user_sgpr_kernarg_segment_ptr 1
		.amdhsa_user_sgpr_dispatch_id 0
		.amdhsa_user_sgpr_flat_scratch_init 0
		.amdhsa_user_sgpr_private_segment_size 0
		.amdhsa_uses_dynamic_stack 0
		.amdhsa_system_sgpr_private_segment_wavefront_offset 0
		.amdhsa_system_sgpr_workgroup_id_x 1
		.amdhsa_system_sgpr_workgroup_id_y 0
		.amdhsa_system_sgpr_workgroup_id_z 0
		.amdhsa_system_sgpr_workgroup_info 0
		.amdhsa_system_vgpr_workitem_id 0
		.amdhsa_next_free_vgpr 65
		.amdhsa_next_free_sgpr 57
		.amdhsa_reserve_vcc 1
		.amdhsa_reserve_flat_scratch 0
		.amdhsa_float_round_mode_32 0
		.amdhsa_float_round_mode_16_64 0
		.amdhsa_float_denorm_mode_32 3
		.amdhsa_float_denorm_mode_16_64 3
		.amdhsa_dx10_clamp 1
		.amdhsa_ieee_mode 1
		.amdhsa_fp16_overflow 0
		.amdhsa_exception_fp_ieee_invalid_op 0
		.amdhsa_exception_fp_denorm_src 0
		.amdhsa_exception_fp_ieee_div_zero 0
		.amdhsa_exception_fp_ieee_overflow 0
		.amdhsa_exception_fp_ieee_underflow 0
		.amdhsa_exception_fp_ieee_inexact 0
		.amdhsa_exception_int_div_zero 0
	.end_amdhsa_kernel
	.section	.text._ZN9rocsparseL23bsric0_binsearch_kernelILj32ELj32ELb0E21rocsparse_complex_numIdEEEv20rocsparse_direction_iiPKiS5_PT2_S5_PiS5_S8_21rocsparse_index_base_,"axG",@progbits,_ZN9rocsparseL23bsric0_binsearch_kernelILj32ELj32ELb0E21rocsparse_complex_numIdEEEv20rocsparse_direction_iiPKiS5_PT2_S5_PiS5_S8_21rocsparse_index_base_,comdat
.Lfunc_end57:
	.size	_ZN9rocsparseL23bsric0_binsearch_kernelILj32ELj32ELb0E21rocsparse_complex_numIdEEEv20rocsparse_direction_iiPKiS5_PT2_S5_PiS5_S8_21rocsparse_index_base_, .Lfunc_end57-_ZN9rocsparseL23bsric0_binsearch_kernelILj32ELj32ELb0E21rocsparse_complex_numIdEEEv20rocsparse_direction_iiPKiS5_PT2_S5_PiS5_S8_21rocsparse_index_base_
                                        ; -- End function
	.set _ZN9rocsparseL23bsric0_binsearch_kernelILj32ELj32ELb0E21rocsparse_complex_numIdEEEv20rocsparse_direction_iiPKiS5_PT2_S5_PiS5_S8_21rocsparse_index_base_.num_vgpr, 65
	.set _ZN9rocsparseL23bsric0_binsearch_kernelILj32ELj32ELb0E21rocsparse_complex_numIdEEEv20rocsparse_direction_iiPKiS5_PT2_S5_PiS5_S8_21rocsparse_index_base_.num_agpr, 0
	.set _ZN9rocsparseL23bsric0_binsearch_kernelILj32ELj32ELb0E21rocsparse_complex_numIdEEEv20rocsparse_direction_iiPKiS5_PT2_S5_PiS5_S8_21rocsparse_index_base_.numbered_sgpr, 57
	.set _ZN9rocsparseL23bsric0_binsearch_kernelILj32ELj32ELb0E21rocsparse_complex_numIdEEEv20rocsparse_direction_iiPKiS5_PT2_S5_PiS5_S8_21rocsparse_index_base_.num_named_barrier, 0
	.set _ZN9rocsparseL23bsric0_binsearch_kernelILj32ELj32ELb0E21rocsparse_complex_numIdEEEv20rocsparse_direction_iiPKiS5_PT2_S5_PiS5_S8_21rocsparse_index_base_.private_seg_size, 0
	.set _ZN9rocsparseL23bsric0_binsearch_kernelILj32ELj32ELb0E21rocsparse_complex_numIdEEEv20rocsparse_direction_iiPKiS5_PT2_S5_PiS5_S8_21rocsparse_index_base_.uses_vcc, 1
	.set _ZN9rocsparseL23bsric0_binsearch_kernelILj32ELj32ELb0E21rocsparse_complex_numIdEEEv20rocsparse_direction_iiPKiS5_PT2_S5_PiS5_S8_21rocsparse_index_base_.uses_flat_scratch, 0
	.set _ZN9rocsparseL23bsric0_binsearch_kernelILj32ELj32ELb0E21rocsparse_complex_numIdEEEv20rocsparse_direction_iiPKiS5_PT2_S5_PiS5_S8_21rocsparse_index_base_.has_dyn_sized_stack, 0
	.set _ZN9rocsparseL23bsric0_binsearch_kernelILj32ELj32ELb0E21rocsparse_complex_numIdEEEv20rocsparse_direction_iiPKiS5_PT2_S5_PiS5_S8_21rocsparse_index_base_.has_recursion, 0
	.set _ZN9rocsparseL23bsric0_binsearch_kernelILj32ELj32ELb0E21rocsparse_complex_numIdEEEv20rocsparse_direction_iiPKiS5_PT2_S5_PiS5_S8_21rocsparse_index_base_.has_indirect_call, 0
	.section	.AMDGPU.csdata,"",@progbits
; Kernel info:
; codeLenInByte = 3640
; TotalNumSgprs: 61
; NumVgprs: 65
; ScratchSize: 0
; MemoryBound: 0
; FloatMode: 240
; IeeeMode: 1
; LDSByteSize: 0 bytes/workgroup (compile time only)
; SGPRBlocks: 7
; VGPRBlocks: 16
; NumSGPRsForWavesPerEU: 61
; NumVGPRsForWavesPerEU: 65
; Occupancy: 3
; WaveLimiterHint : 1
; COMPUTE_PGM_RSRC2:SCRATCH_EN: 0
; COMPUTE_PGM_RSRC2:USER_SGPR: 6
; COMPUTE_PGM_RSRC2:TRAP_HANDLER: 0
; COMPUTE_PGM_RSRC2:TGID_X_EN: 1
; COMPUTE_PGM_RSRC2:TGID_Y_EN: 0
; COMPUTE_PGM_RSRC2:TGID_Z_EN: 0
; COMPUTE_PGM_RSRC2:TIDIG_COMP_CNT: 0
	.section	.text._ZN9rocsparseL23bsric0_binsearch_kernelILj64ELj64ELb1E21rocsparse_complex_numIdEEEv20rocsparse_direction_iiPKiS5_PT2_S5_PiS5_S8_21rocsparse_index_base_,"axG",@progbits,_ZN9rocsparseL23bsric0_binsearch_kernelILj64ELj64ELb1E21rocsparse_complex_numIdEEEv20rocsparse_direction_iiPKiS5_PT2_S5_PiS5_S8_21rocsparse_index_base_,comdat
	.globl	_ZN9rocsparseL23bsric0_binsearch_kernelILj64ELj64ELb1E21rocsparse_complex_numIdEEEv20rocsparse_direction_iiPKiS5_PT2_S5_PiS5_S8_21rocsparse_index_base_ ; -- Begin function _ZN9rocsparseL23bsric0_binsearch_kernelILj64ELj64ELb1E21rocsparse_complex_numIdEEEv20rocsparse_direction_iiPKiS5_PT2_S5_PiS5_S8_21rocsparse_index_base_
	.p2align	8
	.type	_ZN9rocsparseL23bsric0_binsearch_kernelILj64ELj64ELb1E21rocsparse_complex_numIdEEEv20rocsparse_direction_iiPKiS5_PT2_S5_PiS5_S8_21rocsparse_index_base_,@function
_ZN9rocsparseL23bsric0_binsearch_kernelILj64ELj64ELb1E21rocsparse_complex_numIdEEEv20rocsparse_direction_iiPKiS5_PT2_S5_PiS5_S8_21rocsparse_index_base_: ; @_ZN9rocsparseL23bsric0_binsearch_kernelILj64ELj64ELb1E21rocsparse_complex_numIdEEEv20rocsparse_direction_iiPKiS5_PT2_S5_PiS5_S8_21rocsparse_index_base_
; %bb.0:
	s_load_dwordx8 s[16:23], s[4:5], 0x28
	s_ashr_i32 s7, s6, 31
	s_lshl_b64 s[0:1], s[6:7], 2
	v_mov_b32_e32 v1, 0
	s_load_dword s33, s[4:5], 0x48
	s_waitcnt lgkmcnt(0)
	s_add_u32 s0, s20, s0
	s_addc_u32 s1, s21, s1
	global_load_dword v1, v1, s[0:1]
	v_mov_b32_e32 v3, s17
	s_waitcnt vmcnt(0)
	v_ashrrev_i32_e32 v2, 31, v1
	v_lshlrev_b64 v[8:9], 2, v[1:2]
	v_add_co_u32_e32 v2, vcc, s16, v8
	v_addc_co_u32_e32 v3, vcc, v3, v9, vcc
	global_load_dword v31, v[2:3], off
	s_waitcnt vmcnt(0)
	v_readfirstlane_b32 s0, v31
	s_cmp_lg_u32 s0, -1
	s_cselect_b64 s[0:1], -1, 0
	s_and_saveexec_b64 s[2:3], s[0:1]
	s_xor_b64 s[14:15], exec, s[2:3]
	s_cbranch_execz .LBB58_78
; %bb.1:
	s_load_dword s52, s[4:5], 0x8
	s_waitcnt lgkmcnt(0)
	v_cmp_gt_i32_e32 vcc, s52, v0
	s_and_saveexec_b64 s[20:21], vcc
	s_cbranch_execz .LBB58_75
; %bb.2:
	s_load_dwordx4 s[24:27], s[4:5], 0x10
	s_load_dword s6, s[4:5], 0x0
	v_add_u32_e32 v32, s33, v1
	s_mul_i32 s53, s52, s52
	s_load_dwordx2 s[28:29], s[4:5], 0x20
	s_waitcnt lgkmcnt(0)
	v_mov_b32_e32 v3, s25
	v_add_co_u32_e32 v2, vcc, s24, v8
	v_addc_co_u32_e32 v3, vcc, v3, v9, vcc
	global_load_dwordx2 v[2:3], v[2:3], off
	v_mul_lo_u32 v38, v31, s53
	s_cmp_eq_u32 s6, 0
	s_mov_b32 s34, 0
	v_mov_b32_e32 v4, s27
	s_cselect_b64 s[2:3], -1, 0
	s_cmp_lg_u32 s6, 0
	v_cmp_ne_u32_e64 s[0:1], 0, v0
	s_mov_b64 s[30:31], 0
	s_brev_b32 s35, 8
	v_mov_b32_e32 v33, 0x260
	v_mov_b32_e32 v34, 0x3ff00000
	;; [unrolled: 1-line block ×5, first 2 shown]
	s_cselect_b64 s[36:37], -1, 0
	s_waitcnt vmcnt(0)
	v_subrev_u32_e32 v39, s33, v2
	v_xad_u32 v40, s33, -1, v3
	v_add_u32_e32 v1, v40, v39
	v_ashrrev_i32_e32 v10, 1, v1
	v_mul_lo_u32 v41, s53, v39
	v_ashrrev_i32_e32 v11, 31, v10
	v_lshlrev_b64 v[1:2], 2, v[10:11]
	v_cmp_lt_i32_e64 s[4:5], v39, v31
	v_add_co_u32_e32 v11, vcc, s26, v1
	v_cmp_ge_i32_e64 s[6:7], v39, v31
	v_cmp_lt_i32_e64 s[8:9], v39, v40
	v_add_u32_e32 v42, v41, v0
	v_addc_co_u32_e32 v12, vcc, v4, v2, vcc
	v_mov_b32_e32 v3, 0
	s_branch .LBB58_4
.LBB58_3:                               ;   in Loop: Header=BB58_4 Depth=1
	v_add_u32_e32 v37, 64, v37
	v_cmp_le_i32_e32 vcc, s52, v37
	s_or_b64 s[30:31], vcc, s[30:31]
	v_add_u32_e32 v42, 64, v42
	s_andn2_b64 exec, exec, s[30:31]
	s_cbranch_execz .LBB58_75
.LBB58_4:                               ; =>This Loop Header: Depth=1
                                        ;     Child Loop BB58_10 Depth 2
                                        ;       Child Loop BB58_14 Depth 3
                                        ;         Child Loop BB58_15 Depth 4
                                        ;       Child Loop BB58_19 Depth 3
                                        ;         Child Loop BB58_21 Depth 4
                                        ;         Child Loop BB58_28 Depth 4
                                        ;           Child Loop BB58_30 Depth 5
                                        ;           Child Loop BB58_36 Depth 5
                                        ;     Child Loop BB58_43 Depth 2
                                        ;       Child Loop BB58_53 Depth 3
                                        ;       Child Loop BB58_61 Depth 3
                                        ;         Child Loop BB58_63 Depth 4
                                        ;       Child Loop BB58_71 Depth 3
	v_mul_lo_u32 v43, v37, s52
	s_and_saveexec_b64 s[10:11], s[6:7]
	s_xor_b64 s[10:11], exec, s[10:11]
; %bb.5:                                ;   in Loop: Header=BB58_4 Depth=1
	v_mul_lo_u32 v43, v37, s52
; %bb.6:                                ;   in Loop: Header=BB58_4 Depth=1
	s_or_saveexec_b64 s[38:39], s[10:11]
	v_mov_b32_e32 v13, 0
	v_mov_b32_e32 v15, 0
	;; [unrolled: 1-line block ×4, first 2 shown]
	s_xor_b64 exec, exec, s[38:39]
	s_cbranch_execz .LBB58_40
; %bb.7:                                ;   in Loop: Header=BB58_4 Depth=1
	v_mov_b32_e32 v13, 0
	v_mov_b32_e32 v15, 0
	;; [unrolled: 1-line block ×3, first 2 shown]
	s_mov_b64 s[40:41], 0
	v_mov_b32_e32 v16, 0
	v_mov_b32_e32 v1, v39
                                        ; implicit-def: $sgpr42_sgpr43
	s_branch .LBB58_10
.LBB58_8:                               ;   in Loop: Header=BB58_10 Depth=2
	v_add_u32_e32 v1, 1, v1
	v_cmp_ge_i32_e32 vcc, v1, v31
	s_andn2_b64 s[10:11], s[42:43], exec
	s_and_b64 s[12:13], vcc, exec
	s_or_b64 s[42:43], s[10:11], s[12:13]
.LBB58_9:                               ;   in Loop: Header=BB58_10 Depth=2
	s_or_b64 exec, exec, s[44:45]
	s_and_b64 s[10:11], exec, s[42:43]
	s_or_b64 s[40:41], s[10:11], s[40:41]
	s_andn2_b64 exec, exec, s[40:41]
	s_cbranch_execz .LBB58_39
.LBB58_10:                              ;   Parent Loop BB58_4 Depth=1
                                        ; =>  This Loop Header: Depth=2
                                        ;       Child Loop BB58_14 Depth 3
                                        ;         Child Loop BB58_15 Depth 4
                                        ;       Child Loop BB58_19 Depth 3
                                        ;         Child Loop BB58_21 Depth 4
                                        ;         Child Loop BB58_28 Depth 4
                                        ;           Child Loop BB58_30 Depth 5
                                        ;           Child Loop BB58_36 Depth 5
	v_ashrrev_i32_e32 v2, 31, v1
	v_lshlrev_b64 v[4:5], 2, v[1:2]
	v_mov_b32_e32 v2, s27
	v_add_co_u32_e32 v4, vcc, s26, v4
	v_addc_co_u32_e32 v5, vcc, v2, v5, vcc
	global_load_dword v2, v[4:5], off
	v_mov_b32_e32 v7, s17
	s_or_b64 s[42:43], s[42:43], exec
	s_waitcnt vmcnt(0)
	v_subrev_u32_e32 v4, s33, v2
	v_ashrrev_i32_e32 v5, 31, v4
	v_lshlrev_b64 v[5:6], 2, v[4:5]
	v_add_co_u32_e32 v17, vcc, s16, v5
	v_addc_co_u32_e32 v18, vcc, v7, v6, vcc
	global_load_dword v44, v[17:18], off
	s_waitcnt vmcnt(0)
	v_cmp_ne_u32_e32 vcc, -1, v44
	s_and_saveexec_b64 s[44:45], vcc
	s_cbranch_execz .LBB58_9
; %bb.11:                               ;   in Loop: Header=BB58_10 Depth=2
	v_mov_b32_e32 v7, s25
	v_add_co_u32_e32 v17, vcc, s24, v5
	v_addc_co_u32_e32 v18, vcc, v7, v6, vcc
	global_load_dword v7, v[17:18], off
	v_mov_b32_e32 v17, s19
	v_add_co_u32_e32 v5, vcc, s18, v5
	v_addc_co_u32_e32 v6, vcc, v17, v6, vcc
	global_load_dword v17, v[5:6], off glc
	s_waitcnt vmcnt(0)
	v_cmp_eq_u32_e32 vcc, 0, v17
	s_and_saveexec_b64 s[10:11], vcc
	s_cbranch_execz .LBB58_16
; %bb.12:                               ;   in Loop: Header=BB58_10 Depth=2
	s_mov_b32 s46, 0
	s_mov_b64 s[12:13], 0
	s_branch .LBB58_14
.LBB58_13:                              ;   in Loop: Header=BB58_14 Depth=3
	global_load_dword v17, v[5:6], off glc
	s_cmpk_lt_u32 s46, 0xf43
	s_cselect_b64 s[48:49], -1, 0
	s_cmp_lg_u64 s[48:49], 0
	s_addc_u32 s46, s46, 0
	s_waitcnt vmcnt(0)
	v_cmp_ne_u32_e32 vcc, 0, v17
	s_or_b64 s[12:13], vcc, s[12:13]
	s_andn2_b64 exec, exec, s[12:13]
	s_cbranch_execz .LBB58_16
.LBB58_14:                              ;   Parent Loop BB58_4 Depth=1
                                        ;     Parent Loop BB58_10 Depth=2
                                        ; =>    This Loop Header: Depth=3
                                        ;         Child Loop BB58_15 Depth 4
	s_cmp_eq_u32 s46, 0
	s_mov_b32 s47, s46
	s_cbranch_scc1 .LBB58_13
.LBB58_15:                              ;   Parent Loop BB58_4 Depth=1
                                        ;     Parent Loop BB58_10 Depth=2
                                        ;       Parent Loop BB58_14 Depth=3
                                        ; =>      This Inner Loop Header: Depth=4
	s_add_i32 s47, s47, -1
	s_cmp_eq_u32 s47, 0
	s_sleep 1
	s_cbranch_scc0 .LBB58_15
	s_branch .LBB58_13
.LBB58_16:                              ;   in Loop: Header=BB58_10 Depth=2
	s_or_b64 exec, exec, s[10:11]
	v_mul_lo_u32 v5, v1, s53
	v_subrev_u32_e32 v45, s33, v7
	v_mul_lo_u32 v46, v4, s52
	v_mul_lo_u32 v48, s53, v45
	v_add_u32_e32 v47, v5, v37
	v_add_u32_e32 v49, v5, v43
	v_cmp_le_i32_e64 s[10:11], v45, v44
	s_mov_b32 s54, 0
	buffer_wbinvl1_vol
	s_branch .LBB58_19
.LBB58_17:                              ;   in Loop: Header=BB58_19 Depth=3
	s_or_b64 exec, exec, s[46:47]
.LBB58_18:                              ;   in Loop: Header=BB58_19 Depth=3
	s_or_b64 exec, exec, s[12:13]
	v_mul_f64 v[27:28], v[19:20], v[19:20]
	s_waitcnt vmcnt(0)
	v_add_f64 v[6:7], v[6:7], -v[23:24]
	v_add_f64 v[4:5], v[4:5], -v[25:26]
	s_add_i32 s54, s54, 1
	s_cmp_eq_u32 s54, s52
	v_add_u32_e32 v48, 1, v48
	v_fma_f64 v[27:28], v[17:18], v[17:18], v[27:28]
	v_mul_f64 v[25:26], v[19:20], v[6:7]
	v_mul_f64 v[19:20], v[19:20], -v[4:5]
	v_div_scale_f64 v[29:30], s[12:13], v[27:28], v[27:28], 1.0
	v_fma_f64 v[4:5], v[4:5], v[17:18], v[25:26]
	v_fma_f64 v[6:7], v[6:7], v[17:18], v[19:20]
	v_rcp_f64_e32 v[50:51], v[29:30]
	v_fma_f64 v[52:53], -v[29:30], v[50:51], 1.0
	v_fma_f64 v[50:51], v[50:51], v[52:53], v[50:51]
	v_div_scale_f64 v[52:53], vcc, 1.0, v[27:28], 1.0
	v_fma_f64 v[54:55], -v[29:30], v[50:51], 1.0
	v_fma_f64 v[50:51], v[50:51], v[54:55], v[50:51]
	v_mul_f64 v[54:55], v[52:53], v[50:51]
	v_fma_f64 v[29:30], -v[29:30], v[54:55], v[52:53]
	v_div_fmas_f64 v[23:24], v[29:30], v[50:51], v[54:55]
	v_div_fixup_f64 v[23:24], v[23:24], v[27:28], 1.0
	v_mul_f64 v[4:5], v[23:24], v[4:5]
	v_mul_f64 v[6:7], v[23:24], v[6:7]
	v_fma_f64 v[15:16], v[4:5], v[4:5], v[15:16]
	v_fma_f64 v[13:14], v[6:7], v[4:5], v[13:14]
	global_store_dwordx4 v[21:22], v[4:7], off
	v_fma_f64 v[15:16], v[6:7], v[6:7], v[15:16]
	v_fma_f64 v[13:14], v[4:5], -v[6:7], v[13:14]
	s_cbranch_scc1 .LBB58_8
.LBB58_19:                              ;   Parent Loop BB58_4 Depth=1
                                        ;     Parent Loop BB58_10 Depth=2
                                        ; =>    This Loop Header: Depth=3
                                        ;         Child Loop BB58_21 Depth 4
                                        ;         Child Loop BB58_28 Depth 4
                                        ;           Child Loop BB58_30 Depth 5
                                        ;           Child Loop BB58_36 Depth 5
	v_mul_lo_u32 v4, v44, s53
	s_mul_i32 s55, s54, s52
	s_add_i32 s12, s55, s54
	v_mov_b32_e32 v6, s29
	v_add_u32_e32 v4, s12, v4
	v_ashrrev_i32_e32 v5, 31, v4
	v_lshlrev_b64 v[4:5], 4, v[4:5]
	v_add_co_u32_e32 v4, vcc, s28, v4
	v_addc_co_u32_e32 v5, vcc, v6, v5, vcc
	global_load_dwordx4 v[4:7], v[4:5], off
	s_waitcnt vmcnt(0)
	v_cmp_neq_f64_e32 vcc, 0, v[4:5]
	v_cmp_neq_f64_e64 s[12:13], 0, v[6:7]
	s_or_b64 vcc, vcc, s[12:13]
	v_cndmask_b32_e32 v18, v34, v5, vcc
	s_nor_b64 s[46:47], vcc, s[0:1]
	v_cndmask_b32_e32 v17, 0, v4, vcc
	v_cndmask_b32_e32 v20, 0, v7, vcc
	;; [unrolled: 1-line block ×3, first 2 shown]
	s_and_saveexec_b64 s[12:13], s[46:47]
	s_cbranch_execz .LBB58_25
; %bb.20:                               ;   in Loop: Header=BB58_19 Depth=3
	s_mov_b64 s[46:47], exec
	s_brev_b32 s48, -2
.LBB58_21:                              ;   Parent Loop BB58_4 Depth=1
                                        ;     Parent Loop BB58_10 Depth=2
                                        ;       Parent Loop BB58_19 Depth=3
                                        ; =>      This Inner Loop Header: Depth=4
	s_ff1_i32_b64 s49, s[46:47]
	v_readlane_b32 s56, v2, s49
	s_lshl_b64 s[50:51], 1, s49
	s_min_i32 s48, s48, s56
	s_andn2_b64 s[46:47], s[46:47], s[50:51]
	s_cmp_lg_u64 s[46:47], 0
	s_cbranch_scc1 .LBB58_21
; %bb.22:                               ;   in Loop: Header=BB58_19 Depth=3
	v_mbcnt_lo_u32_b32 v4, exec_lo, 0
	v_mbcnt_hi_u32_b32 v4, exec_hi, v4
	v_cmp_eq_u32_e32 vcc, 0, v4
	s_and_saveexec_b64 s[46:47], vcc
	s_xor_b64 s[46:47], exec, s[46:47]
	s_cbranch_execz .LBB58_24
; %bb.23:                               ;   in Loop: Header=BB58_19 Depth=3
	v_mov_b32_e32 v4, s48
	global_atomic_smin v3, v4, s[22:23]
.LBB58_24:                              ;   in Loop: Header=BB58_19 Depth=3
	s_or_b64 exec, exec, s[46:47]
	v_mov_b32_e32 v17, 0
	v_mov_b32_e32 v19, 0
	v_mov_b32_e32 v18, 0x3ff00000
	v_mov_b32_e32 v20, 0
.LBB58_25:                              ;   in Loop: Header=BB58_19 Depth=3
	s_or_b64 exec, exec, s[12:13]
	v_add_u32_e32 v4, s54, v49
	v_add_u32_e32 v5, s55, v47
	v_cndmask_b32_e64 v4, v5, v4, s[2:3]
	v_ashrrev_i32_e32 v5, 31, v4
	v_lshlrev_b64 v[4:5], 4, v[4:5]
	v_mov_b32_e32 v6, s29
	v_add_co_u32_e32 v21, vcc, s28, v4
	v_addc_co_u32_e32 v22, vcc, v6, v5, vcc
	global_load_dwordx4 v[4:7], v[21:22], off
	v_mov_b32_e32 v23, 0
	v_mov_b32_e32 v25, 0
	;; [unrolled: 1-line block ×4, first 2 shown]
	s_and_saveexec_b64 s[12:13], s[10:11]
	s_cbranch_execz .LBB58_18
; %bb.26:                               ;   in Loop: Header=BB58_19 Depth=3
	global_load_dword v50, v[11:12], off
	v_mov_b32_e32 v23, 0
	v_mov_b32_e32 v25, 0
	;; [unrolled: 1-line block ×3, first 2 shown]
	s_mov_b64 s[46:47], 0
	v_mov_b32_e32 v51, v48
	v_mov_b32_e32 v26, 0
	;; [unrolled: 1-line block ×3, first 2 shown]
	s_branch .LBB58_28
.LBB58_27:                              ;   in Loop: Header=BB58_28 Depth=4
	s_or_b64 exec, exec, s[48:49]
	v_add_u32_e32 v28, 1, v27
	v_cmp_ge_i32_e32 vcc, v27, v44
	v_add_u32_e32 v51, s53, v51
	s_or_b64 s[46:47], vcc, s[46:47]
	v_mov_b32_e32 v27, v28
	s_andn2_b64 exec, exec, s[46:47]
	s_cbranch_execz .LBB58_17
.LBB58_28:                              ;   Parent Loop BB58_4 Depth=1
                                        ;     Parent Loop BB58_10 Depth=2
                                        ;       Parent Loop BB58_19 Depth=3
                                        ; =>      This Loop Header: Depth=4
                                        ;           Child Loop BB58_30 Depth 5
                                        ;           Child Loop BB58_36 Depth 5
	v_ashrrev_i32_e32 v28, 31, v27
	v_lshlrev_b64 v[28:29], 2, v[27:28]
	v_mov_b32_e32 v30, s27
	v_add_co_u32_e32 v28, vcc, s26, v28
	v_addc_co_u32_e32 v29, vcc, v30, v29, vcc
	global_load_dword v30, v[28:29], off
	s_waitcnt vmcnt(1)
	v_mov_b32_e32 v29, v50
	v_mov_b32_e32 v28, v10
	s_and_saveexec_b64 s[48:49], s[8:9]
	s_cbranch_execz .LBB58_32
; %bb.29:                               ;   in Loop: Header=BB58_28 Depth=4
	s_mov_b64 s[50:51], 0
	v_mov_b32_e32 v29, v50
	v_mov_b32_e32 v28, v10
	;; [unrolled: 1-line block ×4, first 2 shown]
.LBB58_30:                              ;   Parent Loop BB58_4 Depth=1
                                        ;     Parent Loop BB58_10 Depth=2
                                        ;       Parent Loop BB58_19 Depth=3
                                        ;         Parent Loop BB58_28 Depth=4
                                        ; =>        This Inner Loop Header: Depth=5
	v_add_u32_e32 v54, 1, v28
	s_waitcnt vmcnt(0)
	v_cmp_lt_i32_e32 vcc, v29, v30
	v_cndmask_b32_e32 v53, v28, v53, vcc
	v_cndmask_b32_e32 v52, v52, v54, vcc
	v_add_u32_e32 v28, v53, v52
	v_ashrrev_i32_e32 v28, 1, v28
	v_ashrrev_i32_e32 v29, 31, v28
	v_lshlrev_b64 v[54:55], 2, v[28:29]
	v_mov_b32_e32 v29, s27
	v_add_co_u32_e32 v54, vcc, s26, v54
	v_addc_co_u32_e32 v55, vcc, v29, v55, vcc
	global_load_dword v29, v[54:55], off
	v_cmp_ge_i32_e32 vcc, v52, v53
	s_or_b64 s[50:51], vcc, s[50:51]
	s_andn2_b64 exec, exec, s[50:51]
	s_cbranch_execnz .LBB58_30
; %bb.31:                               ;   in Loop: Header=BB58_28 Depth=4
	s_or_b64 exec, exec, s[50:51]
.LBB58_32:                              ;   in Loop: Header=BB58_28 Depth=4
	s_or_b64 exec, exec, s[48:49]
	s_waitcnt vmcnt(0)
	v_cmp_eq_u32_e32 vcc, v29, v30
	s_and_saveexec_b64 s[48:49], vcc
	s_cbranch_execz .LBB58_27
; %bb.33:                               ;   in Loop: Header=BB58_28 Depth=4
	v_mul_lo_u32 v29, v27, s53
	v_mul_lo_u32 v28, v28, s53
	v_subrev_u32_e32 v30, s33, v30
	v_mul_lo_u32 v52, v30, s52
	v_add_u32_e32 v53, s55, v29
	v_add_u32_e32 v54, v28, v43
	;; [unrolled: 1-line block ×3, first 2 shown]
	s_mov_b32 s56, 0
	v_mov_b32_e32 v56, v51
	s_branch .LBB58_36
.LBB58_34:                              ;   in Loop: Header=BB58_36 Depth=5
	v_ashrrev_i32_e32 v30, 31, v29
	v_lshlrev_b64 v[29:30], 4, v[29:30]
	v_mov_b32_e32 v58, s29
	v_add_co_u32_e32 v57, vcc, s28, v29
	v_ashrrev_i32_e32 v29, 31, v28
	v_lshlrev_b64 v[28:29], 4, v[28:29]
	v_addc_co_u32_e32 v58, vcc, v58, v30, vcc
	v_mov_b32_e32 v30, s29
	v_add_co_u32_e32 v28, vcc, s28, v28
	v_addc_co_u32_e32 v29, vcc, v30, v29, vcc
	global_load_dwordx4 v[57:60], v[57:58], off
	s_nop 0
	global_load_dwordx4 v[61:64], v[28:29], off
	s_waitcnt vmcnt(0)
	v_fma_f64 v[25:26], v[57:58], v[61:62], v[25:26]
	v_fma_f64 v[23:24], v[59:60], v[61:62], v[23:24]
	;; [unrolled: 1-line block ×3, first 2 shown]
	v_fma_f64 v[23:24], v[57:58], -v[63:64], v[23:24]
.LBB58_35:                              ;   in Loop: Header=BB58_36 Depth=5
	s_or_b64 exec, exec, s[50:51]
	s_add_i32 s56, s56, 1
	v_add_u32_e32 v55, s52, v55
	s_cmp_lg_u32 s52, s56
	v_add_u32_e32 v56, s52, v56
	s_cbranch_scc0 .LBB58_27
.LBB58_36:                              ;   Parent Loop BB58_4 Depth=1
                                        ;     Parent Loop BB58_10 Depth=2
                                        ;       Parent Loop BB58_19 Depth=3
                                        ;         Parent Loop BB58_28 Depth=4
                                        ; =>        This Inner Loop Header: Depth=5
	v_add_u32_e32 v28, s56, v52
	v_add_u32_e32 v29, s54, v46
	v_cmp_lt_i32_e32 vcc, v28, v29
	s_and_saveexec_b64 s[50:51], vcc
	s_cbranch_execz .LBB58_35
; %bb.37:                               ;   in Loop: Header=BB58_36 Depth=5
	s_andn2_b64 vcc, exec, s[2:3]
	v_mov_b32_e32 v28, v55
	v_mov_b32_e32 v29, v56
	s_cbranch_vccnz .LBB58_34
; %bb.38:                               ;   in Loop: Header=BB58_36 Depth=5
	v_add_u32_e32 v29, s56, v53
	v_add_u32_e32 v28, s56, v54
	s_branch .LBB58_34
.LBB58_39:                              ;   in Loop: Header=BB58_4 Depth=1
	s_or_b64 exec, exec, s[40:41]
.LBB58_40:                              ;   in Loop: Header=BB58_4 Depth=1
	s_or_b64 exec, exec, s[38:39]
	v_add_u32_e32 v28, v43, v38
	s_mov_b32 s42, 0
	v_mov_b32_e32 v29, v41
	s_branch .LBB58_43
.LBB58_41:                              ;   in Loop: Header=BB58_43 Depth=2
	v_mul_f64 v[25:26], v[1:2], v[1:2]
	s_waitcnt vmcnt(0)
	v_add_f64 v[6:7], v[6:7], -v[23:24]
	v_add_f64 v[4:5], v[4:5], -v[21:22]
	v_fma_f64 v[25:26], v[17:18], v[17:18], v[25:26]
	v_mul_f64 v[21:22], v[1:2], v[6:7]
	v_mul_f64 v[1:2], v[1:2], -v[4:5]
	v_div_scale_f64 v[44:45], s[12:13], v[25:26], v[25:26], 1.0
	v_fma_f64 v[4:5], v[4:5], v[17:18], v[21:22]
	v_fma_f64 v[1:2], v[6:7], v[17:18], v[1:2]
	v_rcp_f64_e32 v[46:47], v[44:45]
	v_fma_f64 v[48:49], -v[44:45], v[46:47], 1.0
	v_fma_f64 v[46:47], v[46:47], v[48:49], v[46:47]
	v_div_scale_f64 v[48:49], vcc, 1.0, v[25:26], 1.0
	v_fma_f64 v[50:51], -v[44:45], v[46:47], 1.0
	v_fma_f64 v[46:47], v[46:47], v[50:51], v[46:47]
	v_mul_f64 v[50:51], v[48:49], v[46:47]
	v_fma_f64 v[44:45], -v[44:45], v[50:51], v[48:49]
	v_div_fmas_f64 v[23:24], v[44:45], v[46:47], v[50:51]
	v_div_fixup_f64 v[21:22], v[23:24], v[25:26], 1.0
	v_mul_f64 v[4:5], v[21:22], v[4:5]
	v_mul_f64 v[6:7], v[21:22], v[1:2]
	v_fma_f64 v[1:2], v[4:5], v[4:5], v[15:16]
	v_fma_f64 v[13:14], v[6:7], v[4:5], v[13:14]
	global_store_dwordx4 v[19:20], v[4:7], off
	v_fma_f64 v[15:16], v[6:7], v[6:7], v[1:2]
	v_fma_f64 v[13:14], v[4:5], -v[6:7], v[13:14]
.LBB58_42:                              ;   in Loop: Header=BB58_43 Depth=2
	s_or_b64 exec, exec, s[10:11]
	s_add_i32 s42, s42, 1
	s_cmp_eq_u32 s42, s52
	v_add_u32_e32 v29, 1, v29
	s_waitcnt vmcnt(0)
	buffer_wbinvl1_vol
	s_cbranch_scc1 .LBB58_3
.LBB58_43:                              ;   Parent Loop BB58_4 Depth=1
                                        ; =>  This Loop Header: Depth=2
                                        ;       Child Loop BB58_53 Depth 3
                                        ;       Child Loop BB58_61 Depth 3
                                        ;         Child Loop BB58_63 Depth 4
                                        ;       Child Loop BB58_71 Depth 3
	s_mul_i32 s43, s42, s52
	v_add_u32_e32 v30, s43, v38
	v_add_u32_e32 v1, s42, v30
	v_ashrrev_i32_e32 v2, 31, v1
	v_lshlrev_b64 v[5:6], 4, v[1:2]
	v_cmp_eq_u32_e32 vcc, s42, v37
	s_and_saveexec_b64 s[10:11], vcc
	s_cbranch_execz .LBB58_51
; %bb.44:                               ;   in Loop: Header=BB58_43 Depth=2
	v_mov_b32_e32 v1, s29
	v_add_co_u32_e32 v17, vcc, s28, v5
	v_addc_co_u32_e32 v18, vcc, v1, v6, vcc
	global_load_dwordx4 v[19:22], v[17:18], off
	s_waitcnt vmcnt(0)
	v_add_f64 v[1:2], v[19:20], -v[15:16]
	v_add_f64 v[23:24], v[21:22], -v[13:14]
                                        ; implicit-def: $vgpr21_vgpr22
	v_cmp_gt_f64_e32 vcc, 0, v[1:2]
	v_xor_b32_e32 v4, 0x80000000, v2
	v_xor_b32_e32 v7, 0x80000000, v24
	v_mov_b32_e32 v19, v23
	v_cndmask_b32_e32 v2, v2, v4, vcc
	v_cmp_gt_f64_e32 vcc, 0, v[23:24]
	v_cndmask_b32_e32 v20, v24, v7, vcc
	v_cmp_ngt_f64_e32 vcc, v[1:2], v[19:20]
	s_and_saveexec_b64 s[12:13], vcc
	s_xor_b64 s[12:13], exec, s[12:13]
	s_cbranch_execz .LBB58_48
; %bb.45:                               ;   in Loop: Header=BB58_43 Depth=2
	v_cmp_neq_f64_e32 vcc, 0, v[23:24]
	v_mov_b32_e32 v21, 0
	v_mov_b32_e32 v22, 0
	s_and_saveexec_b64 s[38:39], vcc
	s_cbranch_execz .LBB58_47
; %bb.46:                               ;   in Loop: Header=BB58_43 Depth=2
	v_div_scale_f64 v[21:22], s[40:41], v[19:20], v[19:20], v[1:2]
	v_rcp_f64_e32 v[23:24], v[21:22]
	v_fma_f64 v[25:26], -v[21:22], v[23:24], 1.0
	v_fma_f64 v[23:24], v[23:24], v[25:26], v[23:24]
	v_div_scale_f64 v[25:26], vcc, v[1:2], v[19:20], v[1:2]
	v_fma_f64 v[44:45], -v[21:22], v[23:24], 1.0
	v_fma_f64 v[23:24], v[23:24], v[44:45], v[23:24]
	v_mul_f64 v[44:45], v[25:26], v[23:24]
	v_fma_f64 v[21:22], -v[21:22], v[44:45], v[25:26]
	v_div_fmas_f64 v[21:22], v[21:22], v[23:24], v[44:45]
	v_div_fixup_f64 v[1:2], v[21:22], v[19:20], v[1:2]
	v_fma_f64 v[1:2], v[1:2], v[1:2], 1.0
	v_cmp_gt_f64_e32 vcc, s[34:35], v[1:2]
	v_cndmask_b32_e32 v4, 0, v35, vcc
	v_ldexp_f64 v[1:2], v[1:2], v4
	v_cndmask_b32_e32 v4, 0, v36, vcc
	v_rsq_f64_e32 v[21:22], v[1:2]
	v_cmp_class_f64_e32 vcc, v[1:2], v33
	v_mul_f64 v[23:24], v[1:2], v[21:22]
	v_mul_f64 v[21:22], v[21:22], 0.5
	v_fma_f64 v[25:26], -v[21:22], v[23:24], 0.5
	v_fma_f64 v[23:24], v[23:24], v[25:26], v[23:24]
	v_fma_f64 v[21:22], v[21:22], v[25:26], v[21:22]
	v_fma_f64 v[25:26], -v[23:24], v[23:24], v[1:2]
	v_fma_f64 v[23:24], v[25:26], v[21:22], v[23:24]
	v_fma_f64 v[25:26], -v[23:24], v[23:24], v[1:2]
	v_fma_f64 v[21:22], v[25:26], v[21:22], v[23:24]
	v_ldexp_f64 v[21:22], v[21:22], v4
	v_cndmask_b32_e32 v2, v22, v2, vcc
	v_cndmask_b32_e32 v1, v21, v1, vcc
	v_mul_f64 v[21:22], v[19:20], v[1:2]
.LBB58_47:                              ;   in Loop: Header=BB58_43 Depth=2
	s_or_b64 exec, exec, s[38:39]
                                        ; implicit-def: $vgpr1_vgpr2
                                        ; implicit-def: $vgpr19_vgpr20
.LBB58_48:                              ;   in Loop: Header=BB58_43 Depth=2
	s_andn2_saveexec_b64 s[12:13], s[12:13]
	s_cbranch_execz .LBB58_50
; %bb.49:                               ;   in Loop: Header=BB58_43 Depth=2
	v_div_scale_f64 v[21:22], s[38:39], v[1:2], v[1:2], v[19:20]
	v_rcp_f64_e32 v[23:24], v[21:22]
	v_fma_f64 v[25:26], -v[21:22], v[23:24], 1.0
	v_fma_f64 v[23:24], v[23:24], v[25:26], v[23:24]
	v_div_scale_f64 v[25:26], vcc, v[19:20], v[1:2], v[19:20]
	v_fma_f64 v[44:45], -v[21:22], v[23:24], 1.0
	v_fma_f64 v[23:24], v[23:24], v[44:45], v[23:24]
	v_mul_f64 v[44:45], v[25:26], v[23:24]
	v_fma_f64 v[21:22], -v[21:22], v[44:45], v[25:26]
	v_div_fmas_f64 v[21:22], v[21:22], v[23:24], v[44:45]
	v_div_fixup_f64 v[19:20], v[21:22], v[1:2], v[19:20]
	v_fma_f64 v[19:20], v[19:20], v[19:20], 1.0
	v_cmp_gt_f64_e32 vcc, s[34:35], v[19:20]
	v_cndmask_b32_e32 v4, 0, v35, vcc
	v_ldexp_f64 v[19:20], v[19:20], v4
	v_cndmask_b32_e32 v4, 0, v36, vcc
	v_rsq_f64_e32 v[21:22], v[19:20]
	v_cmp_class_f64_e32 vcc, v[19:20], v33
	v_mul_f64 v[23:24], v[19:20], v[21:22]
	v_mul_f64 v[21:22], v[21:22], 0.5
	v_fma_f64 v[25:26], -v[21:22], v[23:24], 0.5
	v_fma_f64 v[23:24], v[23:24], v[25:26], v[23:24]
	v_fma_f64 v[21:22], v[21:22], v[25:26], v[21:22]
	v_fma_f64 v[25:26], -v[23:24], v[23:24], v[19:20]
	v_fma_f64 v[23:24], v[25:26], v[21:22], v[23:24]
	v_fma_f64 v[25:26], -v[23:24], v[23:24], v[19:20]
	v_fma_f64 v[21:22], v[25:26], v[21:22], v[23:24]
	v_ldexp_f64 v[21:22], v[21:22], v4
	v_cndmask_b32_e32 v20, v22, v20, vcc
	v_cndmask_b32_e32 v19, v21, v19, vcc
	v_mul_f64 v[21:22], v[1:2], v[19:20]
.LBB58_50:                              ;   in Loop: Header=BB58_43 Depth=2
	s_or_b64 exec, exec, s[12:13]
	v_cmp_gt_f64_e32 vcc, s[34:35], v[21:22]
	v_cndmask_b32_e32 v1, 0, v35, vcc
	v_ldexp_f64 v[1:2], v[21:22], v1
	v_cndmask_b32_e32 v4, 0, v36, vcc
	v_rsq_f64_e32 v[19:20], v[1:2]
	v_cmp_class_f64_e32 vcc, v[1:2], v33
	v_mul_f64 v[21:22], v[1:2], v[19:20]
	v_mul_f64 v[19:20], v[19:20], 0.5
	v_fma_f64 v[23:24], -v[19:20], v[21:22], 0.5
	v_fma_f64 v[21:22], v[21:22], v[23:24], v[21:22]
	v_fma_f64 v[19:20], v[19:20], v[23:24], v[19:20]
	v_fma_f64 v[23:24], -v[21:22], v[21:22], v[1:2]
	v_fma_f64 v[21:22], v[23:24], v[19:20], v[21:22]
	v_fma_f64 v[23:24], -v[21:22], v[21:22], v[1:2]
	v_fma_f64 v[19:20], v[23:24], v[19:20], v[21:22]
	v_ldexp_f64 v[19:20], v[19:20], v4
	v_mov_b32_e32 v4, v3
	v_cndmask_b32_e32 v2, v20, v2, vcc
	v_cndmask_b32_e32 v1, v19, v1, vcc
	global_store_dwordx4 v[17:18], v[1:4], off
.LBB58_51:                              ;   in Loop: Header=BB58_43 Depth=2
	s_or_b64 exec, exec, s[10:11]
	v_mov_b32_e32 v2, s29
	v_add_co_u32_e32 v1, vcc, s28, v5
	v_addc_co_u32_e32 v2, vcc, v2, v6, vcc
	s_waitcnt vmcnt(0)
	buffer_wbinvl1_vol
	global_load_dwordx4 v[4:7], v[1:2], off
	s_waitcnt vmcnt(0)
	v_cmp_neq_f64_e32 vcc, 0, v[4:5]
	v_cmp_neq_f64_e64 s[10:11], 0, v[6:7]
	s_or_b64 vcc, vcc, s[10:11]
	v_cndmask_b32_e32 v2, 0, v7, vcc
	s_nor_b64 s[12:13], vcc, s[0:1]
	v_cndmask_b32_e32 v1, 0, v6, vcc
	v_cndmask_b32_e32 v18, v34, v5, vcc
	;; [unrolled: 1-line block ×3, first 2 shown]
	s_and_saveexec_b64 s[10:11], s[12:13]
	s_cbranch_execz .LBB58_57
; %bb.52:                               ;   in Loop: Header=BB58_43 Depth=2
	s_mov_b64 s[12:13], exec
	s_brev_b32 s38, -2
.LBB58_53:                              ;   Parent Loop BB58_4 Depth=1
                                        ;     Parent Loop BB58_43 Depth=2
                                        ; =>    This Inner Loop Header: Depth=3
	s_ff1_i32_b64 s39, s[12:13]
	v_readlane_b32 s44, v32, s39
	s_lshl_b64 s[40:41], 1, s39
	s_min_i32 s38, s38, s44
	s_andn2_b64 s[12:13], s[12:13], s[40:41]
	s_cmp_lg_u64 s[12:13], 0
	s_cbranch_scc1 .LBB58_53
; %bb.54:                               ;   in Loop: Header=BB58_43 Depth=2
	v_mbcnt_lo_u32_b32 v1, exec_lo, 0
	v_mbcnt_hi_u32_b32 v1, exec_hi, v1
	v_cmp_eq_u32_e32 vcc, 0, v1
	s_and_saveexec_b64 s[12:13], vcc
	s_xor_b64 s[12:13], exec, s[12:13]
	s_cbranch_execz .LBB58_56
; %bb.55:                               ;   in Loop: Header=BB58_43 Depth=2
	v_mov_b32_e32 v1, s38
	global_atomic_smin v3, v1, s[22:23]
.LBB58_56:                              ;   in Loop: Header=BB58_43 Depth=2
	s_or_b64 exec, exec, s[12:13]
	v_mov_b32_e32 v1, 0
	v_mov_b32_e32 v17, 0
	;; [unrolled: 1-line block ×4, first 2 shown]
.LBB58_57:                              ;   in Loop: Header=BB58_43 Depth=2
	s_or_b64 exec, exec, s[10:11]
	v_cmp_lt_i32_e32 vcc, s42, v37
	s_and_saveexec_b64 s[10:11], vcc
	s_cbranch_execz .LBB58_42
; %bb.58:                               ;   in Loop: Header=BB58_43 Depth=2
	v_add_u32_e32 v4, s42, v28
	v_add_u32_e32 v5, v30, v37
	v_cndmask_b32_e64 v4, v5, v4, s[2:3]
	v_ashrrev_i32_e32 v5, 31, v4
	v_lshlrev_b64 v[4:5], 4, v[4:5]
	v_mov_b32_e32 v6, s29
	v_add_co_u32_e32 v19, vcc, s28, v4
	v_addc_co_u32_e32 v20, vcc, v6, v5, vcc
	global_load_dwordx4 v[4:7], v[19:20], off
	v_mov_b32_e32 v21, 0
	v_mov_b32_e32 v23, 0
	;; [unrolled: 1-line block ×4, first 2 shown]
	s_and_saveexec_b64 s[12:13], s[4:5]
	s_cbranch_execz .LBB58_68
; %bb.59:                               ;   in Loop: Header=BB58_43 Depth=2
	v_mov_b32_e32 v21, 0
	v_mov_b32_e32 v23, 0
	;; [unrolled: 1-line block ×3, first 2 shown]
	s_mov_b64 s[38:39], 0
	v_mov_b32_e32 v44, v29
	v_mov_b32_e32 v45, v42
	;; [unrolled: 1-line block ×4, first 2 shown]
	s_branch .LBB58_61
.LBB58_60:                              ;   in Loop: Header=BB58_61 Depth=3
	v_add_u32_e32 v46, 1, v46
	v_cmp_ge_i32_e32 vcc, v46, v31
	v_add_u32_e32 v45, s53, v45
	s_or_b64 s[38:39], vcc, s[38:39]
	v_add_u32_e32 v44, s53, v44
	s_andn2_b64 exec, exec, s[38:39]
	s_cbranch_execz .LBB58_67
.LBB58_61:                              ;   Parent Loop BB58_4 Depth=1
                                        ;     Parent Loop BB58_43 Depth=2
                                        ; =>    This Loop Header: Depth=3
                                        ;         Child Loop BB58_63 Depth 4
	v_mul_lo_u32 v25, v46, s53
	s_mov_b32 s44, 0
	s_mov_b32 s45, s52
	;; [unrolled: 1-line block ×3, first 2 shown]
	v_add_u32_e32 v47, s43, v25
	v_add_u32_e32 v48, v25, v43
	s_branch .LBB58_63
.LBB58_62:                              ;   in Loop: Header=BB58_63 Depth=4
	v_ashrrev_i32_e32 v27, 31, v26
	v_lshlrev_b64 v[26:27], 4, v[26:27]
	v_mov_b32_e32 v49, s29
	v_add_co_u32_e32 v57, vcc, s28, v26
	v_ashrrev_i32_e32 v26, 31, v25
	v_lshlrev_b64 v[25:26], 4, v[25:26]
	v_addc_co_u32_e32 v58, vcc, v49, v27, vcc
	v_add_co_u32_e32 v25, vcc, s28, v25
	v_addc_co_u32_e32 v26, vcc, v49, v26, vcc
	global_load_dwordx4 v[49:52], v[57:58], off
	global_load_dwordx4 v[53:56], v[25:26], off
	s_add_i32 s46, s46, 1
	s_add_i32 s44, s44, s52
	s_add_i32 s45, s45, -1
	s_cmp_eq_u32 s45, 0
	s_waitcnt vmcnt(0)
	v_fma_f64 v[21:22], v[53:54], v[49:50], v[21:22]
	v_fma_f64 v[23:24], v[55:56], v[49:50], v[23:24]
	;; [unrolled: 1-line block ×3, first 2 shown]
	v_fma_f64 v[23:24], v[53:54], -v[51:52], v[23:24]
	s_cbranch_scc1 .LBB58_60
.LBB58_63:                              ;   Parent Loop BB58_4 Depth=1
                                        ;     Parent Loop BB58_43 Depth=2
                                        ;       Parent Loop BB58_61 Depth=3
                                        ; =>      This Inner Loop Header: Depth=4
	s_mov_b64 s[40:41], -1
	s_and_b64 vcc, exec, s[36:37]
                                        ; implicit-def: $vgpr26
                                        ; implicit-def: $vgpr25
	s_cbranch_vccz .LBB58_65
; %bb.64:                               ;   in Loop: Header=BB58_63 Depth=4
	v_add_u32_e32 v25, s44, v44
	v_add_u32_e32 v26, s44, v45
	s_mov_b64 s[40:41], 0
.LBB58_65:                              ;   in Loop: Header=BB58_63 Depth=4
	s_andn2_b64 vcc, exec, s[40:41]
	s_cbranch_vccnz .LBB58_62
; %bb.66:                               ;   in Loop: Header=BB58_63 Depth=4
	v_add_u32_e32 v25, s46, v47
	v_add_u32_e32 v26, s46, v48
	s_branch .LBB58_62
.LBB58_67:                              ;   in Loop: Header=BB58_43 Depth=2
	s_or_b64 exec, exec, s[38:39]
.LBB58_68:                              ;   in Loop: Header=BB58_43 Depth=2
	s_or_b64 exec, exec, s[12:13]
	s_cmp_eq_u32 s42, 0
	s_cbranch_scc1 .LBB58_41
; %bb.69:                               ;   in Loop: Header=BB58_43 Depth=2
	s_mov_b32 s38, 0
	v_mov_b32_e32 v44, v38
	s_branch .LBB58_71
.LBB58_70:                              ;   in Loop: Header=BB58_71 Depth=3
	v_ashrrev_i32_e32 v27, 31, v26
	v_lshlrev_b64 v[26:27], 4, v[26:27]
	v_mov_b32_e32 v45, s29
	v_add_co_u32_e32 v53, vcc, s28, v26
	v_ashrrev_i32_e32 v26, 31, v25
	v_lshlrev_b64 v[25:26], 4, v[25:26]
	v_addc_co_u32_e32 v54, vcc, v45, v27, vcc
	v_add_co_u32_e32 v25, vcc, s28, v25
	v_addc_co_u32_e32 v26, vcc, v45, v26, vcc
	global_load_dwordx4 v[45:48], v[53:54], off
	global_load_dwordx4 v[49:52], v[25:26], off
	s_add_i32 s38, s38, 1
	s_cmp_eq_u32 s42, s38
	v_add_u32_e32 v44, s52, v44
	s_waitcnt vmcnt(0)
	v_fma_f64 v[21:22], v[49:50], v[45:46], v[21:22]
	v_fma_f64 v[23:24], v[51:52], v[45:46], v[23:24]
	;; [unrolled: 1-line block ×3, first 2 shown]
	v_fma_f64 v[23:24], v[49:50], -v[47:48], v[23:24]
	s_cbranch_scc1 .LBB58_41
.LBB58_71:                              ;   Parent Loop BB58_4 Depth=1
                                        ;     Parent Loop BB58_43 Depth=2
                                        ; =>    This Inner Loop Header: Depth=3
	s_mov_b64 s[12:13], -1
	s_and_b64 vcc, exec, s[36:37]
                                        ; implicit-def: $vgpr26
                                        ; implicit-def: $vgpr25
	s_cbranch_vccz .LBB58_73
; %bb.72:                               ;   in Loop: Header=BB58_71 Depth=3
	v_add_u32_e32 v25, s42, v44
	v_add_u32_e32 v26, v37, v44
	s_mov_b64 s[12:13], 0
.LBB58_73:                              ;   in Loop: Header=BB58_71 Depth=3
	s_andn2_b64 vcc, exec, s[12:13]
	s_cbranch_vccnz .LBB58_70
; %bb.74:                               ;   in Loop: Header=BB58_71 Depth=3
	v_add_u32_e32 v25, s38, v30
	v_add_u32_e32 v26, s38, v28
	s_branch .LBB58_70
.LBB58_75:
	s_or_b64 exec, exec, s[20:21]
	v_cmp_eq_u32_e32 vcc, 63, v0
	s_and_saveexec_b64 s[0:1], vcc
	s_cbranch_execz .LBB58_77
; %bb.76:
	v_mov_b32_e32 v1, s19
	v_add_co_u32_e32 v0, vcc, s18, v8
	v_addc_co_u32_e32 v1, vcc, v1, v9, vcc
	v_mov_b32_e32 v2, 1
	global_store_dword v[0:1], v2, off
.LBB58_77:
	s_or_b64 exec, exec, s[0:1]
                                        ; implicit-def: $vgpr0
                                        ; implicit-def: $vgpr8_vgpr9
                                        ; implicit-def: $vgpr1_vgpr2
.LBB58_78:
	s_andn2_saveexec_b64 s[0:1], s[14:15]
	s_cbranch_execz .LBB58_85
; %bb.79:
	v_cmp_eq_u32_e32 vcc, 63, v0
	s_and_saveexec_b64 s[0:1], vcc
	s_cbranch_execz .LBB58_85
; %bb.80:
	s_mov_b64 s[0:1], exec
	v_add_u32_e32 v0, s33, v1
	s_brev_b32 s2, -2
.LBB58_81:                              ; =>This Inner Loop Header: Depth=1
	s_ff1_i32_b64 s3, s[0:1]
	v_readlane_b32 s6, v0, s3
	s_lshl_b64 s[4:5], 1, s3
	s_min_i32 s2, s2, s6
	s_andn2_b64 s[0:1], s[0:1], s[4:5]
	s_cmp_lg_u64 s[0:1], 0
	s_cbranch_scc1 .LBB58_81
; %bb.82:
	v_mbcnt_lo_u32_b32 v0, exec_lo, 0
	v_mbcnt_hi_u32_b32 v0, exec_hi, v0
	v_cmp_eq_u32_e32 vcc, 0, v0
	s_and_saveexec_b64 s[0:1], vcc
	s_xor_b64 s[0:1], exec, s[0:1]
	s_cbranch_execz .LBB58_84
; %bb.83:
	v_mov_b32_e32 v0, 0
	v_mov_b32_e32 v1, s2
	global_atomic_smin v0, v1, s[22:23]
.LBB58_84:
	s_or_b64 exec, exec, s[0:1]
	v_mov_b32_e32 v1, s19
	v_add_co_u32_e32 v0, vcc, s18, v8
	v_addc_co_u32_e32 v1, vcc, v1, v9, vcc
	v_mov_b32_e32 v2, 1
	s_waitcnt vmcnt(0)
	global_store_dword v[0:1], v2, off
.LBB58_85:
	s_endpgm
	.section	.rodata,"a",@progbits
	.p2align	6, 0x0
	.amdhsa_kernel _ZN9rocsparseL23bsric0_binsearch_kernelILj64ELj64ELb1E21rocsparse_complex_numIdEEEv20rocsparse_direction_iiPKiS5_PT2_S5_PiS5_S8_21rocsparse_index_base_
		.amdhsa_group_segment_fixed_size 0
		.amdhsa_private_segment_fixed_size 0
		.amdhsa_kernarg_size 76
		.amdhsa_user_sgpr_count 6
		.amdhsa_user_sgpr_private_segment_buffer 1
		.amdhsa_user_sgpr_dispatch_ptr 0
		.amdhsa_user_sgpr_queue_ptr 0
		.amdhsa_user_sgpr_kernarg_segment_ptr 1
		.amdhsa_user_sgpr_dispatch_id 0
		.amdhsa_user_sgpr_flat_scratch_init 0
		.amdhsa_user_sgpr_private_segment_size 0
		.amdhsa_uses_dynamic_stack 0
		.amdhsa_system_sgpr_private_segment_wavefront_offset 0
		.amdhsa_system_sgpr_workgroup_id_x 1
		.amdhsa_system_sgpr_workgroup_id_y 0
		.amdhsa_system_sgpr_workgroup_id_z 0
		.amdhsa_system_sgpr_workgroup_info 0
		.amdhsa_system_vgpr_workitem_id 0
		.amdhsa_next_free_vgpr 65
		.amdhsa_next_free_sgpr 57
		.amdhsa_reserve_vcc 1
		.amdhsa_reserve_flat_scratch 0
		.amdhsa_float_round_mode_32 0
		.amdhsa_float_round_mode_16_64 0
		.amdhsa_float_denorm_mode_32 3
		.amdhsa_float_denorm_mode_16_64 3
		.amdhsa_dx10_clamp 1
		.amdhsa_ieee_mode 1
		.amdhsa_fp16_overflow 0
		.amdhsa_exception_fp_ieee_invalid_op 0
		.amdhsa_exception_fp_denorm_src 0
		.amdhsa_exception_fp_ieee_div_zero 0
		.amdhsa_exception_fp_ieee_overflow 0
		.amdhsa_exception_fp_ieee_underflow 0
		.amdhsa_exception_fp_ieee_inexact 0
		.amdhsa_exception_int_div_zero 0
	.end_amdhsa_kernel
	.section	.text._ZN9rocsparseL23bsric0_binsearch_kernelILj64ELj64ELb1E21rocsparse_complex_numIdEEEv20rocsparse_direction_iiPKiS5_PT2_S5_PiS5_S8_21rocsparse_index_base_,"axG",@progbits,_ZN9rocsparseL23bsric0_binsearch_kernelILj64ELj64ELb1E21rocsparse_complex_numIdEEEv20rocsparse_direction_iiPKiS5_PT2_S5_PiS5_S8_21rocsparse_index_base_,comdat
.Lfunc_end58:
	.size	_ZN9rocsparseL23bsric0_binsearch_kernelILj64ELj64ELb1E21rocsparse_complex_numIdEEEv20rocsparse_direction_iiPKiS5_PT2_S5_PiS5_S8_21rocsparse_index_base_, .Lfunc_end58-_ZN9rocsparseL23bsric0_binsearch_kernelILj64ELj64ELb1E21rocsparse_complex_numIdEEEv20rocsparse_direction_iiPKiS5_PT2_S5_PiS5_S8_21rocsparse_index_base_
                                        ; -- End function
	.set _ZN9rocsparseL23bsric0_binsearch_kernelILj64ELj64ELb1E21rocsparse_complex_numIdEEEv20rocsparse_direction_iiPKiS5_PT2_S5_PiS5_S8_21rocsparse_index_base_.num_vgpr, 65
	.set _ZN9rocsparseL23bsric0_binsearch_kernelILj64ELj64ELb1E21rocsparse_complex_numIdEEEv20rocsparse_direction_iiPKiS5_PT2_S5_PiS5_S8_21rocsparse_index_base_.num_agpr, 0
	.set _ZN9rocsparseL23bsric0_binsearch_kernelILj64ELj64ELb1E21rocsparse_complex_numIdEEEv20rocsparse_direction_iiPKiS5_PT2_S5_PiS5_S8_21rocsparse_index_base_.numbered_sgpr, 57
	.set _ZN9rocsparseL23bsric0_binsearch_kernelILj64ELj64ELb1E21rocsparse_complex_numIdEEEv20rocsparse_direction_iiPKiS5_PT2_S5_PiS5_S8_21rocsparse_index_base_.num_named_barrier, 0
	.set _ZN9rocsparseL23bsric0_binsearch_kernelILj64ELj64ELb1E21rocsparse_complex_numIdEEEv20rocsparse_direction_iiPKiS5_PT2_S5_PiS5_S8_21rocsparse_index_base_.private_seg_size, 0
	.set _ZN9rocsparseL23bsric0_binsearch_kernelILj64ELj64ELb1E21rocsparse_complex_numIdEEEv20rocsparse_direction_iiPKiS5_PT2_S5_PiS5_S8_21rocsparse_index_base_.uses_vcc, 1
	.set _ZN9rocsparseL23bsric0_binsearch_kernelILj64ELj64ELb1E21rocsparse_complex_numIdEEEv20rocsparse_direction_iiPKiS5_PT2_S5_PiS5_S8_21rocsparse_index_base_.uses_flat_scratch, 0
	.set _ZN9rocsparseL23bsric0_binsearch_kernelILj64ELj64ELb1E21rocsparse_complex_numIdEEEv20rocsparse_direction_iiPKiS5_PT2_S5_PiS5_S8_21rocsparse_index_base_.has_dyn_sized_stack, 0
	.set _ZN9rocsparseL23bsric0_binsearch_kernelILj64ELj64ELb1E21rocsparse_complex_numIdEEEv20rocsparse_direction_iiPKiS5_PT2_S5_PiS5_S8_21rocsparse_index_base_.has_recursion, 0
	.set _ZN9rocsparseL23bsric0_binsearch_kernelILj64ELj64ELb1E21rocsparse_complex_numIdEEEv20rocsparse_direction_iiPKiS5_PT2_S5_PiS5_S8_21rocsparse_index_base_.has_indirect_call, 0
	.section	.AMDGPU.csdata,"",@progbits
; Kernel info:
; codeLenInByte = 3696
; TotalNumSgprs: 61
; NumVgprs: 65
; ScratchSize: 0
; MemoryBound: 0
; FloatMode: 240
; IeeeMode: 1
; LDSByteSize: 0 bytes/workgroup (compile time only)
; SGPRBlocks: 7
; VGPRBlocks: 16
; NumSGPRsForWavesPerEU: 61
; NumVGPRsForWavesPerEU: 65
; Occupancy: 3
; WaveLimiterHint : 1
; COMPUTE_PGM_RSRC2:SCRATCH_EN: 0
; COMPUTE_PGM_RSRC2:USER_SGPR: 6
; COMPUTE_PGM_RSRC2:TRAP_HANDLER: 0
; COMPUTE_PGM_RSRC2:TGID_X_EN: 1
; COMPUTE_PGM_RSRC2:TGID_Y_EN: 0
; COMPUTE_PGM_RSRC2:TGID_Z_EN: 0
; COMPUTE_PGM_RSRC2:TIDIG_COMP_CNT: 0
	.section	.text._ZN9rocsparseL26bsric0_2_8_unrolled_kernelILi1ELi32ELi1E21rocsparse_complex_numIdEEEv20rocsparse_direction_iiPKiS5_PT2_S5_PiS5_S8_21rocsparse_index_base_,"axG",@progbits,_ZN9rocsparseL26bsric0_2_8_unrolled_kernelILi1ELi32ELi1E21rocsparse_complex_numIdEEEv20rocsparse_direction_iiPKiS5_PT2_S5_PiS5_S8_21rocsparse_index_base_,comdat
	.globl	_ZN9rocsparseL26bsric0_2_8_unrolled_kernelILi1ELi32ELi1E21rocsparse_complex_numIdEEEv20rocsparse_direction_iiPKiS5_PT2_S5_PiS5_S8_21rocsparse_index_base_ ; -- Begin function _ZN9rocsparseL26bsric0_2_8_unrolled_kernelILi1ELi32ELi1E21rocsparse_complex_numIdEEEv20rocsparse_direction_iiPKiS5_PT2_S5_PiS5_S8_21rocsparse_index_base_
	.p2align	8
	.type	_ZN9rocsparseL26bsric0_2_8_unrolled_kernelILi1ELi32ELi1E21rocsparse_complex_numIdEEEv20rocsparse_direction_iiPKiS5_PT2_S5_PiS5_S8_21rocsparse_index_base_,@function
_ZN9rocsparseL26bsric0_2_8_unrolled_kernelILi1ELi32ELi1E21rocsparse_complex_numIdEEEv20rocsparse_direction_iiPKiS5_PT2_S5_PiS5_S8_21rocsparse_index_base_: ; @_ZN9rocsparseL26bsric0_2_8_unrolled_kernelILi1ELi32ELi1E21rocsparse_complex_numIdEEEv20rocsparse_direction_iiPKiS5_PT2_S5_PiS5_S8_21rocsparse_index_base_
; %bb.0:
	s_load_dwordx8 s[8:15], s[4:5], 0x28
	s_mov_b32 s7, 0
	s_lshl_b64 s[0:1], s[6:7], 2
	s_waitcnt lgkmcnt(0)
	s_add_u32 s0, s12, s0
	s_addc_u32 s1, s13, s1
	s_load_dword s6, s[0:1], 0x0
	s_waitcnt lgkmcnt(0)
	s_ashr_i32 s7, s6, 31
	s_lshl_b64 s[2:3], s[6:7], 2
	s_add_u32 s0, s8, s2
	s_addc_u32 s1, s9, s3
	s_load_dword s12, s[0:1], 0x0
	s_load_dword s7, s[4:5], 0x48
	s_waitcnt lgkmcnt(0)
	s_cmp_lg_u32 s12, -1
	s_cbranch_scc0 .LBB59_6
; %bb.1:
	s_load_dwordx4 s[16:19], s[4:5], 0x10
	s_waitcnt lgkmcnt(0)
	s_add_u32 s0, s16, s2
	s_addc_u32 s1, s17, s3
	s_load_dword s0, s[0:1], 0x0
	s_waitcnt lgkmcnt(0)
	s_sub_i32 s20, s0, s7
	s_cmp_gt_i32 s20, s12
	s_cbranch_scc1 .LBB59_4
; %bb.2:
	s_not_b32 s1, s7
	s_ashr_i32 s21, s20, 31
	s_add_i32 s13, s1, s0
	s_lshl_b64 s[0:1], s[20:21], 2
	s_add_u32 s0, s18, s0
	s_movk_i32 s22, 0x100
	s_addc_u32 s1, s19, s1
.LBB59_3:                               ; =>This Inner Loop Header: Depth=1
	s_load_dword s21, s[0:1], 0x0
	v_mov_b32_e32 v0, s22
	s_add_i32 s13, s13, 1
	s_add_i32 s22, s22, 4
	s_waitcnt lgkmcnt(0)
	s_sub_i32 s21, s21, s7
	s_add_u32 s0, s0, 4
	s_addc_u32 s1, s1, 0
	v_mov_b32_e32 v1, s21
	s_cmp_ge_i32 s13, s12
	ds_write_b32 v0, v1
	s_cbranch_scc0 .LBB59_3
.LBB59_4:
	s_load_dwordx2 s[4:5], s[4:5], 0x20
	v_mov_b32_e32 v0, 0
	s_mov_b32 s21, 0
	v_mov_b32_e32 v1, v0
	v_mov_b32_e32 v2, v0
	;; [unrolled: 1-line block ×3, first 2 shown]
	s_cmp_lt_i32 s20, s12
	ds_write_b128 v0, v[0:3] offset:480
	s_waitcnt lgkmcnt(0)
	s_cbranch_scc1 .LBB59_7
; %bb.5:
	s_cbranch_execz .LBB59_8
	s_branch .LBB59_40
.LBB59_6:
	s_mov_b64 s[0:1], 0
	s_cbranch_execnz .LBB59_54
	s_branch .LBB59_55
.LBB59_7:
                                        ; implicit-def: $sgpr21
.LBB59_8:
	s_mov_b32 s21, 0
	v_mov_b32_e32 v8, 0
	v_mov_b32_e32 v9, 0x1c0
	;; [unrolled: 1-line block ×7, first 2 shown]
	s_mov_b32 s22, s20
	s_branch .LBB59_10
.LBB59_9:                               ;   in Loop: Header=BB59_10 Depth=1
                                        ; implicit-def: $sgpr22
	s_cbranch_execnz .LBB59_40
.LBB59_10:                              ; =>This Loop Header: Depth=1
                                        ;     Child Loop BB59_13 Depth 2
                                        ;     Child Loop BB59_24 Depth 2
	;; [unrolled: 1-line block ×4, first 2 shown]
	s_ashr_i32 s23, s22, 31
	s_lshl_b64 s[0:1], s[22:23], 2
	s_add_u32 s0, s18, s0
	s_addc_u32 s1, s19, s1
	s_load_dword s13, s[0:1], 0x0
	s_waitcnt lgkmcnt(0)
	s_sub_i32 s28, s13, s7
	s_ashr_i32 s29, s28, 31
	s_lshl_b64 s[26:27], s[28:29], 2
	s_add_u32 s0, s8, s26
	s_addc_u32 s1, s9, s27
	s_load_dword s0, s[0:1], 0x0
	s_waitcnt lgkmcnt(0)
	s_cmp_eq_u32 s0, -1
	s_cbranch_scc1 .LBB59_9
; %bb.11:                               ;   in Loop: Header=BB59_10 Depth=1
	s_add_u32 s24, s16, s26
	s_addc_u32 s25, s17, s27
	s_load_dword s1, s[24:25], 0x0
	s_lshl_b64 s[24:25], s[22:23], 4
	s_mov_b32 s23, 0
	ds_read_b32 v4, v8 offset:256
	s_waitcnt lgkmcnt(0)
	s_sub_i32 s30, s1, s7
	s_add_u32 s24, s4, s24
	s_addc_u32 s25, s5, s25
	global_load_dwordx4 v[0:3], v8, s[24:25]
	s_cmp_le_i32 s30, s0
	s_cselect_b64 s[34:35], -1, 0
	v_cmp_ge_i32_e32 vcc, s28, v4
	s_and_b64 s[34:35], s[34:35], vcc
	s_andn2_b64 vcc, exec, s[34:35]
	s_waitcnt vmcnt(0)
	ds_write2_b64 v9, v[0:1], v[2:3] offset1:1
	s_cbranch_vccnz .LBB59_23
; %bb.12:                               ;   in Loop: Header=BB59_10 Depth=1
	s_mov_b32 s1, 0
	s_mov_b32 s29, 0
.LBB59_13:                              ;   Parent Loop BB59_10 Depth=1
                                        ; =>  This Inner Loop Header: Depth=2
	s_ashr_i32 s31, s30, 31
	s_lshl_b64 s[34:35], s[30:31], 2
	s_add_u32 s34, s18, s34
	s_addc_u32 s35, s19, s35
	s_lshl_b32 s31, s29, 2
	s_load_dword s23, s[34:35], 0x0
	v_mov_b32_e32 v0, s31
	ds_read_b32 v0, v0 offset:256
	s_mov_b64 s[34:35], -1
                                        ; implicit-def: $sgpr36
                                        ; implicit-def: $sgpr33
	s_waitcnt lgkmcnt(0)
	s_sub_i32 s37, s23, s7
                                        ; implicit-def: $sgpr23
	v_cmp_ge_i32_e32 vcc, s37, v0
	v_readfirstlane_b32 s31, v0
	s_cbranch_vccz .LBB59_19
; %bb.14:                               ;   in Loop: Header=BB59_13 Depth=2
	s_cmp_le_i32 s37, s31
                                        ; implicit-def: $sgpr23
                                        ; implicit-def: $sgpr36
                                        ; implicit-def: $sgpr33
	s_cbranch_scc0 .LBB59_16
; %bb.15:                               ;   in Loop: Header=BB59_13 Depth=2
	s_add_i32 s23, s29, s20
	s_lshl_b32 s33, s1, 2
	v_mov_b32_e32 v0, s33
	v_mov_b32_e32 v1, s23
	;; [unrolled: 1-line block ×3, first 2 shown]
	ds_write2_b32 v0, v2, v1 offset1:32
	s_add_i32 s33, s29, 1
	s_add_i32 s36, s30, 1
	;; [unrolled: 1-line block ×3, first 2 shown]
	s_mov_b64 s[34:35], 0
.LBB59_16:                              ;   in Loop: Header=BB59_13 Depth=2
	s_andn2_b64 vcc, exec, s[34:35]
	s_cbranch_vccnz .LBB59_18
; %bb.17:                               ;   in Loop: Header=BB59_13 Depth=2
	s_add_i32 s33, s29, 1
	s_mov_b32 s23, s1
	s_mov_b32 s36, s30
.LBB59_18:                              ;   in Loop: Header=BB59_13 Depth=2
	s_mov_b64 s[34:35], 0
.LBB59_19:                              ;   in Loop: Header=BB59_13 Depth=2
	s_andn2_b64 vcc, exec, s[34:35]
	s_cbranch_vccnz .LBB59_21
; %bb.20:                               ;   in Loop: Header=BB59_13 Depth=2
	s_add_i32 s36, s30, 1
	s_mov_b32 s33, s29
	s_mov_b32 s23, s1
.LBB59_21:                              ;   in Loop: Header=BB59_13 Depth=2
	s_cmp_le_i32 s36, s0
	s_cselect_b64 s[34:35], -1, 0
	s_cmp_le_i32 s31, s28
	s_cselect_b64 s[30:31], -1, 0
	s_and_b64 s[30:31], s[34:35], s[30:31]
	s_and_b64 vcc, exec, s[30:31]
	s_cbranch_vccz .LBB59_23
; %bb.22:                               ;   in Loop: Header=BB59_13 Depth=2
	s_mov_b32 s1, s23
	s_mov_b32 s30, s36
	;; [unrolled: 1-line block ×3, first 2 shown]
	s_branch .LBB59_13
.LBB59_23:                              ;   in Loop: Header=BB59_10 Depth=1
	s_add_u32 s26, s10, s26
	s_addc_u32 s27, s11, s27
	s_waitcnt lgkmcnt(0)
.LBB59_24:                              ;   Parent Loop BB59_10 Depth=1
                                        ; =>  This Inner Loop Header: Depth=2
	global_load_dword v0, v8, s[26:27] glc
	s_waitcnt vmcnt(0)
	v_cmp_eq_u32_e32 vcc, 0, v0
	s_cbranch_vccnz .LBB59_24
; %bb.25:                               ;   in Loop: Header=BB59_10 Depth=1
	s_ashr_i32 s1, s0, 31
	s_lshl_b64 s[0:1], s[0:1], 4
	s_add_u32 s0, s4, s0
	s_addc_u32 s1, s5, s1
	buffer_wbinvl1_vol
	global_load_dwordx4 v[0:3], v8, s[0:1]
	s_cmp_lt_i32 s23, 2
	s_waitcnt vmcnt(0)
	ds_write2_b64 v11, v[0:1], v[2:3] offset1:1
	s_waitcnt lgkmcnt(0)
	s_cbranch_scc1 .LBB59_30
; %bb.26:                               ;   in Loop: Header=BB59_10 Depth=1
	s_add_i32 s1, s23, -2
	s_add_i32 s0, s23, -1
	s_cmp_lt_u32 s1, 3
	s_cbranch_scc1 .LBB59_31
; %bb.27:                               ;   in Loop: Header=BB59_10 Depth=1
	v_mov_b32_e32 v2, 0
	v_mov_b32_e32 v0, 0
	s_and_b32 s1, s0, -4
	s_mov_b32 s23, 0
	v_mov_b32_e32 v3, 0
	v_mov_b32_e32 v1, 0
	s_mov_b32 s26, 0
.LBB59_28:                              ;   Parent Loop BB59_10 Depth=1
                                        ; =>  This Inner Loop Header: Depth=2
	v_mov_b32_e32 v15, s23
	ds_read_b128 v[4:7], v15
	ds_read_b128 v[15:18], v15 offset:128
	s_add_i32 s26, s26, 4
	s_add_i32 s23, s23, 16
	s_cmp_eq_u32 s1, s26
	s_waitcnt lgkmcnt(1)
	v_ashrrev_i32_e32 v20, 31, v4
	v_mov_b32_e32 v19, v4
	s_waitcnt lgkmcnt(0)
	v_ashrrev_i32_e32 v22, 31, v15
	v_mov_b32_e32 v21, v15
	v_ashrrev_i32_e32 v24, 31, v5
	v_mov_b32_e32 v23, v5
	;; [unrolled: 2-line block ×3, first 2 shown]
	v_lshlrev_b64 v[15:16], 4, v[19:20]
	v_lshlrev_b64 v[19:20], 4, v[21:22]
	v_add_co_u32_e32 v15, vcc, s4, v15
	v_addc_co_u32_e32 v16, vcc, v12, v16, vcc
	v_lshlrev_b64 v[21:22], 4, v[23:24]
	v_add_co_u32_e32 v35, vcc, s4, v19
	v_addc_co_u32_e32 v36, vcc, v12, v20, vcc
	;; [unrolled: 3-line block ×3, first 2 shown]
	v_add_co_u32_e32 v4, vcc, s4, v4
	v_addc_co_u32_e32 v5, vcc, v12, v5, vcc
	global_load_dwordx4 v[19:22], v[35:36], off
	global_load_dwordx4 v[23:26], v[15:16], off
	;; [unrolled: 1-line block ×4, first 2 shown]
	v_ashrrev_i32_e32 v5, 31, v7
	v_mov_b32_e32 v4, v7
	v_ashrrev_i32_e32 v7, 31, v18
	v_lshlrev_b64 v[4:5], 4, v[4:5]
	s_waitcnt vmcnt(2)
	v_fma_f64 v[0:1], v[23:24], v[19:20], v[0:1]
	v_fma_f64 v[2:3], v[25:26], v[19:20], v[2:3]
	;; [unrolled: 1-line block ×3, first 2 shown]
	v_ashrrev_i32_e32 v1, 31, v6
	v_mov_b32_e32 v0, v6
	v_lshlrev_b64 v[0:1], 4, v[0:1]
	v_fma_f64 v[21:22], v[23:24], -v[21:22], v[2:3]
	v_ashrrev_i32_e32 v3, 31, v17
	v_mov_b32_e32 v2, v17
	v_lshlrev_b64 v[2:3], 4, v[2:3]
	v_add_co_u32_e32 v17, vcc, s4, v0
	v_mov_b32_e32 v6, v18
	v_addc_co_u32_e32 v18, vcc, v12, v1, vcc
	v_add_co_u32_e32 v23, vcc, s4, v2
	v_addc_co_u32_e32 v24, vcc, v12, v3, vcc
	v_add_co_u32_e32 v25, vcc, s4, v4
	v_lshlrev_b64 v[15:16], 4, v[6:7]
	v_addc_co_u32_e32 v26, vcc, v12, v5, vcc
	global_load_dwordx4 v[0:3], v[17:18], off
	global_load_dwordx4 v[4:7], v[23:24], off
	s_waitcnt vmcnt(2)
	v_fma_f64 v[19:20], v[27:28], v[31:32], v[19:20]
	v_fma_f64 v[21:22], v[29:30], v[31:32], v[21:22]
	v_add_co_u32_e32 v23, vcc, s4, v15
	v_addc_co_u32_e32 v24, vcc, v12, v16, vcc
	global_load_dwordx4 v[15:18], v[25:26], off
	v_fma_f64 v[25:26], v[29:30], v[33:34], v[19:20]
	v_fma_f64 v[27:28], v[27:28], -v[33:34], v[21:22]
	global_load_dwordx4 v[19:22], v[23:24], off
	s_waitcnt vmcnt(2)
	v_fma_f64 v[23:24], v[0:1], v[4:5], v[25:26]
	v_fma_f64 v[4:5], v[2:3], v[4:5], v[27:28]
	;; [unrolled: 1-line block ×3, first 2 shown]
	v_fma_f64 v[0:1], v[0:1], -v[6:7], v[4:5]
	s_waitcnt vmcnt(0)
	v_fma_f64 v[2:3], v[15:16], v[19:20], v[2:3]
	v_fma_f64 v[4:5], v[17:18], v[19:20], v[0:1]
	;; [unrolled: 1-line block ×3, first 2 shown]
	v_fma_f64 v[2:3], v[15:16], -v[21:22], v[4:5]
	s_cbranch_scc0 .LBB59_28
; %bb.29:                               ;   in Loop: Header=BB59_10 Depth=1
	s_and_b32 s0, s0, 3
	s_cmp_eq_u32 s0, 0
	s_cbranch_scc0 .LBB59_32
	s_branch .LBB59_34
.LBB59_30:                              ;   in Loop: Header=BB59_10 Depth=1
	v_mov_b32_e32 v2, 0
	v_mov_b32_e32 v0, 0
	;; [unrolled: 1-line block ×4, first 2 shown]
	s_branch .LBB59_34
.LBB59_31:                              ;   in Loop: Header=BB59_10 Depth=1
	v_mov_b32_e32 v2, 0
	v_mov_b32_e32 v0, 0
	;; [unrolled: 1-line block ×4, first 2 shown]
	s_mov_b32 s1, 0
	s_and_b32 s0, s0, 3
	s_cmp_eq_u32 s0, 0
	s_cbranch_scc1 .LBB59_34
.LBB59_32:                              ;   in Loop: Header=BB59_10 Depth=1
	s_lshl_b32 s1, s1, 2
.LBB59_33:                              ;   Parent Loop BB59_10 Depth=1
                                        ; =>  This Inner Loop Header: Depth=2
	v_mov_b32_e32 v4, s1
	ds_read2_b32 v[4:5], v4 offset1:32
	v_mov_b32_e32 v17, s5
	s_add_i32 s1, s1, 4
	s_add_i32 s0, s0, -1
	s_cmp_lg_u32 s0, 0
	s_waitcnt lgkmcnt(0)
	v_ashrrev_i32_e32 v7, 31, v4
	v_mov_b32_e32 v6, v4
	v_ashrrev_i32_e32 v16, 31, v5
	v_mov_b32_e32 v15, v5
	v_lshlrev_b64 v[4:5], 4, v[6:7]
	v_lshlrev_b64 v[6:7], 4, v[15:16]
	v_add_co_u32_e32 v19, vcc, s4, v4
	v_addc_co_u32_e32 v20, vcc, v17, v5, vcc
	v_add_co_u32_e32 v21, vcc, s4, v6
	v_addc_co_u32_e32 v22, vcc, v17, v7, vcc
	global_load_dwordx4 v[4:7], v[19:20], off
	global_load_dwordx4 v[15:18], v[21:22], off
	s_waitcnt vmcnt(0)
	v_fma_f64 v[0:1], v[4:5], v[15:16], v[0:1]
	v_fma_f64 v[2:3], v[6:7], v[15:16], v[2:3]
	;; [unrolled: 1-line block ×3, first 2 shown]
	v_fma_f64 v[2:3], v[4:5], -v[17:18], v[2:3]
	s_cbranch_scc1 .LBB59_33
.LBB59_34:                              ;   in Loop: Header=BB59_10 Depth=1
	ds_write_b128 v10, v[0:3]
	s_waitcnt lgkmcnt(0)
	ds_read_b128 v[4:7], v8 offset:384
	ds_read_b128 v[0:3], v9
	s_waitcnt lgkmcnt(1)
	v_cmp_neq_f64_e32 vcc, 0, v[4:5]
	v_cmp_neq_f64_e64 s[0:1], 0, v[6:7]
	s_or_b64 s[0:1], vcc, s[0:1]
	s_andn2_b64 vcc, exec, s[0:1]
	s_cbranch_vccz .LBB59_38
; %bb.35:                               ;   in Loop: Header=BB59_10 Depth=1
	v_mbcnt_lo_u32_b32 v4, exec_lo, 0
	v_mbcnt_hi_u32_b32 v4, exec_hi, v4
	v_cmp_ne_u32_e32 vcc, 0, v4
	s_and_b64 s[0:1], vcc, exec
	s_cbranch_scc1 .LBB59_37
; %bb.36:                               ;   in Loop: Header=BB59_10 Depth=1
	v_mov_b32_e32 v4, s13
	global_atomic_smin v8, v4, s[14:15]
.LBB59_37:                              ;   in Loop: Header=BB59_10 Depth=1
	v_mov_b32_e32 v4, 0
	v_mov_b32_e32 v6, 0
	;; [unrolled: 1-line block ×4, first 2 shown]
	s_branch .LBB59_39
.LBB59_38:                              ;   in Loop: Header=BB59_10 Depth=1
	v_cndmask_b32_e64 v4, 0, v4, s[0:1]
	v_cndmask_b32_e64 v5, v14, v5, s[0:1]
	;; [unrolled: 1-line block ×4, first 2 shown]
.LBB59_39:                              ;   in Loop: Header=BB59_10 Depth=1
	v_mul_f64 v[15:16], v[6:7], v[6:7]
	s_add_i32 s22, s22, 1
	s_cmp_ge_i32 s22, s12
	v_fma_f64 v[19:20], v[4:5], v[4:5], v[15:16]
	v_div_scale_f64 v[15:16], s[0:1], v[19:20], v[19:20], 1.0
	s_cselect_b64 s[0:1], -1, 0
	v_rcp_f64_e32 v[17:18], v[15:16]
	v_fma_f64 v[21:22], -v[15:16], v[17:18], 1.0
	v_fma_f64 v[17:18], v[17:18], v[21:22], v[17:18]
	v_div_scale_f64 v[21:22], vcc, 1.0, v[19:20], 1.0
	v_fma_f64 v[23:24], -v[15:16], v[17:18], 1.0
	v_fma_f64 v[23:24], v[17:18], v[23:24], v[17:18]
	v_mul_f64 v[25:26], v[21:22], v[23:24]
	v_fma_f64 v[21:22], -v[15:16], v[25:26], v[21:22]
	ds_read_b128 v[15:18], v10
	s_waitcnt lgkmcnt(0)
	v_add_f64 v[2:3], v[2:3], -v[17:18]
	v_add_f64 v[0:1], v[0:1], -v[15:16]
	v_div_fmas_f64 v[17:18], v[21:22], v[23:24], v[25:26]
	v_mul_f64 v[15:16], v[6:7], v[2:3]
	v_mul_f64 v[6:7], v[6:7], -v[0:1]
	v_fma_f64 v[0:1], v[0:1], v[4:5], v[15:16]
	v_fma_f64 v[2:3], v[2:3], v[4:5], v[6:7]
	v_div_fixup_f64 v[15:16], v[17:18], v[19:20], 1.0
	v_mul_f64 v[0:1], v[15:16], v[0:1]
	v_mul_f64 v[2:3], v[15:16], v[2:3]
	ds_write_b128 v9, v[0:3]
	s_waitcnt lgkmcnt(0)
	ds_read_b128 v[4:7], v9
	ds_read_b128 v[15:18], v13
	s_waitcnt lgkmcnt(0)
	v_fma_f64 v[15:16], v[0:1], v[4:5], v[15:16]
	v_fma_f64 v[4:5], v[2:3], v[4:5], v[17:18]
	;; [unrolled: 1-line block ×3, first 2 shown]
	v_fma_f64 v[4:5], v[0:1], -v[6:7], v[4:5]
	ds_write_b128 v13, v[2:5]
	s_waitcnt lgkmcnt(0)
	ds_read2_b64 v[0:3], v9 offset1:1
	s_waitcnt lgkmcnt(0)
	global_store_dwordx4 v8, v[0:3], s[24:25]
	s_waitcnt vmcnt(0)
	buffer_wbinvl1_vol
	s_and_b64 vcc, exec, s[0:1]
	s_cbranch_vccz .LBB59_10
.LBB59_40:
	s_ashr_i32 s13, s12, 31
	s_lshl_b64 s[0:1], s[12:13], 4
	s_add_u32 s4, s4, s0
	s_addc_u32 s5, s5, s1
	v_mov_b32_e32 v6, 0
	global_load_dwordx4 v[0:3], v6, s[4:5]
	s_waitcnt vmcnt(0)
	ds_write_b128 v6, v[0:3] offset:448
	s_waitcnt lgkmcnt(0)
; %bb.41:
	ds_read_b128 v[0:3], v6 offset:448
	ds_read_b128 v[7:10], v6 offset:480
	s_waitcnt lgkmcnt(0)
	v_add_f64 v[0:1], v[0:1], -v[7:8]
	v_add_f64 v[4:5], v[2:3], -v[9:10]
	v_cmp_gt_f64_e32 vcc, 0, v[0:1]
	v_xor_b32_e32 v2, 0x80000000, v1
	v_xor_b32_e32 v3, 0x80000000, v5
	v_cndmask_b32_e32 v1, v1, v2, vcc
	v_cmp_gt_f64_e32 vcc, 0, v[4:5]
	v_mov_b32_e32 v2, v4
	v_cndmask_b32_e32 v3, v5, v3, vcc
	v_cmp_ngt_f64_e32 vcc, v[0:1], v[2:3]
	s_cbranch_vccz .LBB59_44
; %bb.42:
	v_cmp_eq_f64_e32 vcc, 0, v[4:5]
	s_mov_b64 s[0:1], 0
	s_cbranch_vccnz .LBB59_61
; %bb.43:
	v_div_scale_f64 v[4:5], s[8:9], v[2:3], v[2:3], v[0:1]
	s_mov_b32 s8, 0
	s_brev_b32 s9, 8
	v_rcp_f64_e32 v[7:8], v[4:5]
	v_fma_f64 v[9:10], -v[4:5], v[7:8], 1.0
	v_fma_f64 v[7:8], v[7:8], v[9:10], v[7:8]
	v_div_scale_f64 v[9:10], vcc, v[0:1], v[2:3], v[0:1]
	v_fma_f64 v[11:12], -v[4:5], v[7:8], 1.0
	v_fma_f64 v[7:8], v[7:8], v[11:12], v[7:8]
	v_mul_f64 v[11:12], v[9:10], v[7:8]
	v_fma_f64 v[4:5], -v[4:5], v[11:12], v[9:10]
	v_div_fmas_f64 v[4:5], v[4:5], v[7:8], v[11:12]
	v_div_fixup_f64 v[4:5], v[4:5], v[2:3], v[0:1]
	v_fma_f64 v[4:5], v[4:5], v[4:5], 1.0
	v_cmp_gt_f64_e32 vcc, s[8:9], v[4:5]
	s_and_b64 s[8:9], vcc, exec
	s_cselect_b32 s8, 0x100, 0
	v_ldexp_f64 v[4:5], v[4:5], s8
	s_cselect_b32 s8, 0xffffff80, 0
	v_rsq_f64_e32 v[7:8], v[4:5]
	v_mul_f64 v[9:10], v[4:5], v[7:8]
	v_mul_f64 v[7:8], v[7:8], 0.5
	v_fma_f64 v[11:12], -v[7:8], v[9:10], 0.5
	v_fma_f64 v[9:10], v[9:10], v[11:12], v[9:10]
	v_fma_f64 v[7:8], v[7:8], v[11:12], v[7:8]
	v_fma_f64 v[11:12], -v[9:10], v[9:10], v[4:5]
	v_fma_f64 v[9:10], v[11:12], v[7:8], v[9:10]
	v_fma_f64 v[11:12], -v[9:10], v[9:10], v[4:5]
	v_fma_f64 v[7:8], v[11:12], v[7:8], v[9:10]
	v_mov_b32_e32 v9, 0x260
	v_cmp_class_f64_e32 vcc, v[4:5], v9
	v_ldexp_f64 v[7:8], v[7:8], s8
	v_cndmask_b32_e32 v5, v8, v5, vcc
	v_cndmask_b32_e32 v4, v7, v4, vcc
	v_mul_f64 v[4:5], v[2:3], v[4:5]
	s_andn2_b64 vcc, exec, s[0:1]
	s_cbranch_vccz .LBB59_45
	s_branch .LBB59_46
.LBB59_44:
                                        ; implicit-def: $vgpr4_vgpr5
.LBB59_45:
	v_div_scale_f64 v[4:5], s[0:1], v[0:1], v[0:1], v[2:3]
	s_mov_b32 s0, 0
	s_brev_b32 s1, 8
	v_rcp_f64_e32 v[7:8], v[4:5]
	v_fma_f64 v[9:10], -v[4:5], v[7:8], 1.0
	v_fma_f64 v[7:8], v[7:8], v[9:10], v[7:8]
	v_div_scale_f64 v[9:10], vcc, v[2:3], v[0:1], v[2:3]
	v_fma_f64 v[11:12], -v[4:5], v[7:8], 1.0
	v_fma_f64 v[7:8], v[7:8], v[11:12], v[7:8]
	v_mul_f64 v[11:12], v[9:10], v[7:8]
	v_fma_f64 v[4:5], -v[4:5], v[11:12], v[9:10]
	v_div_fmas_f64 v[4:5], v[4:5], v[7:8], v[11:12]
	v_div_fixup_f64 v[2:3], v[4:5], v[0:1], v[2:3]
	v_fma_f64 v[2:3], v[2:3], v[2:3], 1.0
	v_cmp_gt_f64_e32 vcc, s[0:1], v[2:3]
	s_and_b64 s[0:1], vcc, exec
	s_cselect_b32 s0, 0x100, 0
	v_ldexp_f64 v[2:3], v[2:3], s0
	s_cselect_b32 s0, 0xffffff80, 0
	v_rsq_f64_e32 v[4:5], v[2:3]
	v_mul_f64 v[7:8], v[2:3], v[4:5]
	v_mul_f64 v[4:5], v[4:5], 0.5
	v_fma_f64 v[9:10], -v[4:5], v[7:8], 0.5
	v_fma_f64 v[7:8], v[7:8], v[9:10], v[7:8]
	v_fma_f64 v[4:5], v[4:5], v[9:10], v[4:5]
	v_fma_f64 v[9:10], -v[7:8], v[7:8], v[2:3]
	v_fma_f64 v[7:8], v[9:10], v[4:5], v[7:8]
	v_fma_f64 v[9:10], -v[7:8], v[7:8], v[2:3]
	v_fma_f64 v[4:5], v[9:10], v[4:5], v[7:8]
	v_mov_b32_e32 v7, 0x260
	v_cmp_class_f64_e32 vcc, v[2:3], v7
	v_ldexp_f64 v[4:5], v[4:5], s0
	v_cndmask_b32_e32 v3, v5, v3, vcc
	v_cndmask_b32_e32 v2, v4, v2, vcc
	v_mul_f64 v[4:5], v[0:1], v[2:3]
.LBB59_46:
	s_mov_b32 s0, 0
	s_brev_b32 s1, 8
	v_cmp_gt_f64_e32 vcc, s[0:1], v[4:5]
	s_and_b64 s[0:1], vcc, exec
	s_cselect_b32 s0, 0x100, 0
	v_ldexp_f64 v[0:1], v[4:5], s0
	s_cselect_b32 s0, 0xffffff80, 0
	v_rsq_f64_e32 v[2:3], v[0:1]
	v_mul_f64 v[4:5], v[0:1], v[2:3]
	v_mul_f64 v[2:3], v[2:3], 0.5
	v_fma_f64 v[7:8], -v[2:3], v[4:5], 0.5
	v_fma_f64 v[4:5], v[4:5], v[7:8], v[4:5]
	v_fma_f64 v[2:3], v[2:3], v[7:8], v[2:3]
	v_fma_f64 v[7:8], -v[4:5], v[4:5], v[0:1]
	v_fma_f64 v[4:5], v[7:8], v[2:3], v[4:5]
	v_fma_f64 v[7:8], -v[4:5], v[4:5], v[0:1]
	v_fma_f64 v[2:3], v[7:8], v[2:3], v[4:5]
	v_mov_b32_e32 v5, 0x260
	v_cmp_class_f64_e32 vcc, v[0:1], v5
	v_ldexp_f64 v[3:4], v[2:3], s0
	v_mov_b32_e32 v2, 0
	v_cndmask_b32_e32 v1, v4, v1, vcc
	v_cndmask_b32_e32 v0, v3, v0, vcc
	v_mov_b32_e32 v3, v2
	ds_write_b128 v2, v[0:3] offset:448
; %bb.47:
	s_waitcnt lgkmcnt(0)
	ds_read_b128 v[0:3], v6 offset:448
	s_cmp_lg_u32 s21, 0
	s_cselect_b64 s[8:9], -1, 0
	s_waitcnt lgkmcnt(0)
	v_cmp_neq_f64_e32 vcc, 0, v[0:1]
	v_cmp_neq_f64_e64 s[0:1], 0, v[2:3]
	s_or_b64 s[0:1], vcc, s[0:1]
	s_or_b64 s[8:9], s[0:1], s[8:9]
	s_and_b64 vcc, exec, s[8:9]
	s_cbranch_vccnz .LBB59_51
; %bb.48:
	v_mbcnt_lo_u32_b32 v0, exec_lo, 0
	v_mbcnt_hi_u32_b32 v0, exec_hi, v0
	v_cmp_ne_u32_e32 vcc, 0, v0
	s_and_b64 s[0:1], vcc, exec
	s_cbranch_scc1 .LBB59_50
; %bb.49:
	s_add_i32 s0, s6, s7
	v_mov_b32_e32 v0, 0
	v_mov_b32_e32 v1, s0
	global_atomic_smin v0, v1, s[14:15]
.LBB59_50:
	v_mov_b32_e32 v0, 0
	v_mov_b32_e32 v2, 0
	;; [unrolled: 1-line block ×4, first 2 shown]
	s_cbranch_execz .LBB59_52
	s_branch .LBB59_53
.LBB59_51:
	v_mov_b32_e32 v4, 0x3ff00000
	v_cndmask_b32_e64 v1, v4, v1, s[0:1]
	v_cndmask_b32_e64 v0, 0, v0, s[0:1]
	;; [unrolled: 1-line block ×4, first 2 shown]
	s_cbranch_execnz .LBB59_53
.LBB59_52:
	v_mul_f64 v[4:5], v[2:3], v[2:3]
	v_mov_b32_e32 v20, 0x1c0
	v_mov_b32_e32 v21, 0x1e0
	v_fma_f64 v[12:13], v[0:1], v[0:1], v[4:5]
	v_div_scale_f64 v[4:5], s[0:1], v[12:13], v[12:13], 1.0
	v_rcp_f64_e32 v[6:7], v[4:5]
	v_fma_f64 v[8:9], -v[4:5], v[6:7], 1.0
	v_fma_f64 v[6:7], v[6:7], v[8:9], v[6:7]
	v_div_scale_f64 v[8:9], vcc, 1.0, v[12:13], 1.0
	v_fma_f64 v[10:11], -v[4:5], v[6:7], 1.0
	v_fma_f64 v[14:15], v[6:7], v[10:11], v[6:7]
	v_mul_f64 v[16:17], v[8:9], v[14:15]
	v_fma_f64 v[18:19], -v[4:5], v[16:17], v[8:9]
	ds_read_b128 v[4:7], v20
	ds_read_b128 v[8:11], v21
	s_waitcnt lgkmcnt(0)
	v_add_f64 v[6:7], v[6:7], -v[10:11]
	v_add_f64 v[4:5], v[4:5], -v[8:9]
	v_div_fmas_f64 v[10:11], v[18:19], v[14:15], v[16:17]
	v_mul_f64 v[8:9], v[2:3], v[6:7]
	v_mul_f64 v[2:3], v[2:3], -v[4:5]
	v_fma_f64 v[4:5], v[4:5], v[0:1], v[8:9]
	v_fma_f64 v[2:3], v[6:7], v[0:1], v[2:3]
	v_div_fixup_f64 v[8:9], v[10:11], v[12:13], 1.0
	v_mul_f64 v[0:1], v[8:9], v[4:5]
	v_mul_f64 v[2:3], v[8:9], v[2:3]
	v_mov_b32_e32 v4, 0
	ds_write_b128 v20, v[0:3]
	s_waitcnt lgkmcnt(0)
	ds_read_b128 v[4:7], v4 offset:448
	ds_read_b128 v[8:11], v21
	s_waitcnt lgkmcnt(0)
	v_fma_f64 v[8:9], v[0:1], v[4:5], v[8:9]
	v_fma_f64 v[4:5], v[2:3], v[4:5], v[10:11]
	v_fma_f64 v[2:3], v[2:3], v[6:7], v[8:9]
	v_fma_f64 v[4:5], v[0:1], -v[6:7], v[4:5]
	ds_write_b128 v21, v[2:5]
.LBB59_53:
	v_mov_b32_e32 v0, 0x1c0
	s_waitcnt lgkmcnt(0)
	ds_read2_b64 v[0:3], v0 offset1:1
	v_mov_b32_e32 v4, 0
	s_cmp_eq_u32 s21, 0
	s_cselect_b64 s[0:1], -1, 0
	s_waitcnt lgkmcnt(0)
	global_store_dwordx4 v4, v[0:3], s[4:5]
	s_branch .LBB59_55
.LBB59_54:
	s_cbranch_execnz .LBB59_58
.LBB59_55:
	s_and_b64 vcc, exec, s[0:1]
	s_cbranch_vccz .LBB59_57
.LBB59_56:
	s_add_u32 s0, s10, s2
	s_addc_u32 s1, s11, s3
	v_mov_b32_e32 v0, 0
	v_mov_b32_e32 v1, 1
	s_waitcnt vmcnt(0)
	global_store_dword v0, v1, s[0:1]
.LBB59_57:
	s_endpgm
.LBB59_58:
	v_mbcnt_lo_u32_b32 v0, exec_lo, 0
	v_mbcnt_hi_u32_b32 v0, exec_hi, v0
	v_cmp_ne_u32_e32 vcc, 0, v0
	s_and_b64 s[0:1], vcc, exec
	s_cbranch_scc0 .LBB59_60
; %bb.59:
	s_cbranch_execnz .LBB59_56
	s_branch .LBB59_57
.LBB59_60:
	s_add_i32 s0, s6, s7
	v_mov_b32_e32 v0, 0
	v_mov_b32_e32 v1, s0
	global_atomic_smin v0, v1, s[14:15]
	s_cbranch_execnz .LBB59_56
	s_branch .LBB59_57
.LBB59_61:
	v_mov_b32_e32 v4, 0
	v_mov_b32_e32 v5, 0
	s_andn2_b64 vcc, exec, s[0:1]
	s_cbranch_vccz .LBB59_45
	s_branch .LBB59_46
	.section	.rodata,"a",@progbits
	.p2align	6, 0x0
	.amdhsa_kernel _ZN9rocsparseL26bsric0_2_8_unrolled_kernelILi1ELi32ELi1E21rocsparse_complex_numIdEEEv20rocsparse_direction_iiPKiS5_PT2_S5_PiS5_S8_21rocsparse_index_base_
		.amdhsa_group_segment_fixed_size 512
		.amdhsa_private_segment_fixed_size 0
		.amdhsa_kernarg_size 76
		.amdhsa_user_sgpr_count 6
		.amdhsa_user_sgpr_private_segment_buffer 1
		.amdhsa_user_sgpr_dispatch_ptr 0
		.amdhsa_user_sgpr_queue_ptr 0
		.amdhsa_user_sgpr_kernarg_segment_ptr 1
		.amdhsa_user_sgpr_dispatch_id 0
		.amdhsa_user_sgpr_flat_scratch_init 0
		.amdhsa_user_sgpr_private_segment_size 0
		.amdhsa_uses_dynamic_stack 0
		.amdhsa_system_sgpr_private_segment_wavefront_offset 0
		.amdhsa_system_sgpr_workgroup_id_x 1
		.amdhsa_system_sgpr_workgroup_id_y 0
		.amdhsa_system_sgpr_workgroup_id_z 0
		.amdhsa_system_sgpr_workgroup_info 0
		.amdhsa_system_vgpr_workitem_id 0
		.amdhsa_next_free_vgpr 39
		.amdhsa_next_free_sgpr 38
		.amdhsa_reserve_vcc 1
		.amdhsa_reserve_flat_scratch 0
		.amdhsa_float_round_mode_32 0
		.amdhsa_float_round_mode_16_64 0
		.amdhsa_float_denorm_mode_32 3
		.amdhsa_float_denorm_mode_16_64 3
		.amdhsa_dx10_clamp 1
		.amdhsa_ieee_mode 1
		.amdhsa_fp16_overflow 0
		.amdhsa_exception_fp_ieee_invalid_op 0
		.amdhsa_exception_fp_denorm_src 0
		.amdhsa_exception_fp_ieee_div_zero 0
		.amdhsa_exception_fp_ieee_overflow 0
		.amdhsa_exception_fp_ieee_underflow 0
		.amdhsa_exception_fp_ieee_inexact 0
		.amdhsa_exception_int_div_zero 0
	.end_amdhsa_kernel
	.section	.text._ZN9rocsparseL26bsric0_2_8_unrolled_kernelILi1ELi32ELi1E21rocsparse_complex_numIdEEEv20rocsparse_direction_iiPKiS5_PT2_S5_PiS5_S8_21rocsparse_index_base_,"axG",@progbits,_ZN9rocsparseL26bsric0_2_8_unrolled_kernelILi1ELi32ELi1E21rocsparse_complex_numIdEEEv20rocsparse_direction_iiPKiS5_PT2_S5_PiS5_S8_21rocsparse_index_base_,comdat
.Lfunc_end59:
	.size	_ZN9rocsparseL26bsric0_2_8_unrolled_kernelILi1ELi32ELi1E21rocsparse_complex_numIdEEEv20rocsparse_direction_iiPKiS5_PT2_S5_PiS5_S8_21rocsparse_index_base_, .Lfunc_end59-_ZN9rocsparseL26bsric0_2_8_unrolled_kernelILi1ELi32ELi1E21rocsparse_complex_numIdEEEv20rocsparse_direction_iiPKiS5_PT2_S5_PiS5_S8_21rocsparse_index_base_
                                        ; -- End function
	.set _ZN9rocsparseL26bsric0_2_8_unrolled_kernelILi1ELi32ELi1E21rocsparse_complex_numIdEEEv20rocsparse_direction_iiPKiS5_PT2_S5_PiS5_S8_21rocsparse_index_base_.num_vgpr, 39
	.set _ZN9rocsparseL26bsric0_2_8_unrolled_kernelILi1ELi32ELi1E21rocsparse_complex_numIdEEEv20rocsparse_direction_iiPKiS5_PT2_S5_PiS5_S8_21rocsparse_index_base_.num_agpr, 0
	.set _ZN9rocsparseL26bsric0_2_8_unrolled_kernelILi1ELi32ELi1E21rocsparse_complex_numIdEEEv20rocsparse_direction_iiPKiS5_PT2_S5_PiS5_S8_21rocsparse_index_base_.numbered_sgpr, 38
	.set _ZN9rocsparseL26bsric0_2_8_unrolled_kernelILi1ELi32ELi1E21rocsparse_complex_numIdEEEv20rocsparse_direction_iiPKiS5_PT2_S5_PiS5_S8_21rocsparse_index_base_.num_named_barrier, 0
	.set _ZN9rocsparseL26bsric0_2_8_unrolled_kernelILi1ELi32ELi1E21rocsparse_complex_numIdEEEv20rocsparse_direction_iiPKiS5_PT2_S5_PiS5_S8_21rocsparse_index_base_.private_seg_size, 0
	.set _ZN9rocsparseL26bsric0_2_8_unrolled_kernelILi1ELi32ELi1E21rocsparse_complex_numIdEEEv20rocsparse_direction_iiPKiS5_PT2_S5_PiS5_S8_21rocsparse_index_base_.uses_vcc, 1
	.set _ZN9rocsparseL26bsric0_2_8_unrolled_kernelILi1ELi32ELi1E21rocsparse_complex_numIdEEEv20rocsparse_direction_iiPKiS5_PT2_S5_PiS5_S8_21rocsparse_index_base_.uses_flat_scratch, 0
	.set _ZN9rocsparseL26bsric0_2_8_unrolled_kernelILi1ELi32ELi1E21rocsparse_complex_numIdEEEv20rocsparse_direction_iiPKiS5_PT2_S5_PiS5_S8_21rocsparse_index_base_.has_dyn_sized_stack, 0
	.set _ZN9rocsparseL26bsric0_2_8_unrolled_kernelILi1ELi32ELi1E21rocsparse_complex_numIdEEEv20rocsparse_direction_iiPKiS5_PT2_S5_PiS5_S8_21rocsparse_index_base_.has_recursion, 0
	.set _ZN9rocsparseL26bsric0_2_8_unrolled_kernelILi1ELi32ELi1E21rocsparse_complex_numIdEEEv20rocsparse_direction_iiPKiS5_PT2_S5_PiS5_S8_21rocsparse_index_base_.has_indirect_call, 0
	.section	.AMDGPU.csdata,"",@progbits
; Kernel info:
; codeLenInByte = 3376
; TotalNumSgprs: 42
; NumVgprs: 39
; ScratchSize: 0
; MemoryBound: 0
; FloatMode: 240
; IeeeMode: 1
; LDSByteSize: 512 bytes/workgroup (compile time only)
; SGPRBlocks: 5
; VGPRBlocks: 9
; NumSGPRsForWavesPerEU: 42
; NumVGPRsForWavesPerEU: 39
; Occupancy: 6
; WaveLimiterHint : 1
; COMPUTE_PGM_RSRC2:SCRATCH_EN: 0
; COMPUTE_PGM_RSRC2:USER_SGPR: 6
; COMPUTE_PGM_RSRC2:TRAP_HANDLER: 0
; COMPUTE_PGM_RSRC2:TGID_X_EN: 1
; COMPUTE_PGM_RSRC2:TGID_Y_EN: 0
; COMPUTE_PGM_RSRC2:TGID_Z_EN: 0
; COMPUTE_PGM_RSRC2:TIDIG_COMP_CNT: 0
	.section	.text._ZN9rocsparseL26bsric0_2_8_unrolled_kernelILi4ELi32ELi2E21rocsparse_complex_numIdEEEv20rocsparse_direction_iiPKiS5_PT2_S5_PiS5_S8_21rocsparse_index_base_,"axG",@progbits,_ZN9rocsparseL26bsric0_2_8_unrolled_kernelILi4ELi32ELi2E21rocsparse_complex_numIdEEEv20rocsparse_direction_iiPKiS5_PT2_S5_PiS5_S8_21rocsparse_index_base_,comdat
	.globl	_ZN9rocsparseL26bsric0_2_8_unrolled_kernelILi4ELi32ELi2E21rocsparse_complex_numIdEEEv20rocsparse_direction_iiPKiS5_PT2_S5_PiS5_S8_21rocsparse_index_base_ ; -- Begin function _ZN9rocsparseL26bsric0_2_8_unrolled_kernelILi4ELi32ELi2E21rocsparse_complex_numIdEEEv20rocsparse_direction_iiPKiS5_PT2_S5_PiS5_S8_21rocsparse_index_base_
	.p2align	8
	.type	_ZN9rocsparseL26bsric0_2_8_unrolled_kernelILi4ELi32ELi2E21rocsparse_complex_numIdEEEv20rocsparse_direction_iiPKiS5_PT2_S5_PiS5_S8_21rocsparse_index_base_,@function
_ZN9rocsparseL26bsric0_2_8_unrolled_kernelILi4ELi32ELi2E21rocsparse_complex_numIdEEEv20rocsparse_direction_iiPKiS5_PT2_S5_PiS5_S8_21rocsparse_index_base_: ; @_ZN9rocsparseL26bsric0_2_8_unrolled_kernelILi4ELi32ELi2E21rocsparse_complex_numIdEEEv20rocsparse_direction_iiPKiS5_PT2_S5_PiS5_S8_21rocsparse_index_base_
; %bb.0:
	s_load_dwordx8 s[8:15], s[4:5], 0x28
	s_mov_b32 s7, 0
	s_lshl_b64 s[0:1], s[6:7], 2
	s_waitcnt lgkmcnt(0)
	s_add_u32 s0, s12, s0
	s_addc_u32 s1, s13, s1
	s_load_dword s12, s[0:1], 0x0
	s_waitcnt lgkmcnt(0)
	s_ashr_i32 s13, s12, 31
	s_lshl_b64 s[6:7], s[12:13], 2
	s_add_u32 s0, s8, s6
	s_addc_u32 s1, s9, s7
	s_load_dword s30, s[0:1], 0x0
	s_load_dword s13, s[4:5], 0x48
	s_waitcnt lgkmcnt(0)
	s_cmp_lg_u32 s30, -1
	s_cbranch_scc0 .LBB60_6
; %bb.1:
	s_load_dwordx4 s[16:19], s[4:5], 0x10
	s_load_dwordx2 s[20:21], s[4:5], 0x20
	v_lshlrev_b32_e32 v18, 1, v1
	v_add_u32_e32 v17, v18, v0
	s_waitcnt lgkmcnt(0)
	s_add_u32 s0, s16, s6
	s_addc_u32 s1, s17, s7
	s_load_dword s0, s[0:1], 0x0
	s_waitcnt lgkmcnt(0)
	s_sub_i32 s31, s0, s13
	v_add_u32_e32 v2, s31, v17
	v_cmp_ge_i32_e32 vcc, s30, v2
	s_and_saveexec_b64 s[0:1], vcc
	s_cbranch_execz .LBB60_4
; %bb.2:
	v_lshlrev_b32_e32 v3, 2, v0
	v_lshl_add_u32 v3, v1, 3, v3
	v_or_b32_e32 v5, 0x100, v3
	v_ashrrev_i32_e32 v3, 31, v2
	v_lshlrev_b64 v[3:4], 2, v[2:3]
	v_mov_b32_e32 v6, s19
	v_add_co_u32_e32 v3, vcc, s18, v3
	v_addc_co_u32_e32 v4, vcc, v6, v4, vcc
	s_mov_b64 s[2:3], 0
.LBB60_3:                               ; =>This Inner Loop Header: Depth=1
	global_load_dword v6, v[3:4], off
	v_add_co_u32_e32 v3, vcc, 16, v3
	v_add_u32_e32 v2, 4, v2
	v_addc_co_u32_e32 v4, vcc, 0, v4, vcc
	v_cmp_lt_i32_e32 vcc, s30, v2
	s_or_b64 s[2:3], vcc, s[2:3]
	s_waitcnt vmcnt(0)
	v_subrev_u32_e32 v6, s13, v6
	ds_write_b32 v5, v6
	v_add_u32_e32 v5, 16, v5
	s_andn2_b64 exec, exec, s[2:3]
	s_cbranch_execnz .LBB60_3
.LBB60_4:
	s_or_b64 exec, exec, s[0:1]
	v_mov_b32_e32 v2, 0x2a0
	v_mad_u32_u24 v16, v1, 48, v2
	v_mov_b32_e32 v2, 0
	v_lshl_add_u32 v14, v0, 4, v16
	v_mov_b32_e32 v3, v2
	v_mov_b32_e32 v4, v2
	;; [unrolled: 1-line block ×3, first 2 shown]
	s_cmp_lt_i32 s31, s30
	ds_write_b128 v14, v[2:5]
	s_waitcnt lgkmcnt(0)
	s_cbranch_scc1 .LBB60_8
; %bb.5:
	v_lshl_add_u32 v19, v0, 1, v1
	v_or_b32_e32 v15, v0, v1
	s_load_dword s33, s[4:5], 0x0
	s_cbranch_execz .LBB60_9
	s_branch .LBB60_43
.LBB60_6:
	s_cbranch_execnz .LBB60_72
.LBB60_7:
	s_endpgm
.LBB60_8:
                                        ; implicit-def: $vgpr19
                                        ; implicit-def: $vgpr15
	s_load_dword s33, s[4:5], 0x0
.LBB60_9:
	s_waitcnt lgkmcnt(0)
	s_cmp_lg_u32 s33, 0
	v_mul_u32_u24_e32 v3, 48, v1
	v_lshlrev_b32_e32 v4, 4, v0
	s_movk_i32 s0, 0x180
	s_cselect_b64 s[4:5], -1, 0
	s_cmp_eq_u32 s33, 0
	v_lshlrev_b32_e32 v20, 1, v0
	v_mov_b32_e32 v2, 0x240
	v_add3_u32 v23, v3, v4, s0
	v_mov_b32_e32 v3, 0x1e0
	v_add_u32_e32 v19, v20, v1
	v_mad_u32_u24 v21, v1, 48, v2
	v_mad_u32_u24 v24, v1, 48, v3
	v_or_b32_e32 v15, v0, v1
	s_cselect_b64 vcc, -1, 0
	v_add_u32_e32 v22, v21, v4
	v_add_u32_e32 v25, v24, v4
	v_mad_u32_u24 v26, v0, 48, v2
	v_cmp_ne_u32_e64 s[0:1], 0, v15
	v_cndmask_b32_e32 v27, v19, v17, vcc
	v_mov_b32_e32 v28, 0
	v_mov_b32_e32 v29, 0x3ff00000
	s_mov_b32 s22, s31
	s_branch .LBB60_12
.LBB60_10:                              ;   in Loop: Header=BB60_12 Depth=1
	s_or_b64 exec, exec, s[24:25]
	v_mov_b32_e32 v10, 0
	v_mov_b32_e32 v8, 0
	;; [unrolled: 1-line block ×4, first 2 shown]
.LBB60_11:                              ;   in Loop: Header=BB60_12 Depth=1
	s_or_b64 exec, exec, s[2:3]
	v_mul_f64 v[12:13], v[10:11], v[10:11]
	s_add_i32 s22, s22, 1
	s_cmp_ge_i32 s22, s30
	v_fma_f64 v[12:13], v[8:9], v[8:9], v[12:13]
	v_div_scale_f64 v[42:43], s[2:3], v[12:13], v[12:13], 1.0
	v_div_scale_f64 v[44:45], vcc, 1.0, v[12:13], 1.0
	s_cselect_b64 s[2:3], -1, 0
	v_rcp_f64_e32 v[30:31], v[42:43]
	v_fma_f64 v[32:33], -v[42:43], v[30:31], 1.0
	v_fma_f64 v[34:35], v[30:31], v[32:33], v[30:31]
	ds_read_b128 v[30:33], v28 offset:432
	v_fma_f64 v[36:37], -v[42:43], v[34:35], 1.0
	v_fma_f64 v[46:47], v[34:35], v[36:37], v[34:35]
	ds_read_b128 v[34:37], v21
	ds_read_b128 v[38:41], v24 offset:16
	s_waitcnt lgkmcnt(0)
	v_fma_f64 v[40:41], v[32:33], v[34:35], v[40:41]
	v_fma_f64 v[34:35], v[30:31], v[34:35], v[38:39]
	v_mul_f64 v[48:49], v[44:45], v[46:47]
	v_fma_f64 v[30:31], v[30:31], -v[36:37], v[40:41]
	v_fma_f64 v[32:33], v[32:33], v[36:37], v[34:35]
	v_fma_f64 v[38:39], -v[42:43], v[48:49], v[44:45]
	v_add_f64 v[4:5], v[4:5], -v[30:31]
	v_add_f64 v[2:3], v[2:3], -v[32:33]
	v_div_fmas_f64 v[30:31], v[38:39], v[46:47], v[48:49]
	v_mul_f64 v[32:33], v[10:11], v[4:5]
	v_mul_f64 v[10:11], v[10:11], -v[2:3]
	v_fma_f64 v[2:3], v[2:3], v[8:9], v[32:33]
	v_fma_f64 v[4:5], v[4:5], v[8:9], v[10:11]
	v_div_fixup_f64 v[12:13], v[30:31], v[12:13], 1.0
	v_mul_f64 v[2:3], v[12:13], v[2:3]
	v_mul_f64 v[4:5], v[12:13], v[4:5]
	ds_write_b128 v21, v[2:5] offset:16
	s_waitcnt lgkmcnt(0)
	ds_read_b128 v[8:11], v26 offset:16
	ds_read_b128 v[30:33], v14
	s_waitcnt lgkmcnt(0)
	v_fma_f64 v[12:13], v[2:3], v[8:9], v[30:31]
	v_fma_f64 v[30:31], v[4:5], v[8:9], v[32:33]
	v_fma_f64 v[8:9], v[4:5], v[10:11], v[12:13]
	v_fma_f64 v[10:11], v[2:3], -v[10:11], v[30:31]
	ds_write_b128 v14, v[8:11]
	s_waitcnt lgkmcnt(0)
	ds_read2_b64 v[2:5], v22 offset1:1
	s_waitcnt lgkmcnt(0)
	global_store_dwordx4 v[6:7], v[2:5], off
	s_waitcnt vmcnt(0)
	buffer_wbinvl1_vol
	s_and_b64 vcc, exec, s[2:3]
	s_cbranch_vccnz .LBB60_43
.LBB60_12:                              ; =>This Loop Header: Depth=1
                                        ;     Child Loop BB60_15 Depth 2
                                        ;     Child Loop BB60_26 Depth 2
	;; [unrolled: 1-line block ×3, first 2 shown]
	s_ashr_i32 s23, s22, 31
	s_lshl_b64 s[2:3], s[22:23], 2
	s_add_u32 s2, s18, s2
	s_addc_u32 s3, s19, s3
	s_load_dword s23, s[2:3], 0x0
	s_waitcnt lgkmcnt(0)
	s_sub_i32 s24, s23, s13
	s_ashr_i32 s25, s24, 31
	s_lshl_b64 s[2:3], s[24:25], 2
	s_add_u32 s26, s8, s2
	s_addc_u32 s27, s9, s3
	s_load_dword s25, s[26:27], 0x0
	s_waitcnt lgkmcnt(0)
	s_cmp_eq_u32 s25, -1
	s_cbranch_scc1 .LBB60_42
; %bb.13:                               ;   in Loop: Header=BB60_12 Depth=1
	v_lshl_add_u32 v2, s22, 2, v27
	v_ashrrev_i32_e32 v3, 31, v2
	v_lshlrev_b64 v[2:3], 4, v[2:3]
	v_mov_b32_e32 v4, s21
	v_add_co_u32_e32 v6, vcc, s20, v2
	v_addc_co_u32_e32 v7, vcc, v4, v3, vcc
	global_load_dwordx4 v[2:5], v[6:7], off
	s_add_u32 s26, s16, s2
	s_addc_u32 s27, s17, s3
	s_load_dword s26, s[26:27], 0x0
	ds_read_b32 v8, v28 offset:256
	s_mov_b32 s27, 0
	s_waitcnt lgkmcnt(0)
	s_sub_i32 s26, s26, s13
	s_cmp_le_i32 s26, s25
	v_cmp_ge_i32_e32 vcc, s24, v8
	s_cselect_b64 s[28:29], -1, 0
	s_and_b64 s[28:29], s[28:29], vcc
	s_andn2_b64 vcc, exec, s[28:29]
	s_waitcnt vmcnt(0)
	ds_write2_b64 v22, v[2:3], v[4:5] offset1:1
	s_cbranch_vccnz .LBB60_25
; %bb.14:                               ;   in Loop: Header=BB60_12 Depth=1
	s_mov_b32 s34, 0
	s_mov_b32 s35, 0
.LBB60_15:                              ;   Parent Loop BB60_12 Depth=1
                                        ; =>  This Inner Loop Header: Depth=2
	s_ashr_i32 s27, s26, 31
	s_lshl_b64 s[28:29], s[26:27], 2
	s_add_u32 s28, s18, s28
	s_addc_u32 s29, s19, s29
	s_load_dword s27, s[28:29], 0x0
	s_lshl_b32 s28, s35, 2
	v_mov_b32_e32 v2, s28
	ds_read_b32 v2, v2 offset:256
	s_mov_b64 s[28:29], -1
	s_waitcnt lgkmcnt(0)
	s_sub_i32 s39, s27, s13
                                        ; implicit-def: $sgpr27
                                        ; implicit-def: $sgpr38
                                        ; implicit-def: $sgpr37
	v_cmp_ge_i32_e32 vcc, s39, v2
	v_readfirstlane_b32 s36, v2
	s_cbranch_vccz .LBB60_21
; %bb.16:                               ;   in Loop: Header=BB60_15 Depth=2
	s_cmp_le_i32 s39, s36
                                        ; implicit-def: $sgpr27
                                        ; implicit-def: $sgpr38
                                        ; implicit-def: $sgpr37
	s_cbranch_scc0 .LBB60_18
; %bb.17:                               ;   in Loop: Header=BB60_15 Depth=2
	s_add_i32 s27, s35, s31
	s_lshl_b32 s27, s27, 2
	s_lshl_b32 s28, s34, 2
	v_mov_b32_e32 v3, s27
	s_lshl_b32 s27, s26, 2
	v_mov_b32_e32 v2, s28
	v_mov_b32_e32 v4, s27
	ds_write2_b32 v2, v4, v3 offset1:32
	s_add_i32 s37, s35, 1
	s_add_i32 s38, s26, 1
	;; [unrolled: 1-line block ×3, first 2 shown]
	s_mov_b64 s[28:29], 0
.LBB60_18:                              ;   in Loop: Header=BB60_15 Depth=2
	s_andn2_b64 vcc, exec, s[28:29]
	s_cbranch_vccnz .LBB60_20
; %bb.19:                               ;   in Loop: Header=BB60_15 Depth=2
	s_add_i32 s37, s35, 1
	s_mov_b32 s27, s34
	s_mov_b32 s38, s26
.LBB60_20:                              ;   in Loop: Header=BB60_15 Depth=2
	s_mov_b64 s[28:29], 0
.LBB60_21:                              ;   in Loop: Header=BB60_15 Depth=2
	s_andn2_b64 vcc, exec, s[28:29]
	s_cbranch_vccnz .LBB60_23
; %bb.22:                               ;   in Loop: Header=BB60_15 Depth=2
	s_add_i32 s38, s26, 1
	s_mov_b32 s37, s35
	s_mov_b32 s27, s34
.LBB60_23:                              ;   in Loop: Header=BB60_15 Depth=2
	s_cmp_le_i32 s38, s25
	s_cselect_b64 s[28:29], -1, 0
	s_cmp_le_i32 s36, s24
	s_cselect_b64 s[34:35], -1, 0
	s_and_b64 s[28:29], s[28:29], s[34:35]
	s_and_b64 vcc, exec, s[28:29]
	s_cbranch_vccz .LBB60_25
; %bb.24:                               ;   in Loop: Header=BB60_15 Depth=2
	s_mov_b32 s34, s27
	s_mov_b32 s26, s38
	;; [unrolled: 1-line block ×3, first 2 shown]
	s_branch .LBB60_15
.LBB60_25:                              ;   in Loop: Header=BB60_12 Depth=1
	s_add_u32 s2, s10, s2
	s_addc_u32 s3, s11, s3
	s_waitcnt lgkmcnt(0)
.LBB60_26:                              ;   Parent Loop BB60_12 Depth=1
                                        ; =>  This Inner Loop Header: Depth=2
	global_load_dword v2, v28, s[2:3] glc
	s_waitcnt vmcnt(0)
	v_cmp_eq_u32_e32 vcc, 0, v2
	s_cbranch_vccnz .LBB60_26
; %bb.27:                               ;   in Loop: Header=BB60_12 Depth=1
	v_lshl_add_u32 v2, s25, 2, v27
	v_ashrrev_i32_e32 v3, 31, v2
	v_lshlrev_b64 v[2:3], 4, v[2:3]
	v_mov_b32_e32 v4, s21
	v_add_co_u32_e32 v2, vcc, s20, v2
	v_addc_co_u32_e32 v3, vcc, v4, v3, vcc
	buffer_wbinvl1_vol
	global_load_dwordx4 v[8:11], v[2:3], off
	v_mov_b32_e32 v4, 0
	v_mov_b32_e32 v2, 0
	;; [unrolled: 1-line block ×3, first 2 shown]
	s_cmp_lt_i32 s27, 2
	v_mov_b32_e32 v3, 0
	s_waitcnt vmcnt(0)
	ds_write2_b64 v23, v[8:9], v[10:11] offset1:1
	s_waitcnt lgkmcnt(0)
	s_cbranch_scc1 .LBB60_35
; %bb.28:                               ;   in Loop: Header=BB60_12 Depth=1
	v_mov_b32_e32 v8, 0
	v_mov_b32_e32 v10, 0
	s_add_i32 s24, s27, -1
	v_mov_b32_e32 v9, 0
	v_mov_b32_e32 v11, 0
	s_mov_b32 s25, 0
.LBB60_29:                              ;   Parent Loop BB60_12 Depth=1
                                        ; =>  This Inner Loop Header: Depth=2
	v_mov_b32_e32 v2, s25
	s_waitcnt lgkmcnt(0)
	ds_read2_b32 v[12:13], v2 offset1:32
	s_mov_b64 s[2:3], -1
	s_and_b64 vcc, exec, s[4:5]
                                        ; implicit-def: $vgpr4_vgpr5
	s_cbranch_vccz .LBB60_32
; %bb.30:                               ;   in Loop: Header=BB60_29 Depth=2
	s_waitcnt lgkmcnt(0)
	v_add_u32_e32 v34, v12, v0
	v_ashrrev_i32_e32 v35, 31, v34
	v_lshlrev_b64 v[2:3], 4, v[34:35]
	v_add_u32_e32 v37, v13, v1
	v_mov_b32_e32 v4, s21
	v_add_co_u32_e32 v35, vcc, s20, v2
	v_ashrrev_i32_e32 v38, 31, v37
	v_addc_co_u32_e32 v36, vcc, v4, v3, vcc
	v_lshlrev_b64 v[2:3], 4, v[37:38]
	v_add_u32_e32 v34, 2, v34
	v_add_co_u32_e32 v38, vcc, s20, v2
	v_addc_co_u32_e32 v39, vcc, v4, v3, vcc
	global_load_dwordx4 v[2:5], v[35:36], off
	global_load_dwordx4 v[30:33], v[38:39], off
	v_ashrrev_i32_e32 v35, 31, v34
	v_lshlrev_b64 v[34:35], 4, v[34:35]
	v_mov_b32_e32 v36, s21
	v_add_co_u32_e32 v42, vcc, s20, v34
	v_add_u32_e32 v34, 2, v37
	v_addc_co_u32_e32 v43, vcc, v36, v35, vcc
	v_ashrrev_i32_e32 v35, 31, v34
	v_lshlrev_b64 v[34:35], 4, v[34:35]
	v_add_co_u32_e32 v44, vcc, s20, v34
	v_addc_co_u32_e32 v45, vcc, v36, v35, vcc
	global_load_dwordx4 v[34:37], v[42:43], off
	global_load_dwordx4 v[38:41], v[44:45], off
	s_waitcnt vmcnt(2)
	v_fma_f64 v[42:43], v[2:3], v[30:31], v[10:11]
	v_fma_f64 v[30:31], v[4:5], v[30:31], v[8:9]
	;; [unrolled: 1-line block ×3, first 2 shown]
	v_fma_f64 v[2:3], v[2:3], -v[32:33], v[30:31]
	s_waitcnt vmcnt(0)
	v_fma_f64 v[4:5], v[34:35], v[38:39], v[4:5]
	v_fma_f64 v[30:31], v[36:37], v[38:39], v[2:3]
	;; [unrolled: 1-line block ×3, first 2 shown]
	v_fma_f64 v[4:5], v[34:35], -v[40:41], v[30:31]
	s_cbranch_execz .LBB60_33
.LBB60_31:                              ;   in Loop: Header=BB60_29 Depth=2
	s_add_i32 s24, s24, -1
	s_add_i32 s25, s25, 4
	s_cmp_eq_u32 s24, 0
	s_cbranch_scc0 .LBB60_34
	s_branch .LBB60_35
.LBB60_32:                              ;   in Loop: Header=BB60_29 Depth=2
	s_andn2_b64 vcc, exec, s[2:3]
	s_cbranch_vccnz .LBB60_31
.LBB60_33:                              ;   in Loop: Header=BB60_29 Depth=2
	s_waitcnt lgkmcnt(0)
	v_add_u32_e32 v2, v12, v20
	v_ashrrev_i32_e32 v3, 31, v2
	v_lshlrev_b64 v[2:3], 4, v[2:3]
	v_mov_b32_e32 v4, s21
	v_add_co_u32_e32 v42, vcc, s20, v2
	v_add_u32_e32 v2, v13, v18
	v_addc_co_u32_e32 v43, vcc, v4, v3, vcc
	v_ashrrev_i32_e32 v3, 31, v2
	v_lshlrev_b64 v[2:3], 4, v[2:3]
	v_add_co_u32_e32 v12, vcc, s20, v2
	v_addc_co_u32_e32 v13, vcc, v4, v3, vcc
	global_load_dwordx4 v[2:5], v[12:13], off
	global_load_dwordx4 v[30:33], v[42:43], off
	global_load_dwordx4 v[34:37], v[42:43], off offset:16
	global_load_dwordx4 v[38:41], v[12:13], off offset:16
	s_waitcnt vmcnt(2)
	v_fma_f64 v[10:11], v[30:31], v[2:3], v[10:11]
	v_fma_f64 v[2:3], v[32:33], v[2:3], v[8:9]
	;; [unrolled: 1-line block ×3, first 2 shown]
	v_fma_f64 v[2:3], v[30:31], -v[4:5], v[2:3]
	s_waitcnt vmcnt(0)
	v_fma_f64 v[4:5], v[34:35], v[38:39], v[8:9]
	v_fma_f64 v[8:9], v[36:37], v[38:39], v[2:3]
	v_fma_f64 v[2:3], v[36:37], v[40:41], v[4:5]
	v_fma_f64 v[4:5], v[34:35], -v[40:41], v[8:9]
	s_add_i32 s24, s24, -1
	s_add_i32 s25, s25, 4
	s_cmp_eq_u32 s24, 0
	s_cbranch_scc1 .LBB60_35
.LBB60_34:                              ;   in Loop: Header=BB60_29 Depth=2
	v_mov_b32_e32 v9, v5
	v_mov_b32_e32 v11, v3
	;; [unrolled: 1-line block ×4, first 2 shown]
	s_branch .LBB60_29
.LBB60_35:                              ;   in Loop: Header=BB60_12 Depth=1
	ds_write_b128 v25, v[2:5]
	s_waitcnt lgkmcnt(0)
	ds_read_b128 v[8:11], v28 offset:384
	ds_read_b128 v[2:5], v21
	s_waitcnt lgkmcnt(1)
	v_cmp_neq_f64_e32 vcc, 0, v[8:9]
	v_cmp_neq_f64_e64 s[2:3], 0, v[10:11]
	s_or_b64 vcc, vcc, s[2:3]
	v_cndmask_b32_e32 v9, v29, v9, vcc
	s_nor_b64 s[24:25], vcc, s[0:1]
	v_cndmask_b32_e32 v8, 0, v8, vcc
	v_cndmask_b32_e32 v11, 0, v11, vcc
	;; [unrolled: 1-line block ×3, first 2 shown]
	s_and_saveexec_b64 s[2:3], s[24:25]
	s_cbranch_execz .LBB60_39
; %bb.36:                               ;   in Loop: Header=BB60_12 Depth=1
	v_mbcnt_lo_u32_b32 v8, exec_lo, 0
	v_mbcnt_hi_u32_b32 v8, exec_hi, v8
	v_cmp_eq_u32_e32 vcc, 0, v8
	s_and_saveexec_b64 s[24:25], vcc
	s_cbranch_execz .LBB60_38
; %bb.37:                               ;   in Loop: Header=BB60_12 Depth=1
	v_mov_b32_e32 v8, s23
	global_atomic_smin v28, v8, s[14:15]
.LBB60_38:                              ;   in Loop: Header=BB60_12 Depth=1
	s_or_b64 exec, exec, s[24:25]
	v_mov_b32_e32 v10, 0
	v_mov_b32_e32 v8, 0
	;; [unrolled: 1-line block ×4, first 2 shown]
.LBB60_39:                              ;   in Loop: Header=BB60_12 Depth=1
	s_or_b64 exec, exec, s[2:3]
	v_mul_f64 v[12:13], v[10:11], v[10:11]
	v_fma_f64 v[12:13], v[8:9], v[8:9], v[12:13]
	v_div_scale_f64 v[30:31], s[2:3], v[12:13], v[12:13], 1.0
	v_rcp_f64_e32 v[32:33], v[30:31]
	v_fma_f64 v[34:35], -v[30:31], v[32:33], 1.0
	v_fma_f64 v[32:33], v[32:33], v[34:35], v[32:33]
	v_div_scale_f64 v[34:35], vcc, 1.0, v[12:13], 1.0
	v_fma_f64 v[36:37], -v[30:31], v[32:33], 1.0
	v_fma_f64 v[36:37], v[32:33], v[36:37], v[32:33]
	v_mul_f64 v[38:39], v[34:35], v[36:37]
	v_fma_f64 v[34:35], -v[30:31], v[38:39], v[34:35]
	ds_read_b128 v[30:33], v24
	s_waitcnt lgkmcnt(0)
	v_add_f64 v[4:5], v[4:5], -v[32:33]
	v_add_f64 v[2:3], v[2:3], -v[30:31]
	v_div_fmas_f64 v[32:33], v[34:35], v[36:37], v[38:39]
	v_mul_f64 v[30:31], v[10:11], v[4:5]
	v_mul_f64 v[10:11], v[10:11], -v[2:3]
	v_fma_f64 v[2:3], v[2:3], v[8:9], v[30:31]
	v_fma_f64 v[4:5], v[4:5], v[8:9], v[10:11]
	v_div_fixup_f64 v[12:13], v[32:33], v[12:13], 1.0
	v_mul_f64 v[2:3], v[12:13], v[2:3]
	v_mul_f64 v[4:5], v[12:13], v[4:5]
	ds_write_b128 v21, v[2:5]
	s_waitcnt lgkmcnt(0)
	ds_read_b128 v[8:11], v26
	ds_read_b128 v[30:33], v14
	s_waitcnt lgkmcnt(0)
	v_fma_f64 v[12:13], v[2:3], v[8:9], v[30:31]
	v_fma_f64 v[30:31], v[4:5], v[8:9], v[32:33]
	;; [unrolled: 1-line block ×3, first 2 shown]
	v_fma_f64 v[10:11], v[2:3], -v[10:11], v[30:31]
	ds_write_b128 v14, v[8:11]
	s_waitcnt lgkmcnt(0)
	ds_read_b128 v[8:11], v28 offset:448
	ds_read_b128 v[2:5], v21 offset:16
	s_waitcnt lgkmcnt(1)
	v_cmp_neq_f64_e32 vcc, 0, v[8:9]
	v_cmp_neq_f64_e64 s[2:3], 0, v[10:11]
	s_or_b64 vcc, vcc, s[2:3]
	v_cndmask_b32_e32 v9, v29, v9, vcc
	s_nor_b64 s[24:25], vcc, s[0:1]
	v_cndmask_b32_e32 v8, 0, v8, vcc
	v_cndmask_b32_e32 v11, 0, v11, vcc
	;; [unrolled: 1-line block ×3, first 2 shown]
	s_and_saveexec_b64 s[2:3], s[24:25]
	s_cbranch_execz .LBB60_11
; %bb.40:                               ;   in Loop: Header=BB60_12 Depth=1
	v_mbcnt_lo_u32_b32 v8, exec_lo, 0
	v_mbcnt_hi_u32_b32 v8, exec_hi, v8
	v_cmp_eq_u32_e32 vcc, 0, v8
	s_and_saveexec_b64 s[24:25], vcc
	s_cbranch_execz .LBB60_10
; %bb.41:                               ;   in Loop: Header=BB60_12 Depth=1
	v_mov_b32_e32 v8, s23
	global_atomic_smin v28, v8, s[14:15]
	s_branch .LBB60_10
.LBB60_42:                              ;   in Loop: Header=BB60_12 Depth=1
                                        ; implicit-def: $sgpr22
	s_cbranch_execz .LBB60_12
.LBB60_43:
	s_waitcnt lgkmcnt(0)
	s_cmp_eq_u32 s33, 0
	s_cselect_b64 vcc, -1, 0
	v_cndmask_b32_e32 v2, v19, v17, vcc
	v_lshl_add_u32 v2, s30, 2, v2
	v_ashrrev_i32_e32 v3, 31, v2
	v_lshlrev_b64 v[2:3], 4, v[2:3]
	v_mov_b32_e32 v4, s21
	v_add_co_u32_e32 v2, vcc, s20, v2
	v_addc_co_u32_e32 v3, vcc, v4, v3, vcc
	global_load_dwordx4 v[4:7], v[2:3], off
	v_mov_b32_e32 v8, 0x240
	v_mad_u32_u24 v11, v1, 48, v8
	v_cmp_ne_u32_e64 s[2:3], 0, v1
	v_lshl_add_u32 v10, v0, 4, v11
	v_cmp_eq_u32_e32 vcc, 0, v1
	s_waitcnt vmcnt(0)
	ds_write2_b64 v10, v[4:5], v[6:7] offset1:1
	s_waitcnt lgkmcnt(0)
	s_and_saveexec_b64 s[0:1], vcc
	s_cbranch_execz .LBB60_50
; %bb.44:
	v_mov_b32_e32 v8, 0
	ds_read_b128 v[4:7], v8 offset:672
	ds_read_b128 v[17:20], v8 offset:576
	s_waitcnt lgkmcnt(0)
	v_add_f64 v[4:5], v[17:18], -v[4:5]
	v_add_f64 v[8:9], v[19:20], -v[6:7]
	v_cmp_gt_f64_e32 vcc, 0, v[4:5]
	v_xor_b32_e32 v6, 0x80000000, v5
	v_xor_b32_e32 v7, 0x80000000, v9
	v_cndmask_b32_e32 v5, v5, v6, vcc
	v_cmp_gt_f64_e32 vcc, 0, v[8:9]
	v_mov_b32_e32 v6, v8
	v_cndmask_b32_e32 v7, v9, v7, vcc
	v_cmp_ngt_f64_e32 vcc, v[4:5], v[6:7]
	s_cbranch_vccz .LBB60_47
; %bb.45:
	v_cmp_eq_f64_e32 vcc, 0, v[8:9]
	s_mov_b64 s[4:5], 0
	s_cbranch_vccnz .LBB60_76
; %bb.46:
	v_div_scale_f64 v[8:9], s[8:9], v[6:7], v[6:7], v[4:5]
	s_mov_b32 s8, 0
	s_brev_b32 s9, 8
	v_rcp_f64_e32 v[12:13], v[8:9]
	v_fma_f64 v[17:18], -v[8:9], v[12:13], 1.0
	v_fma_f64 v[12:13], v[12:13], v[17:18], v[12:13]
	v_div_scale_f64 v[17:18], vcc, v[4:5], v[6:7], v[4:5]
	v_fma_f64 v[19:20], -v[8:9], v[12:13], 1.0
	v_fma_f64 v[12:13], v[12:13], v[19:20], v[12:13]
	v_mul_f64 v[19:20], v[17:18], v[12:13]
	v_fma_f64 v[8:9], -v[8:9], v[19:20], v[17:18]
	v_div_fmas_f64 v[8:9], v[8:9], v[12:13], v[19:20]
	v_div_fixup_f64 v[8:9], v[8:9], v[6:7], v[4:5]
	v_fma_f64 v[8:9], v[8:9], v[8:9], 1.0
	v_cmp_gt_f64_e32 vcc, s[8:9], v[8:9]
	s_and_b64 s[8:9], vcc, exec
	s_cselect_b32 s8, 0x100, 0
	v_ldexp_f64 v[8:9], v[8:9], s8
	s_cselect_b32 s8, 0xffffff80, 0
	v_rsq_f64_e32 v[12:13], v[8:9]
	v_mul_f64 v[17:18], v[8:9], v[12:13]
	v_mul_f64 v[12:13], v[12:13], 0.5
	v_fma_f64 v[19:20], -v[12:13], v[17:18], 0.5
	v_fma_f64 v[17:18], v[17:18], v[19:20], v[17:18]
	v_fma_f64 v[12:13], v[12:13], v[19:20], v[12:13]
	v_fma_f64 v[19:20], -v[17:18], v[17:18], v[8:9]
	v_fma_f64 v[17:18], v[19:20], v[12:13], v[17:18]
	v_fma_f64 v[19:20], -v[17:18], v[17:18], v[8:9]
	v_fma_f64 v[12:13], v[19:20], v[12:13], v[17:18]
	v_mov_b32_e32 v17, 0x260
	v_cmp_class_f64_e32 vcc, v[8:9], v17
	v_ldexp_f64 v[12:13], v[12:13], s8
	v_cndmask_b32_e32 v9, v13, v9, vcc
	v_cndmask_b32_e32 v8, v12, v8, vcc
	v_mul_f64 v[8:9], v[6:7], v[8:9]
	s_andn2_b64 vcc, exec, s[4:5]
	s_cbranch_vccz .LBB60_48
	s_branch .LBB60_49
.LBB60_47:
                                        ; implicit-def: $vgpr8_vgpr9
.LBB60_48:
	v_div_scale_f64 v[8:9], s[4:5], v[4:5], v[4:5], v[6:7]
	s_mov_b32 s4, 0
	s_brev_b32 s5, 8
	v_rcp_f64_e32 v[12:13], v[8:9]
	v_fma_f64 v[17:18], -v[8:9], v[12:13], 1.0
	v_fma_f64 v[12:13], v[12:13], v[17:18], v[12:13]
	v_div_scale_f64 v[17:18], vcc, v[6:7], v[4:5], v[6:7]
	v_fma_f64 v[19:20], -v[8:9], v[12:13], 1.0
	v_fma_f64 v[12:13], v[12:13], v[19:20], v[12:13]
	v_mul_f64 v[19:20], v[17:18], v[12:13]
	v_fma_f64 v[8:9], -v[8:9], v[19:20], v[17:18]
	v_div_fmas_f64 v[8:9], v[8:9], v[12:13], v[19:20]
	v_div_fixup_f64 v[6:7], v[8:9], v[4:5], v[6:7]
	v_fma_f64 v[6:7], v[6:7], v[6:7], 1.0
	v_cmp_gt_f64_e32 vcc, s[4:5], v[6:7]
	s_and_b64 s[4:5], vcc, exec
	s_cselect_b32 s4, 0x100, 0
	v_ldexp_f64 v[6:7], v[6:7], s4
	s_cselect_b32 s4, 0xffffff80, 0
	v_rsq_f64_e32 v[8:9], v[6:7]
	v_mul_f64 v[12:13], v[6:7], v[8:9]
	v_mul_f64 v[8:9], v[8:9], 0.5
	v_fma_f64 v[17:18], -v[8:9], v[12:13], 0.5
	v_fma_f64 v[12:13], v[12:13], v[17:18], v[12:13]
	v_fma_f64 v[8:9], v[8:9], v[17:18], v[8:9]
	v_fma_f64 v[17:18], -v[12:13], v[12:13], v[6:7]
	v_fma_f64 v[12:13], v[17:18], v[8:9], v[12:13]
	v_fma_f64 v[17:18], -v[12:13], v[12:13], v[6:7]
	v_fma_f64 v[8:9], v[17:18], v[8:9], v[12:13]
	v_mov_b32_e32 v12, 0x260
	v_cmp_class_f64_e32 vcc, v[6:7], v12
	v_ldexp_f64 v[8:9], v[8:9], s4
	v_cndmask_b32_e32 v7, v9, v7, vcc
	v_cndmask_b32_e32 v6, v8, v6, vcc
	v_mul_f64 v[8:9], v[4:5], v[6:7]
.LBB60_49:
	s_mov_b32 s4, 0
	s_brev_b32 s5, 8
	v_cmp_gt_f64_e32 vcc, s[4:5], v[8:9]
	s_and_b64 s[4:5], vcc, exec
	s_cselect_b32 s4, 0x100, 0
	v_ldexp_f64 v[4:5], v[8:9], s4
	s_cselect_b32 s4, 0xffffff80, 0
	v_rsq_f64_e32 v[6:7], v[4:5]
	v_mul_f64 v[8:9], v[4:5], v[6:7]
	v_mul_f64 v[6:7], v[6:7], 0.5
	v_fma_f64 v[12:13], -v[6:7], v[8:9], 0.5
	v_fma_f64 v[8:9], v[8:9], v[12:13], v[8:9]
	v_fma_f64 v[6:7], v[6:7], v[12:13], v[6:7]
	v_fma_f64 v[12:13], -v[8:9], v[8:9], v[4:5]
	v_fma_f64 v[8:9], v[12:13], v[6:7], v[8:9]
	v_fma_f64 v[12:13], -v[8:9], v[8:9], v[4:5]
	v_fma_f64 v[6:7], v[12:13], v[6:7], v[8:9]
	v_mov_b32_e32 v9, 0x260
	v_cmp_class_f64_e32 vcc, v[4:5], v9
	v_ldexp_f64 v[7:8], v[6:7], s4
	v_mov_b32_e32 v6, 0
	v_cndmask_b32_e32 v5, v8, v5, vcc
	v_cndmask_b32_e32 v4, v7, v4, vcc
	v_mov_b32_e32 v7, v6
	ds_write_b128 v6, v[4:7] offset:576
.LBB60_50:
	s_or_b64 exec, exec, s[0:1]
	v_mov_b32_e32 v4, 0
	s_waitcnt lgkmcnt(0)
	ds_read_b128 v[4:7], v4 offset:576
	v_cmp_ne_u32_e64 s[0:1], 0, v15
	v_mov_b32_e32 v8, 0x3ff00000
	s_add_i32 s16, s12, s13
	s_waitcnt lgkmcnt(0)
	v_cmp_neq_f64_e32 vcc, 0, v[4:5]
	v_cmp_neq_f64_e64 s[4:5], 0, v[6:7]
	s_or_b64 vcc, vcc, s[4:5]
	v_cndmask_b32_e32 v5, v8, v5, vcc
	s_nor_b64 s[8:9], vcc, s[0:1]
	v_cndmask_b32_e32 v4, 0, v4, vcc
	v_cndmask_b32_e32 v7, 0, v7, vcc
	;; [unrolled: 1-line block ×3, first 2 shown]
	s_and_saveexec_b64 s[4:5], s[8:9]
	s_cbranch_execz .LBB60_54
; %bb.51:
	v_mbcnt_lo_u32_b32 v4, exec_lo, 0
	v_mbcnt_hi_u32_b32 v4, exec_hi, v4
	v_cmp_eq_u32_e32 vcc, 0, v4
	s_and_saveexec_b64 s[8:9], vcc
	s_cbranch_execz .LBB60_53
; %bb.52:
	v_mov_b32_e32 v4, 0
	v_mov_b32_e32 v5, s16
	global_atomic_smin v4, v5, s[14:15]
.LBB60_53:
	s_or_b64 exec, exec, s[8:9]
	v_mov_b32_e32 v6, 0
	v_mov_b32_e32 v4, 0
	;; [unrolled: 1-line block ×4, first 2 shown]
.LBB60_54:
	s_or_b64 exec, exec, s[4:5]
	v_mov_b32_e32 v8, 0x240
	v_mad_u32_u24 v12, v0, 48, v8
	s_and_saveexec_b64 s[4:5], s[2:3]
	s_cbranch_execz .LBB60_56
; %bb.55:
	v_mul_f64 v[8:9], v[6:7], v[6:7]
	v_fma_f64 v[8:9], v[4:5], v[4:5], v[8:9]
	v_div_scale_f64 v[17:18], s[2:3], v[8:9], v[8:9], 1.0
	v_rcp_f64_e32 v[19:20], v[17:18]
	v_fma_f64 v[21:22], -v[17:18], v[19:20], 1.0
	v_fma_f64 v[19:20], v[19:20], v[21:22], v[19:20]
	v_div_scale_f64 v[21:22], vcc, 1.0, v[8:9], 1.0
	v_fma_f64 v[23:24], -v[17:18], v[19:20], 1.0
	v_fma_f64 v[25:26], v[19:20], v[23:24], v[19:20]
	v_mul_f64 v[27:28], v[21:22], v[25:26]
	v_fma_f64 v[29:30], -v[17:18], v[27:28], v[21:22]
	ds_read_b128 v[17:20], v11
	ds_read_b128 v[21:24], v16
	s_waitcnt lgkmcnt(0)
	v_add_f64 v[19:20], v[19:20], -v[23:24]
	v_add_f64 v[17:18], v[17:18], -v[21:22]
	v_div_fmas_f64 v[23:24], v[29:30], v[25:26], v[27:28]
	v_mul_f64 v[21:22], v[6:7], v[19:20]
	v_mul_f64 v[6:7], v[6:7], -v[17:18]
	v_fma_f64 v[17:18], v[17:18], v[4:5], v[21:22]
	v_fma_f64 v[6:7], v[19:20], v[4:5], v[6:7]
	v_div_fixup_f64 v[8:9], v[23:24], v[8:9], 1.0
	v_mul_f64 v[4:5], v[8:9], v[17:18]
	v_mul_f64 v[6:7], v[8:9], v[6:7]
	ds_write_b128 v11, v[4:7]
	s_waitcnt lgkmcnt(0)
	ds_read_b128 v[17:20], v12
	ds_read_b128 v[21:24], v14
	s_waitcnt lgkmcnt(0)
	v_fma_f64 v[8:9], v[4:5], v[17:18], v[21:22]
	v_fma_f64 v[17:18], v[6:7], v[17:18], v[23:24]
	;; [unrolled: 1-line block ×3, first 2 shown]
	v_fma_f64 v[8:9], v[4:5], -v[19:20], v[17:18]
	ds_write_b128 v14, v[6:9]
.LBB60_56:
	s_or_b64 exec, exec, s[4:5]
	v_cmp_eq_u32_e32 vcc, 1, v1
	s_waitcnt lgkmcnt(0)
	s_and_saveexec_b64 s[2:3], vcc
	s_cbranch_execz .LBB60_63
; %bb.57:
	v_mov_b32_e32 v8, 0
	ds_read_b128 v[4:7], v8 offset:736
	ds_read_b128 v[17:20], v8 offset:640
	s_waitcnt lgkmcnt(0)
	v_add_f64 v[4:5], v[17:18], -v[4:5]
	v_add_f64 v[8:9], v[19:20], -v[6:7]
	v_cmp_gt_f64_e32 vcc, 0, v[4:5]
	v_xor_b32_e32 v6, 0x80000000, v5
	v_xor_b32_e32 v7, 0x80000000, v9
	v_cndmask_b32_e32 v5, v5, v6, vcc
	v_cmp_gt_f64_e32 vcc, 0, v[8:9]
	v_mov_b32_e32 v6, v8
	v_cndmask_b32_e32 v7, v9, v7, vcc
	v_cmp_gt_f64_e32 vcc, v[4:5], v[6:7]
	s_cbranch_vccnz .LBB60_60
; %bb.58:
	v_cmp_eq_f64_e32 vcc, 0, v[8:9]
	s_mov_b64 s[4:5], 0
	s_cbranch_vccnz .LBB60_77
; %bb.59:
	v_div_scale_f64 v[8:9], s[8:9], v[6:7], v[6:7], v[4:5]
	s_mov_b32 s8, 0
	s_brev_b32 s9, 8
	v_mov_b32_e32 v13, 0x260
	v_rcp_f64_e32 v[17:18], v[8:9]
	v_fma_f64 v[19:20], -v[8:9], v[17:18], 1.0
	v_fma_f64 v[17:18], v[17:18], v[19:20], v[17:18]
	v_div_scale_f64 v[19:20], vcc, v[4:5], v[6:7], v[4:5]
	v_fma_f64 v[21:22], -v[8:9], v[17:18], 1.0
	v_fma_f64 v[17:18], v[17:18], v[21:22], v[17:18]
	v_mul_f64 v[21:22], v[19:20], v[17:18]
	v_fma_f64 v[8:9], -v[8:9], v[21:22], v[19:20]
	v_div_fmas_f64 v[8:9], v[8:9], v[17:18], v[21:22]
	v_div_fixup_f64 v[8:9], v[8:9], v[6:7], v[4:5]
	v_fma_f64 v[8:9], v[8:9], v[8:9], 1.0
	v_cmp_gt_f64_e32 vcc, s[8:9], v[8:9]
	s_and_b64 s[8:9], vcc, exec
	s_cselect_b32 s8, 0x100, 0
	v_ldexp_f64 v[8:9], v[8:9], s8
	s_cselect_b32 s8, 0xffffff80, 0
	v_rsq_f64_e32 v[17:18], v[8:9]
	v_cmp_class_f64_e32 vcc, v[8:9], v13
	v_mul_f64 v[19:20], v[8:9], v[17:18]
	v_mul_f64 v[17:18], v[17:18], 0.5
	v_fma_f64 v[21:22], -v[17:18], v[19:20], 0.5
	v_fma_f64 v[19:20], v[19:20], v[21:22], v[19:20]
	v_fma_f64 v[17:18], v[17:18], v[21:22], v[17:18]
	v_fma_f64 v[21:22], -v[19:20], v[19:20], v[8:9]
	v_fma_f64 v[19:20], v[21:22], v[17:18], v[19:20]
	v_fma_f64 v[21:22], -v[19:20], v[19:20], v[8:9]
	v_fma_f64 v[17:18], v[21:22], v[17:18], v[19:20]
	v_ldexp_f64 v[17:18], v[17:18], s8
	v_cndmask_b32_e32 v9, v18, v9, vcc
	v_cndmask_b32_e32 v8, v17, v8, vcc
	v_mul_f64 v[8:9], v[6:7], v[8:9]
	s_andn2_b64 vcc, exec, s[4:5]
	s_cbranch_vccz .LBB60_61
	s_branch .LBB60_62
.LBB60_60:
                                        ; implicit-def: $vgpr8_vgpr9
.LBB60_61:
	v_div_scale_f64 v[8:9], s[4:5], v[4:5], v[4:5], v[6:7]
	s_mov_b32 s4, 0
	s_brev_b32 s5, 8
	v_mov_b32_e32 v13, 0x260
	v_rcp_f64_e32 v[17:18], v[8:9]
	v_fma_f64 v[19:20], -v[8:9], v[17:18], 1.0
	v_fma_f64 v[17:18], v[17:18], v[19:20], v[17:18]
	v_div_scale_f64 v[19:20], vcc, v[6:7], v[4:5], v[6:7]
	v_fma_f64 v[21:22], -v[8:9], v[17:18], 1.0
	v_fma_f64 v[17:18], v[17:18], v[21:22], v[17:18]
	v_mul_f64 v[21:22], v[19:20], v[17:18]
	v_fma_f64 v[8:9], -v[8:9], v[21:22], v[19:20]
	v_div_fmas_f64 v[8:9], v[8:9], v[17:18], v[21:22]
	v_div_fixup_f64 v[6:7], v[8:9], v[4:5], v[6:7]
	v_fma_f64 v[6:7], v[6:7], v[6:7], 1.0
	v_cmp_gt_f64_e32 vcc, s[4:5], v[6:7]
	s_and_b64 s[4:5], vcc, exec
	s_cselect_b32 s4, 0x100, 0
	v_ldexp_f64 v[6:7], v[6:7], s4
	s_cselect_b32 s4, 0xffffff80, 0
	v_rsq_f64_e32 v[8:9], v[6:7]
	v_cmp_class_f64_e32 vcc, v[6:7], v13
	v_mul_f64 v[17:18], v[6:7], v[8:9]
	v_mul_f64 v[8:9], v[8:9], 0.5
	v_fma_f64 v[19:20], -v[8:9], v[17:18], 0.5
	v_fma_f64 v[17:18], v[17:18], v[19:20], v[17:18]
	v_fma_f64 v[8:9], v[8:9], v[19:20], v[8:9]
	v_fma_f64 v[19:20], -v[17:18], v[17:18], v[6:7]
	v_fma_f64 v[17:18], v[19:20], v[8:9], v[17:18]
	v_fma_f64 v[19:20], -v[17:18], v[17:18], v[6:7]
	v_fma_f64 v[8:9], v[19:20], v[8:9], v[17:18]
	v_ldexp_f64 v[8:9], v[8:9], s4
	v_cndmask_b32_e32 v7, v9, v7, vcc
	v_cndmask_b32_e32 v6, v8, v6, vcc
	v_mul_f64 v[8:9], v[4:5], v[6:7]
.LBB60_62:
	s_mov_b32 s4, 0
	s_brev_b32 s5, 8
	v_cmp_gt_f64_e32 vcc, s[4:5], v[8:9]
	s_and_b64 s[4:5], vcc, exec
	s_cselect_b32 s4, 0x100, 0
	v_ldexp_f64 v[4:5], v[8:9], s4
	s_cselect_b32 s4, 0xffffff80, 0
	v_rsq_f64_e32 v[6:7], v[4:5]
	v_mul_f64 v[8:9], v[4:5], v[6:7]
	v_mul_f64 v[6:7], v[6:7], 0.5
	v_fma_f64 v[17:18], -v[6:7], v[8:9], 0.5
	v_fma_f64 v[8:9], v[8:9], v[17:18], v[8:9]
	v_fma_f64 v[6:7], v[6:7], v[17:18], v[6:7]
	v_fma_f64 v[17:18], -v[8:9], v[8:9], v[4:5]
	v_fma_f64 v[8:9], v[17:18], v[6:7], v[8:9]
	v_fma_f64 v[17:18], -v[8:9], v[8:9], v[4:5]
	v_fma_f64 v[6:7], v[17:18], v[6:7], v[8:9]
	v_mov_b32_e32 v9, 0x260
	v_cmp_class_f64_e32 vcc, v[4:5], v9
	v_ldexp_f64 v[7:8], v[6:7], s4
	v_mov_b32_e32 v6, 0
	v_cndmask_b32_e32 v5, v8, v5, vcc
	v_cndmask_b32_e32 v4, v7, v4, vcc
	v_mov_b32_e32 v7, v6
	ds_write_b128 v6, v[4:7] offset:640
.LBB60_63:
	s_or_b64 exec, exec, s[2:3]
	v_mov_b32_e32 v4, 0
	s_waitcnt lgkmcnt(0)
	ds_read_b128 v[4:7], v4 offset:640
	v_mov_b32_e32 v8, 0x3ff00000
	s_waitcnt lgkmcnt(0)
	v_cmp_neq_f64_e32 vcc, 0, v[4:5]
	v_cmp_neq_f64_e64 s[2:3], 0, v[6:7]
	s_or_b64 vcc, vcc, s[2:3]
	v_cndmask_b32_e32 v5, v8, v5, vcc
	s_nor_b64 s[2:3], vcc, s[0:1]
	v_cndmask_b32_e32 v4, 0, v4, vcc
	v_cndmask_b32_e32 v7, 0, v7, vcc
	;; [unrolled: 1-line block ×3, first 2 shown]
	s_and_saveexec_b64 s[0:1], s[2:3]
	s_cbranch_execz .LBB60_67
; %bb.64:
	v_mbcnt_lo_u32_b32 v4, exec_lo, 0
	v_mbcnt_hi_u32_b32 v4, exec_hi, v4
	v_cmp_eq_u32_e32 vcc, 0, v4
	s_and_saveexec_b64 s[2:3], vcc
	s_cbranch_execz .LBB60_66
; %bb.65:
	v_mov_b32_e32 v4, 0
	v_mov_b32_e32 v5, s16
	global_atomic_smin v4, v5, s[14:15]
.LBB60_66:
	s_or_b64 exec, exec, s[2:3]
	v_mov_b32_e32 v6, 0
	v_mov_b32_e32 v4, 0
	;; [unrolled: 1-line block ×4, first 2 shown]
.LBB60_67:
	s_or_b64 exec, exec, s[0:1]
	v_cmp_lt_u32_e32 vcc, 1, v1
	s_and_saveexec_b64 s[0:1], vcc
	s_cbranch_execz .LBB60_69
; %bb.68:
	v_mul_f64 v[8:9], v[6:7], v[6:7]
	v_fma_f64 v[8:9], v[4:5], v[4:5], v[8:9]
	v_div_scale_f64 v[17:18], s[2:3], v[8:9], v[8:9], 1.0
	v_rcp_f64_e32 v[19:20], v[17:18]
	v_fma_f64 v[21:22], -v[17:18], v[19:20], 1.0
	v_fma_f64 v[19:20], v[19:20], v[21:22], v[19:20]
	v_div_scale_f64 v[21:22], vcc, 1.0, v[8:9], 1.0
	v_fma_f64 v[23:24], -v[17:18], v[19:20], 1.0
	v_fma_f64 v[25:26], v[19:20], v[23:24], v[19:20]
	v_mul_f64 v[27:28], v[21:22], v[25:26]
	v_fma_f64 v[29:30], -v[17:18], v[27:28], v[21:22]
	ds_read_b128 v[17:20], v11 offset:16
	ds_read_b128 v[21:24], v16 offset:16
	s_waitcnt lgkmcnt(0)
	v_add_f64 v[19:20], v[19:20], -v[23:24]
	v_add_f64 v[16:17], v[17:18], -v[21:22]
	v_div_fmas_f64 v[23:24], v[29:30], v[25:26], v[27:28]
	v_mul_f64 v[21:22], v[6:7], v[19:20]
	v_mul_f64 v[6:7], v[6:7], -v[16:17]
	v_fma_f64 v[16:17], v[16:17], v[4:5], v[21:22]
	v_fma_f64 v[6:7], v[19:20], v[4:5], v[6:7]
	v_div_fixup_f64 v[8:9], v[23:24], v[8:9], 1.0
	v_mul_f64 v[4:5], v[8:9], v[16:17]
	v_mul_f64 v[6:7], v[8:9], v[6:7]
	ds_write_b128 v11, v[4:7] offset:16
	s_waitcnt lgkmcnt(0)
	ds_read_b128 v[16:19], v12 offset:16
	ds_read_b128 v[20:23], v14
	s_waitcnt lgkmcnt(0)
	v_fma_f64 v[8:9], v[4:5], v[16:17], v[20:21]
	v_fma_f64 v[11:12], v[6:7], v[16:17], v[22:23]
	;; [unrolled: 1-line block ×3, first 2 shown]
	v_fma_f64 v[8:9], v[4:5], -v[18:19], v[11:12]
	ds_write_b128 v14, v[6:9]
.LBB60_69:
	s_or_b64 exec, exec, s[0:1]
	s_waitcnt lgkmcnt(0)
	ds_read2_b64 v[4:7], v10 offset1:1
	v_cmp_eq_u32_e32 vcc, 0, v15
	s_waitcnt lgkmcnt(0)
	global_store_dwordx4 v[2:3], v[4:7], off
	s_and_saveexec_b64 s[0:1], vcc
	s_cbranch_execz .LBB60_71
; %bb.70:
	s_add_u32 s2, s10, s6
	s_addc_u32 s3, s11, s7
	v_mov_b32_e32 v2, 0
	v_mov_b32_e32 v3, 1
	s_waitcnt vmcnt(0)
	global_store_dword v2, v3, s[2:3]
.LBB60_71:
	s_or_b64 exec, exec, s[0:1]
	s_branch .LBB60_7
.LBB60_72:
	v_or_b32_e32 v0, v0, v1
	v_cmp_eq_u32_e32 vcc, 0, v0
	s_and_saveexec_b64 s[0:1], vcc
	s_cbranch_execz .LBB60_7
; %bb.73:
	v_mbcnt_lo_u32_b32 v0, exec_lo, 0
	v_mbcnt_hi_u32_b32 v0, exec_hi, v0
	v_cmp_eq_u32_e32 vcc, 0, v0
	s_and_saveexec_b64 s[0:1], vcc
	s_cbranch_execz .LBB60_75
; %bb.74:
	s_add_i32 s2, s12, s13
	v_mov_b32_e32 v0, 0
	v_mov_b32_e32 v1, s2
	global_atomic_smin v0, v1, s[14:15]
.LBB60_75:
	s_or_b64 exec, exec, s[0:1]
	s_add_u32 s0, s10, s6
	s_addc_u32 s1, s11, s7
	v_mov_b32_e32 v0, 0
	v_mov_b32_e32 v1, 1
	s_waitcnt vmcnt(0)
	global_store_dword v0, v1, s[0:1]
	s_endpgm
.LBB60_76:
	v_mov_b32_e32 v8, 0
	v_mov_b32_e32 v9, 0
	s_andn2_b64 vcc, exec, s[4:5]
	s_cbranch_vccz .LBB60_48
	s_branch .LBB60_49
.LBB60_77:
	v_mov_b32_e32 v8, 0
	v_mov_b32_e32 v9, 0
	s_andn2_b64 vcc, exec, s[4:5]
	s_cbranch_vccz .LBB60_61
	s_branch .LBB60_62
	.section	.rodata,"a",@progbits
	.p2align	6, 0x0
	.amdhsa_kernel _ZN9rocsparseL26bsric0_2_8_unrolled_kernelILi4ELi32ELi2E21rocsparse_complex_numIdEEEv20rocsparse_direction_iiPKiS5_PT2_S5_PiS5_S8_21rocsparse_index_base_
		.amdhsa_group_segment_fixed_size 768
		.amdhsa_private_segment_fixed_size 0
		.amdhsa_kernarg_size 76
		.amdhsa_user_sgpr_count 6
		.amdhsa_user_sgpr_private_segment_buffer 1
		.amdhsa_user_sgpr_dispatch_ptr 0
		.amdhsa_user_sgpr_queue_ptr 0
		.amdhsa_user_sgpr_kernarg_segment_ptr 1
		.amdhsa_user_sgpr_dispatch_id 0
		.amdhsa_user_sgpr_flat_scratch_init 0
		.amdhsa_user_sgpr_private_segment_size 0
		.amdhsa_uses_dynamic_stack 0
		.amdhsa_system_sgpr_private_segment_wavefront_offset 0
		.amdhsa_system_sgpr_workgroup_id_x 1
		.amdhsa_system_sgpr_workgroup_id_y 0
		.amdhsa_system_sgpr_workgroup_id_z 0
		.amdhsa_system_sgpr_workgroup_info 0
		.amdhsa_system_vgpr_workitem_id 1
		.amdhsa_next_free_vgpr 50
		.amdhsa_next_free_sgpr 40
		.amdhsa_reserve_vcc 1
		.amdhsa_reserve_flat_scratch 0
		.amdhsa_float_round_mode_32 0
		.amdhsa_float_round_mode_16_64 0
		.amdhsa_float_denorm_mode_32 3
		.amdhsa_float_denorm_mode_16_64 3
		.amdhsa_dx10_clamp 1
		.amdhsa_ieee_mode 1
		.amdhsa_fp16_overflow 0
		.amdhsa_exception_fp_ieee_invalid_op 0
		.amdhsa_exception_fp_denorm_src 0
		.amdhsa_exception_fp_ieee_div_zero 0
		.amdhsa_exception_fp_ieee_overflow 0
		.amdhsa_exception_fp_ieee_underflow 0
		.amdhsa_exception_fp_ieee_inexact 0
		.amdhsa_exception_int_div_zero 0
	.end_amdhsa_kernel
	.section	.text._ZN9rocsparseL26bsric0_2_8_unrolled_kernelILi4ELi32ELi2E21rocsparse_complex_numIdEEEv20rocsparse_direction_iiPKiS5_PT2_S5_PiS5_S8_21rocsparse_index_base_,"axG",@progbits,_ZN9rocsparseL26bsric0_2_8_unrolled_kernelILi4ELi32ELi2E21rocsparse_complex_numIdEEEv20rocsparse_direction_iiPKiS5_PT2_S5_PiS5_S8_21rocsparse_index_base_,comdat
.Lfunc_end60:
	.size	_ZN9rocsparseL26bsric0_2_8_unrolled_kernelILi4ELi32ELi2E21rocsparse_complex_numIdEEEv20rocsparse_direction_iiPKiS5_PT2_S5_PiS5_S8_21rocsparse_index_base_, .Lfunc_end60-_ZN9rocsparseL26bsric0_2_8_unrolled_kernelILi4ELi32ELi2E21rocsparse_complex_numIdEEEv20rocsparse_direction_iiPKiS5_PT2_S5_PiS5_S8_21rocsparse_index_base_
                                        ; -- End function
	.set _ZN9rocsparseL26bsric0_2_8_unrolled_kernelILi4ELi32ELi2E21rocsparse_complex_numIdEEEv20rocsparse_direction_iiPKiS5_PT2_S5_PiS5_S8_21rocsparse_index_base_.num_vgpr, 50
	.set _ZN9rocsparseL26bsric0_2_8_unrolled_kernelILi4ELi32ELi2E21rocsparse_complex_numIdEEEv20rocsparse_direction_iiPKiS5_PT2_S5_PiS5_S8_21rocsparse_index_base_.num_agpr, 0
	.set _ZN9rocsparseL26bsric0_2_8_unrolled_kernelILi4ELi32ELi2E21rocsparse_complex_numIdEEEv20rocsparse_direction_iiPKiS5_PT2_S5_PiS5_S8_21rocsparse_index_base_.numbered_sgpr, 40
	.set _ZN9rocsparseL26bsric0_2_8_unrolled_kernelILi4ELi32ELi2E21rocsparse_complex_numIdEEEv20rocsparse_direction_iiPKiS5_PT2_S5_PiS5_S8_21rocsparse_index_base_.num_named_barrier, 0
	.set _ZN9rocsparseL26bsric0_2_8_unrolled_kernelILi4ELi32ELi2E21rocsparse_complex_numIdEEEv20rocsparse_direction_iiPKiS5_PT2_S5_PiS5_S8_21rocsparse_index_base_.private_seg_size, 0
	.set _ZN9rocsparseL26bsric0_2_8_unrolled_kernelILi4ELi32ELi2E21rocsparse_complex_numIdEEEv20rocsparse_direction_iiPKiS5_PT2_S5_PiS5_S8_21rocsparse_index_base_.uses_vcc, 1
	.set _ZN9rocsparseL26bsric0_2_8_unrolled_kernelILi4ELi32ELi2E21rocsparse_complex_numIdEEEv20rocsparse_direction_iiPKiS5_PT2_S5_PiS5_S8_21rocsparse_index_base_.uses_flat_scratch, 0
	.set _ZN9rocsparseL26bsric0_2_8_unrolled_kernelILi4ELi32ELi2E21rocsparse_complex_numIdEEEv20rocsparse_direction_iiPKiS5_PT2_S5_PiS5_S8_21rocsparse_index_base_.has_dyn_sized_stack, 0
	.set _ZN9rocsparseL26bsric0_2_8_unrolled_kernelILi4ELi32ELi2E21rocsparse_complex_numIdEEEv20rocsparse_direction_iiPKiS5_PT2_S5_PiS5_S8_21rocsparse_index_base_.has_recursion, 0
	.set _ZN9rocsparseL26bsric0_2_8_unrolled_kernelILi4ELi32ELi2E21rocsparse_complex_numIdEEEv20rocsparse_direction_iiPKiS5_PT2_S5_PiS5_S8_21rocsparse_index_base_.has_indirect_call, 0
	.section	.AMDGPU.csdata,"",@progbits
; Kernel info:
; codeLenInByte = 5116
; TotalNumSgprs: 44
; NumVgprs: 50
; ScratchSize: 0
; MemoryBound: 1
; FloatMode: 240
; IeeeMode: 1
; LDSByteSize: 768 bytes/workgroup (compile time only)
; SGPRBlocks: 5
; VGPRBlocks: 12
; NumSGPRsForWavesPerEU: 44
; NumVGPRsForWavesPerEU: 50
; Occupancy: 4
; WaveLimiterHint : 1
; COMPUTE_PGM_RSRC2:SCRATCH_EN: 0
; COMPUTE_PGM_RSRC2:USER_SGPR: 6
; COMPUTE_PGM_RSRC2:TRAP_HANDLER: 0
; COMPUTE_PGM_RSRC2:TGID_X_EN: 1
; COMPUTE_PGM_RSRC2:TGID_Y_EN: 0
; COMPUTE_PGM_RSRC2:TGID_Z_EN: 0
; COMPUTE_PGM_RSRC2:TIDIG_COMP_CNT: 1
	.section	.text._ZN9rocsparseL26bsric0_2_8_unrolled_kernelILi9ELi32ELi3E21rocsparse_complex_numIdEEEv20rocsparse_direction_iiPKiS5_PT2_S5_PiS5_S8_21rocsparse_index_base_,"axG",@progbits,_ZN9rocsparseL26bsric0_2_8_unrolled_kernelILi9ELi32ELi3E21rocsparse_complex_numIdEEEv20rocsparse_direction_iiPKiS5_PT2_S5_PiS5_S8_21rocsparse_index_base_,comdat
	.globl	_ZN9rocsparseL26bsric0_2_8_unrolled_kernelILi9ELi32ELi3E21rocsparse_complex_numIdEEEv20rocsparse_direction_iiPKiS5_PT2_S5_PiS5_S8_21rocsparse_index_base_ ; -- Begin function _ZN9rocsparseL26bsric0_2_8_unrolled_kernelILi9ELi32ELi3E21rocsparse_complex_numIdEEEv20rocsparse_direction_iiPKiS5_PT2_S5_PiS5_S8_21rocsparse_index_base_
	.p2align	8
	.type	_ZN9rocsparseL26bsric0_2_8_unrolled_kernelILi9ELi32ELi3E21rocsparse_complex_numIdEEEv20rocsparse_direction_iiPKiS5_PT2_S5_PiS5_S8_21rocsparse_index_base_,@function
_ZN9rocsparseL26bsric0_2_8_unrolled_kernelILi9ELi32ELi3E21rocsparse_complex_numIdEEEv20rocsparse_direction_iiPKiS5_PT2_S5_PiS5_S8_21rocsparse_index_base_: ; @_ZN9rocsparseL26bsric0_2_8_unrolled_kernelILi9ELi32ELi3E21rocsparse_complex_numIdEEEv20rocsparse_direction_iiPKiS5_PT2_S5_PiS5_S8_21rocsparse_index_base_
; %bb.0:
	s_load_dwordx8 s[8:15], s[4:5], 0x28
	s_mov_b32 s7, 0
	s_lshl_b64 s[0:1], s[6:7], 2
	s_waitcnt lgkmcnt(0)
	s_add_u32 s0, s12, s0
	s_addc_u32 s1, s13, s1
	s_load_dword s12, s[0:1], 0x0
	s_waitcnt lgkmcnt(0)
	s_ashr_i32 s13, s12, 31
	s_lshl_b64 s[6:7], s[12:13], 2
	s_add_u32 s0, s8, s6
	s_addc_u32 s1, s9, s7
	s_load_dword s30, s[0:1], 0x0
	s_load_dword s13, s[4:5], 0x48
	s_waitcnt lgkmcnt(0)
	s_cmp_lg_u32 s30, -1
	s_cbranch_scc0 .LBB61_49
; %bb.1:
	s_load_dwordx4 s[16:19], s[4:5], 0x10
	s_load_dwordx2 s[20:21], s[4:5], 0x20
	v_mad_u32_u24 v16, v1, 3, v0
	s_waitcnt lgkmcnt(0)
	s_add_u32 s0, s16, s6
	s_addc_u32 s1, s17, s7
	s_load_dword s0, s[0:1], 0x0
	s_waitcnt lgkmcnt(0)
	s_sub_i32 s31, s0, s13
	v_add_u32_e32 v2, s31, v16
	v_cmp_ge_i32_e32 vcc, s30, v2
	s_and_saveexec_b64 s[0:1], vcc
	s_cbranch_execz .LBB61_4
; %bb.2:
	v_mov_b32_e32 v3, 0x400
	v_lshl_or_b32 v5, v16, 2, v3
	v_ashrrev_i32_e32 v3, 31, v2
	v_lshlrev_b64 v[3:4], 2, v[2:3]
	v_mov_b32_e32 v6, s19
	v_add_co_u32_e32 v3, vcc, s18, v3
	v_addc_co_u32_e32 v4, vcc, v6, v4, vcc
	s_mov_b64 s[2:3], 0
.LBB61_3:                               ; =>This Inner Loop Header: Depth=1
	global_load_dword v6, v[3:4], off
	v_add_co_u32_e32 v3, vcc, 36, v3
	v_add_u32_e32 v2, 9, v2
	v_addc_co_u32_e32 v4, vcc, 0, v4, vcc
	v_cmp_lt_i32_e32 vcc, s30, v2
	s_or_b64 s[2:3], vcc, s[2:3]
	s_waitcnt vmcnt(0)
	v_subrev_u32_e32 v6, s13, v6
	ds_write_b32 v5, v6
	v_add_u32_e32 v5, 36, v5
	s_andn2_b64 exec, exec, s[2:3]
	s_cbranch_execnz .LBB61_3
.LBB61_4:
	s_or_b64 exec, exec, s[0:1]
	s_load_dword s33, s[4:5], 0x0
	v_mov_b32_e32 v2, 0x240
	v_lshl_add_u32 v19, v1, 6, v2
	v_mov_b32_e32 v2, 0
	v_mul_u32_u24_e32 v20, 3, v1
	v_lshl_add_u32 v18, v0, 4, v19
	v_mov_b32_e32 v3, v2
	v_mov_b32_e32 v4, v2
	;; [unrolled: 1-line block ×3, first 2 shown]
	s_cmp_ge_i32 s31, s30
	v_mad_u32_u24 v17, v0, 3, v1
	ds_write_b128 v18, v[2:5]
	s_waitcnt lgkmcnt(0)
	s_cbranch_scc1 .LBB61_43
; %bb.5:
	s_cmp_lg_u32 s33, 0
	v_lshlrev_b32_e32 v4, 6, v1
	v_lshlrev_b32_e32 v5, 4, v0
	s_cselect_b64 s[4:5], -1, 0
	s_cmp_eq_u32 s33, 0
	v_add_u32_e32 v22, 0x180, v4
	v_add_u32_e32 v24, v4, v5
	;; [unrolled: 1-line block ×3, first 2 shown]
	v_mov_b32_e32 v4, 0x180
	v_mad_u32_u24 v3, v0, 3, v1
	v_lshl_add_u32 v27, v0, 6, v4
	v_or_b32_e32 v4, v0, v1
	s_cselect_b64 vcc, -1, 0
	v_mul_u32_u24_e32 v21, 3, v0
	v_add_u32_e32 v23, v22, v5
	v_add_u32_e32 v26, v25, v5
	v_cmp_ne_u32_e64 s[0:1], 0, v4
	v_cndmask_b32_e32 v7, v3, v16, vcc
	v_mov_b32_e32 v28, 0x3ff00000
	s_mov_b32 s22, s31
	s_branch .LBB61_8
.LBB61_6:                               ;   in Loop: Header=BB61_8 Depth=1
	s_or_b64 exec, exec, s[24:25]
	v_mov_b32_e32 v12, 0
	v_mov_b32_e32 v10, 0
	;; [unrolled: 1-line block ×4, first 2 shown]
.LBB61_7:                               ;   in Loop: Header=BB61_8 Depth=1
	s_or_b64 exec, exec, s[2:3]
	v_mul_f64 v[14:15], v[12:13], v[12:13]
	ds_read_b128 v[29:32], v2 offset:128
	ds_read_b128 v[33:36], v25 offset:32
	s_add_i32 s22, s22, 1
	s_cmp_ge_i32 s22, s30
	v_fma_f64 v[14:15], v[10:11], v[10:11], v[14:15]
	v_div_scale_f64 v[45:46], s[2:3], v[14:15], v[14:15], 1.0
	v_div_scale_f64 v[49:50], vcc, 1.0, v[14:15], 1.0
	s_cselect_b64 s[2:3], -1, 0
	v_rcp_f64_e32 v[37:38], v[45:46]
	v_fma_f64 v[39:40], -v[45:46], v[37:38], 1.0
	v_fma_f64 v[47:48], v[37:38], v[39:40], v[37:38]
	ds_read_b128 v[37:40], v22
	ds_read_b128 v[41:44], v22 offset:16
	s_waitcnt lgkmcnt(1)
	v_fma_f64 v[35:36], v[31:32], v[37:38], v[35:36]
	v_fma_f64 v[37:38], v[29:30], v[37:38], v[33:34]
	v_fma_f64 v[51:52], -v[45:46], v[47:48], 1.0
	v_fma_f64 v[29:30], v[29:30], -v[39:40], v[35:36]
	v_fma_f64 v[31:32], v[31:32], v[39:40], v[37:38]
	ds_read_b128 v[33:36], v2 offset:144
	v_fma_f64 v[47:48], v[47:48], v[51:52], v[47:48]
	s_waitcnt lgkmcnt(0)
	v_fma_f64 v[29:30], v[35:36], v[41:42], v[29:30]
	v_fma_f64 v[31:32], v[33:34], v[41:42], v[31:32]
	v_mul_f64 v[37:38], v[49:50], v[47:48]
	v_fma_f64 v[29:30], v[33:34], -v[43:44], v[29:30]
	v_fma_f64 v[31:32], v[35:36], v[43:44], v[31:32]
	v_fma_f64 v[33:34], -v[45:46], v[37:38], v[49:50]
	v_add_f64 v[5:6], v[5:6], -v[29:30]
	v_add_f64 v[3:4], v[3:4], -v[31:32]
	v_div_fmas_f64 v[29:30], v[33:34], v[47:48], v[37:38]
	v_mul_f64 v[31:32], v[12:13], v[5:6]
	v_mul_f64 v[12:13], v[12:13], -v[3:4]
	v_fma_f64 v[3:4], v[3:4], v[10:11], v[31:32]
	v_fma_f64 v[5:6], v[5:6], v[10:11], v[12:13]
	v_div_fixup_f64 v[14:15], v[29:30], v[14:15], 1.0
	v_mul_f64 v[3:4], v[14:15], v[3:4]
	v_mul_f64 v[5:6], v[14:15], v[5:6]
	ds_write_b128 v22, v[3:6] offset:32
	s_waitcnt lgkmcnt(0)
	ds_read_b128 v[10:13], v27 offset:32
	ds_read_b128 v[29:32], v18
	s_waitcnt lgkmcnt(0)
	v_fma_f64 v[14:15], v[3:4], v[10:11], v[29:30]
	v_fma_f64 v[29:30], v[5:6], v[10:11], v[31:32]
	;; [unrolled: 1-line block ×3, first 2 shown]
	v_fma_f64 v[12:13], v[3:4], -v[12:13], v[29:30]
	ds_write_b128 v18, v[10:13]
	s_waitcnt lgkmcnt(0)
	ds_read2_b64 v[3:6], v23 offset1:1
	s_waitcnt lgkmcnt(0)
	global_store_dwordx4 v[8:9], v[3:6], off
	s_waitcnt vmcnt(0)
	buffer_wbinvl1_vol
	s_and_b64 vcc, exec, s[2:3]
	s_cbranch_vccnz .LBB61_43
.LBB61_8:                               ; =>This Loop Header: Depth=1
                                        ;     Child Loop BB61_11 Depth 2
                                        ;     Child Loop BB61_22 Depth 2
	;; [unrolled: 1-line block ×3, first 2 shown]
	s_ashr_i32 s23, s22, 31
	s_lshl_b64 s[2:3], s[22:23], 2
	s_add_u32 s2, s18, s2
	s_addc_u32 s3, s19, s3
	s_load_dword s23, s[2:3], 0x0
	s_waitcnt lgkmcnt(0)
	s_sub_i32 s24, s23, s13
	s_ashr_i32 s25, s24, 31
	s_lshl_b64 s[2:3], s[24:25], 2
	s_add_u32 s26, s8, s2
	s_addc_u32 s27, s9, s3
	s_load_dword s25, s[26:27], 0x0
	s_waitcnt lgkmcnt(0)
	s_cmp_eq_u32 s25, -1
	s_cbranch_scc1 .LBB61_42
; %bb.9:                                ;   in Loop: Header=BB61_8 Depth=1
	v_mad_u64_u32 v[3:4], s[26:27], s22, 9, v[7:8]
	v_mov_b32_e32 v5, s21
	s_add_u32 s26, s16, s2
	v_ashrrev_i32_e32 v4, 31, v3
	v_lshlrev_b64 v[3:4], 4, v[3:4]
	s_addc_u32 s27, s17, s3
	v_add_co_u32_e32 v8, vcc, s20, v3
	v_addc_co_u32_e32 v9, vcc, v5, v4, vcc
	global_load_dwordx4 v[3:6], v[8:9], off
	s_load_dword s26, s[26:27], 0x0
	ds_read_b32 v10, v2 offset:1024
	s_mov_b32 s27, 0
	s_waitcnt lgkmcnt(0)
	s_sub_i32 s26, s26, s13
	s_cmp_le_i32 s26, s25
	v_cmp_ge_i32_e32 vcc, s24, v10
	s_cselect_b64 s[28:29], -1, 0
	s_and_b64 s[28:29], s[28:29], vcc
	s_andn2_b64 vcc, exec, s[28:29]
	s_waitcnt vmcnt(0)
	ds_write2_b64 v23, v[3:4], v[5:6] offset1:1
	s_cbranch_vccnz .LBB61_21
; %bb.10:                               ;   in Loop: Header=BB61_8 Depth=1
	s_mov_b32 s34, 0
	s_mov_b32 s35, 0
.LBB61_11:                              ;   Parent Loop BB61_8 Depth=1
                                        ; =>  This Inner Loop Header: Depth=2
	s_ashr_i32 s27, s26, 31
	s_lshl_b64 s[28:29], s[26:27], 2
	s_add_u32 s28, s18, s28
	s_addc_u32 s29, s19, s29
	s_load_dword s27, s[28:29], 0x0
	s_lshl_b32 s28, s35, 2
	v_mov_b32_e32 v3, s28
	ds_read_b32 v3, v3 offset:1024
	s_mov_b64 s[28:29], -1
	s_waitcnt lgkmcnt(0)
	s_sub_i32 s39, s27, s13
                                        ; implicit-def: $sgpr27
                                        ; implicit-def: $sgpr38
                                        ; implicit-def: $sgpr37
	v_cmp_ge_i32_e32 vcc, s39, v3
	v_readfirstlane_b32 s36, v3
	s_cbranch_vccz .LBB61_17
; %bb.12:                               ;   in Loop: Header=BB61_11 Depth=2
	s_cmp_le_i32 s39, s36
                                        ; implicit-def: $sgpr27
                                        ; implicit-def: $sgpr38
                                        ; implicit-def: $sgpr37
	s_cbranch_scc0 .LBB61_14
; %bb.13:                               ;   in Loop: Header=BB61_11 Depth=2
	s_add_i32 s27, s35, s31
	s_mul_i32 s27, s27, 9
	s_lshl_b32 s28, s34, 2
	v_mov_b32_e32 v4, s27
	s_mul_i32 s27, s26, 9
	v_mov_b32_e32 v3, s28
	v_mov_b32_e32 v5, s27
	ds_write2_b32 v3, v5, v4 offset0:192 offset1:224
	s_add_i32 s37, s35, 1
	s_add_i32 s38, s26, 1
	;; [unrolled: 1-line block ×3, first 2 shown]
	s_mov_b64 s[28:29], 0
.LBB61_14:                              ;   in Loop: Header=BB61_11 Depth=2
	s_andn2_b64 vcc, exec, s[28:29]
	s_cbranch_vccnz .LBB61_16
; %bb.15:                               ;   in Loop: Header=BB61_11 Depth=2
	s_add_i32 s37, s35, 1
	s_mov_b32 s27, s34
	s_mov_b32 s38, s26
.LBB61_16:                              ;   in Loop: Header=BB61_11 Depth=2
	s_mov_b64 s[28:29], 0
.LBB61_17:                              ;   in Loop: Header=BB61_11 Depth=2
	s_andn2_b64 vcc, exec, s[28:29]
	s_cbranch_vccnz .LBB61_19
; %bb.18:                               ;   in Loop: Header=BB61_11 Depth=2
	s_add_i32 s38, s26, 1
	s_mov_b32 s37, s35
	s_mov_b32 s27, s34
.LBB61_19:                              ;   in Loop: Header=BB61_11 Depth=2
	s_cmp_le_i32 s38, s25
	s_cselect_b64 s[28:29], -1, 0
	s_cmp_le_i32 s36, s24
	s_cselect_b64 s[34:35], -1, 0
	s_and_b64 s[28:29], s[28:29], s[34:35]
	s_and_b64 vcc, exec, s[28:29]
	s_cbranch_vccz .LBB61_21
; %bb.20:                               ;   in Loop: Header=BB61_11 Depth=2
	s_mov_b32 s34, s27
	s_mov_b32 s26, s38
	;; [unrolled: 1-line block ×3, first 2 shown]
	s_branch .LBB61_11
.LBB61_21:                              ;   in Loop: Header=BB61_8 Depth=1
	s_add_u32 s2, s10, s2
	s_addc_u32 s3, s11, s3
	s_waitcnt lgkmcnt(0)
.LBB61_22:                              ;   Parent Loop BB61_8 Depth=1
                                        ; =>  This Inner Loop Header: Depth=2
	global_load_dword v3, v2, s[2:3] glc
	s_waitcnt vmcnt(0)
	v_cmp_eq_u32_e32 vcc, 0, v3
	s_cbranch_vccnz .LBB61_22
; %bb.23:                               ;   in Loop: Header=BB61_8 Depth=1
	v_mad_u64_u32 v[3:4], s[2:3], s25, 9, v[7:8]
	v_mov_b32_e32 v5, s21
	buffer_wbinvl1_vol
	v_ashrrev_i32_e32 v4, 31, v3
	v_lshlrev_b64 v[3:4], 4, v[3:4]
	s_cmp_lt_i32 s27, 2
	v_add_co_u32_e32 v3, vcc, s20, v3
	v_addc_co_u32_e32 v4, vcc, v5, v4, vcc
	global_load_dwordx4 v[10:13], v[3:4], off
	v_mov_b32_e32 v5, 0
	v_mov_b32_e32 v3, 0
	;; [unrolled: 1-line block ×4, first 2 shown]
	s_waitcnt vmcnt(0)
	ds_write2_b64 v24, v[10:11], v[12:13] offset1:1
	s_waitcnt lgkmcnt(0)
	s_cbranch_scc1 .LBB61_31
; %bb.24:                               ;   in Loop: Header=BB61_8 Depth=1
	v_mov_b32_e32 v10, 0
	v_mov_b32_e32 v12, 0
	s_add_i32 s24, s27, -1
	v_mov_b32_e32 v11, 0
	v_mov_b32_e32 v13, 0
	s_movk_i32 s25, 0x300
.LBB61_25:                              ;   Parent Loop BB61_8 Depth=1
                                        ; =>  This Inner Loop Header: Depth=2
	v_mov_b32_e32 v3, s25
	s_waitcnt lgkmcnt(0)
	ds_read2_b32 v[14:15], v3 offset1:32
	s_mov_b64 s[2:3], -1
	s_and_b64 vcc, exec, s[4:5]
                                        ; implicit-def: $vgpr5_vgpr6
	s_cbranch_vccz .LBB61_28
; %bb.26:                               ;   in Loop: Header=BB61_25 Depth=2
	s_waitcnt lgkmcnt(0)
	v_add_u32_e32 v41, v14, v0
	v_ashrrev_i32_e32 v42, 31, v41
	v_lshlrev_b64 v[3:4], 4, v[41:42]
	v_add_u32_e32 v42, v15, v1
	v_mov_b32_e32 v5, s21
	v_add_co_u32_e32 v33, vcc, s20, v3
	v_ashrrev_i32_e32 v43, 31, v42
	v_addc_co_u32_e32 v34, vcc, v5, v4, vcc
	v_lshlrev_b64 v[3:4], 4, v[42:43]
	v_add_co_u32_e32 v35, vcc, s20, v3
	v_addc_co_u32_e32 v36, vcc, v5, v4, vcc
	global_load_dwordx4 v[3:6], v[33:34], off
	global_load_dwordx4 v[29:32], v[35:36], off
	v_add_u32_e32 v33, 3, v41
	v_ashrrev_i32_e32 v34, 31, v33
	v_lshlrev_b64 v[33:34], 4, v[33:34]
	v_mov_b32_e32 v35, s21
	v_add_co_u32_e32 v43, vcc, s20, v33
	v_add_u32_e32 v33, 3, v42
	v_addc_co_u32_e32 v44, vcc, v35, v34, vcc
	v_ashrrev_i32_e32 v34, 31, v33
	v_lshlrev_b64 v[33:34], 4, v[33:34]
	v_add_co_u32_e32 v45, vcc, s20, v33
	v_addc_co_u32_e32 v46, vcc, v35, v34, vcc
	global_load_dwordx4 v[33:36], v[43:44], off
	global_load_dwordx4 v[37:40], v[45:46], off
	v_add_u32_e32 v43, 6, v41
	v_ashrrev_i32_e32 v44, 31, v43
	v_lshlrev_b64 v[43:44], 4, v[43:44]
	v_mov_b32_e32 v41, s21
	v_add_co_u32_e32 v49, vcc, s20, v43
	v_addc_co_u32_e32 v50, vcc, v41, v44, vcc
	v_add_u32_e32 v41, 6, v42
	v_ashrrev_i32_e32 v42, 31, v41
	v_lshlrev_b64 v[41:42], 4, v[41:42]
	v_mov_b32_e32 v43, s21
	v_add_co_u32_e32 v51, vcc, s20, v41
	v_addc_co_u32_e32 v52, vcc, v43, v42, vcc
	global_load_dwordx4 v[41:44], v[49:50], off
	global_load_dwordx4 v[45:48], v[51:52], off
	s_waitcnt vmcnt(4)
	v_fma_f64 v[49:50], v[3:4], v[29:30], v[12:13]
	v_fma_f64 v[29:30], v[5:6], v[29:30], v[10:11]
	v_fma_f64 v[5:6], v[5:6], v[31:32], v[49:50]
	v_fma_f64 v[3:4], v[3:4], -v[31:32], v[29:30]
	s_waitcnt vmcnt(2)
	v_fma_f64 v[5:6], v[33:34], v[37:38], v[5:6]
	v_fma_f64 v[3:4], v[35:36], v[37:38], v[3:4]
	v_fma_f64 v[5:6], v[35:36], v[39:40], v[5:6]
	v_fma_f64 v[3:4], v[33:34], -v[39:40], v[3:4]
	s_waitcnt vmcnt(0)
	v_fma_f64 v[5:6], v[41:42], v[45:46], v[5:6]
	v_fma_f64 v[29:30], v[43:44], v[45:46], v[3:4]
	v_fma_f64 v[3:4], v[43:44], v[47:48], v[5:6]
	v_fma_f64 v[5:6], v[41:42], -v[47:48], v[29:30]
	s_cbranch_execz .LBB61_29
.LBB61_27:                              ;   in Loop: Header=BB61_25 Depth=2
	s_add_i32 s24, s24, -1
	s_add_i32 s25, s25, 4
	s_cmp_eq_u32 s24, 0
	s_cbranch_scc0 .LBB61_30
	s_branch .LBB61_31
.LBB61_28:                              ;   in Loop: Header=BB61_25 Depth=2
	s_andn2_b64 vcc, exec, s[2:3]
	s_cbranch_vccnz .LBB61_27
.LBB61_29:                              ;   in Loop: Header=BB61_25 Depth=2
	s_waitcnt lgkmcnt(0)
	v_add_u32_e32 v3, v14, v21
	v_ashrrev_i32_e32 v4, 31, v3
	v_lshlrev_b64 v[3:4], 4, v[3:4]
	v_mov_b32_e32 v5, s21
	v_add_co_u32_e32 v49, vcc, s20, v3
	v_add_u32_e32 v3, v15, v20
	v_addc_co_u32_e32 v50, vcc, v5, v4, vcc
	v_ashrrev_i32_e32 v4, 31, v3
	v_lshlrev_b64 v[3:4], 4, v[3:4]
	v_add_co_u32_e32 v14, vcc, s20, v3
	v_addc_co_u32_e32 v15, vcc, v5, v4, vcc
	global_load_dwordx4 v[3:6], v[14:15], off
	global_load_dwordx4 v[29:32], v[49:50], off
	global_load_dwordx4 v[33:36], v[49:50], off offset:16
	global_load_dwordx4 v[37:40], v[14:15], off offset:16
	;; [unrolled: 1-line block ×4, first 2 shown]
	s_waitcnt vmcnt(4)
	v_fma_f64 v[12:13], v[29:30], v[3:4], v[12:13]
	v_fma_f64 v[3:4], v[31:32], v[3:4], v[10:11]
	v_fma_f64 v[10:11], v[31:32], v[5:6], v[12:13]
	v_fma_f64 v[3:4], v[29:30], -v[5:6], v[3:4]
	s_waitcnt vmcnt(2)
	v_fma_f64 v[5:6], v[33:34], v[37:38], v[10:11]
	v_fma_f64 v[3:4], v[35:36], v[37:38], v[3:4]
	v_fma_f64 v[5:6], v[35:36], v[39:40], v[5:6]
	v_fma_f64 v[3:4], v[33:34], -v[39:40], v[3:4]
	;; [unrolled: 5-line block ×3, first 2 shown]
	s_add_i32 s24, s24, -1
	s_add_i32 s25, s25, 4
	s_cmp_eq_u32 s24, 0
	s_cbranch_scc1 .LBB61_31
.LBB61_30:                              ;   in Loop: Header=BB61_25 Depth=2
	v_mov_b32_e32 v11, v6
	v_mov_b32_e32 v13, v4
	;; [unrolled: 1-line block ×4, first 2 shown]
	s_branch .LBB61_25
.LBB61_31:                              ;   in Loop: Header=BB61_8 Depth=1
	ds_write_b128 v26, v[3:6]
	s_waitcnt lgkmcnt(0)
	ds_read_b128 v[10:13], v2
	ds_read_b128 v[3:6], v22
	s_waitcnt lgkmcnt(1)
	v_cmp_neq_f64_e32 vcc, 0, v[10:11]
	v_cmp_neq_f64_e64 s[2:3], 0, v[12:13]
	s_or_b64 vcc, vcc, s[2:3]
	v_cndmask_b32_e32 v11, v28, v11, vcc
	s_nor_b64 s[24:25], vcc, s[0:1]
	v_cndmask_b32_e32 v10, 0, v10, vcc
	v_cndmask_b32_e32 v13, 0, v13, vcc
	;; [unrolled: 1-line block ×3, first 2 shown]
	s_and_saveexec_b64 s[2:3], s[24:25]
	s_cbranch_execz .LBB61_35
; %bb.32:                               ;   in Loop: Header=BB61_8 Depth=1
	v_mbcnt_lo_u32_b32 v10, exec_lo, 0
	v_mbcnt_hi_u32_b32 v10, exec_hi, v10
	v_cmp_eq_u32_e32 vcc, 0, v10
	s_and_saveexec_b64 s[24:25], vcc
	s_cbranch_execz .LBB61_34
; %bb.33:                               ;   in Loop: Header=BB61_8 Depth=1
	v_mov_b32_e32 v10, s23
	global_atomic_smin v2, v10, s[14:15]
.LBB61_34:                              ;   in Loop: Header=BB61_8 Depth=1
	s_or_b64 exec, exec, s[24:25]
	v_mov_b32_e32 v12, 0
	v_mov_b32_e32 v10, 0
	;; [unrolled: 1-line block ×4, first 2 shown]
.LBB61_35:                              ;   in Loop: Header=BB61_8 Depth=1
	s_or_b64 exec, exec, s[2:3]
	v_mul_f64 v[14:15], v[12:13], v[12:13]
	v_fma_f64 v[14:15], v[10:11], v[10:11], v[14:15]
	v_div_scale_f64 v[29:30], s[2:3], v[14:15], v[14:15], 1.0
	v_rcp_f64_e32 v[31:32], v[29:30]
	v_fma_f64 v[33:34], -v[29:30], v[31:32], 1.0
	v_fma_f64 v[31:32], v[31:32], v[33:34], v[31:32]
	v_div_scale_f64 v[33:34], vcc, 1.0, v[14:15], 1.0
	v_fma_f64 v[35:36], -v[29:30], v[31:32], 1.0
	v_fma_f64 v[35:36], v[31:32], v[35:36], v[31:32]
	v_mul_f64 v[37:38], v[33:34], v[35:36]
	v_fma_f64 v[33:34], -v[29:30], v[37:38], v[33:34]
	ds_read_b128 v[29:32], v25
	s_waitcnt lgkmcnt(0)
	v_add_f64 v[5:6], v[5:6], -v[31:32]
	v_add_f64 v[3:4], v[3:4], -v[29:30]
	v_div_fmas_f64 v[31:32], v[33:34], v[35:36], v[37:38]
	v_mul_f64 v[29:30], v[12:13], v[5:6]
	v_mul_f64 v[12:13], v[12:13], -v[3:4]
	v_fma_f64 v[3:4], v[3:4], v[10:11], v[29:30]
	v_fma_f64 v[5:6], v[5:6], v[10:11], v[12:13]
	v_div_fixup_f64 v[14:15], v[31:32], v[14:15], 1.0
	v_mul_f64 v[3:4], v[14:15], v[3:4]
	v_mul_f64 v[5:6], v[14:15], v[5:6]
	ds_write_b128 v22, v[3:6]
	s_waitcnt lgkmcnt(0)
	ds_read_b128 v[10:13], v27
	ds_read_b128 v[29:32], v18
	s_waitcnt lgkmcnt(0)
	v_fma_f64 v[14:15], v[3:4], v[10:11], v[29:30]
	v_fma_f64 v[29:30], v[5:6], v[10:11], v[31:32]
	;; [unrolled: 1-line block ×3, first 2 shown]
	v_fma_f64 v[12:13], v[3:4], -v[12:13], v[29:30]
	ds_write_b128 v18, v[10:13]
	s_waitcnt lgkmcnt(0)
	ds_read_b128 v[10:13], v2 offset:80
	ds_read_b128 v[3:6], v22 offset:16
	s_waitcnt lgkmcnt(1)
	v_cmp_neq_f64_e32 vcc, 0, v[10:11]
	v_cmp_neq_f64_e64 s[2:3], 0, v[12:13]
	s_or_b64 vcc, vcc, s[2:3]
	v_cndmask_b32_e32 v11, v28, v11, vcc
	s_nor_b64 s[24:25], vcc, s[0:1]
	v_cndmask_b32_e32 v10, 0, v10, vcc
	v_cndmask_b32_e32 v13, 0, v13, vcc
	;; [unrolled: 1-line block ×3, first 2 shown]
	s_and_saveexec_b64 s[2:3], s[24:25]
	s_cbranch_execz .LBB61_39
; %bb.36:                               ;   in Loop: Header=BB61_8 Depth=1
	v_mbcnt_lo_u32_b32 v10, exec_lo, 0
	v_mbcnt_hi_u32_b32 v10, exec_hi, v10
	v_cmp_eq_u32_e32 vcc, 0, v10
	s_and_saveexec_b64 s[24:25], vcc
	s_cbranch_execz .LBB61_38
; %bb.37:                               ;   in Loop: Header=BB61_8 Depth=1
	v_mov_b32_e32 v10, s23
	global_atomic_smin v2, v10, s[14:15]
.LBB61_38:                              ;   in Loop: Header=BB61_8 Depth=1
	s_or_b64 exec, exec, s[24:25]
	v_mov_b32_e32 v12, 0
	v_mov_b32_e32 v10, 0
	;; [unrolled: 1-line block ×4, first 2 shown]
.LBB61_39:                              ;   in Loop: Header=BB61_8 Depth=1
	s_or_b64 exec, exec, s[2:3]
	v_mul_f64 v[14:15], v[12:13], v[12:13]
	v_fma_f64 v[14:15], v[10:11], v[10:11], v[14:15]
	v_div_scale_f64 v[41:42], s[2:3], v[14:15], v[14:15], 1.0
	v_div_scale_f64 v[43:44], vcc, 1.0, v[14:15], 1.0
	v_rcp_f64_e32 v[29:30], v[41:42]
	v_fma_f64 v[31:32], -v[41:42], v[29:30], 1.0
	v_fma_f64 v[33:34], v[29:30], v[31:32], v[29:30]
	ds_read_b128 v[29:32], v2 offset:64
	v_fma_f64 v[35:36], -v[41:42], v[33:34], 1.0
	v_fma_f64 v[45:46], v[33:34], v[35:36], v[33:34]
	ds_read_b128 v[33:36], v22
	ds_read_b128 v[37:40], v25 offset:16
	s_waitcnt lgkmcnt(0)
	v_fma_f64 v[39:40], v[31:32], v[33:34], v[39:40]
	v_fma_f64 v[33:34], v[29:30], v[33:34], v[37:38]
	v_mul_f64 v[47:48], v[43:44], v[45:46]
	v_fma_f64 v[29:30], v[29:30], -v[35:36], v[39:40]
	v_fma_f64 v[31:32], v[31:32], v[35:36], v[33:34]
	v_fma_f64 v[37:38], -v[41:42], v[47:48], v[43:44]
	v_add_f64 v[5:6], v[5:6], -v[29:30]
	v_add_f64 v[3:4], v[3:4], -v[31:32]
	v_div_fmas_f64 v[29:30], v[37:38], v[45:46], v[47:48]
	v_mul_f64 v[31:32], v[12:13], v[5:6]
	v_mul_f64 v[12:13], v[12:13], -v[3:4]
	v_fma_f64 v[3:4], v[3:4], v[10:11], v[31:32]
	v_fma_f64 v[5:6], v[5:6], v[10:11], v[12:13]
	v_div_fixup_f64 v[14:15], v[29:30], v[14:15], 1.0
	v_mul_f64 v[3:4], v[14:15], v[3:4]
	v_mul_f64 v[5:6], v[14:15], v[5:6]
	ds_write_b128 v22, v[3:6] offset:16
	s_waitcnt lgkmcnt(0)
	ds_read_b128 v[10:13], v27 offset:16
	ds_read_b128 v[29:32], v18
	s_waitcnt lgkmcnt(0)
	v_fma_f64 v[14:15], v[3:4], v[10:11], v[29:30]
	v_fma_f64 v[29:30], v[5:6], v[10:11], v[31:32]
	;; [unrolled: 1-line block ×3, first 2 shown]
	v_fma_f64 v[12:13], v[3:4], -v[12:13], v[29:30]
	ds_write_b128 v18, v[10:13]
	s_waitcnt lgkmcnt(0)
	ds_read_b128 v[10:13], v2 offset:160
	ds_read_b128 v[3:6], v22 offset:32
	s_waitcnt lgkmcnt(1)
	v_cmp_neq_f64_e32 vcc, 0, v[10:11]
	v_cmp_neq_f64_e64 s[2:3], 0, v[12:13]
	s_or_b64 vcc, vcc, s[2:3]
	v_cndmask_b32_e32 v11, v28, v11, vcc
	s_nor_b64 s[24:25], vcc, s[0:1]
	v_cndmask_b32_e32 v10, 0, v10, vcc
	v_cndmask_b32_e32 v13, 0, v13, vcc
	;; [unrolled: 1-line block ×3, first 2 shown]
	s_and_saveexec_b64 s[2:3], s[24:25]
	s_cbranch_execz .LBB61_7
; %bb.40:                               ;   in Loop: Header=BB61_8 Depth=1
	v_mbcnt_lo_u32_b32 v10, exec_lo, 0
	v_mbcnt_hi_u32_b32 v10, exec_hi, v10
	v_cmp_eq_u32_e32 vcc, 0, v10
	s_and_saveexec_b64 s[24:25], vcc
	s_cbranch_execz .LBB61_6
; %bb.41:                               ;   in Loop: Header=BB61_8 Depth=1
	v_mov_b32_e32 v10, s23
	global_atomic_smin v2, v10, s[14:15]
	s_branch .LBB61_6
.LBB61_42:                              ;   in Loop: Header=BB61_8 Depth=1
                                        ; implicit-def: $sgpr22
	s_cbranch_execz .LBB61_8
.LBB61_43:
	s_cmp_lg_u32 s33, 0
	s_cselect_b64 s[8:9], -1, 0
	s_cmp_eq_u32 s33, 0
	v_mov_b32_e32 v2, v16
	s_cbranch_scc1 .LBB61_45
; %bb.44:
	v_mad_u32_u24 v2, v0, 3, v1
.LBB61_45:
	s_mul_i32 s30, s30, 9
	v_add_u32_e32 v2, s30, v2
	v_ashrrev_i32_e32 v3, 31, v2
	v_lshlrev_b64 v[2:3], 4, v[2:3]
	v_mov_b32_e32 v4, s21
	v_add_co_u32_e32 v2, vcc, s20, v2
	v_addc_co_u32_e32 v3, vcc, v4, v3, vcc
	global_load_dwordx4 v[2:5], v[2:3], off
	v_mov_b32_e32 v6, 0x180
	v_lshl_add_u32 v9, v1, 6, v6
	v_cmp_ne_u32_e64 s[2:3], 0, v1
	v_lshl_add_u32 v8, v0, 4, v9
	v_cmp_eq_u32_e32 vcc, 0, v1
	s_waitcnt vmcnt(0)
	ds_write2_b64 v8, v[2:3], v[4:5] offset1:1
	s_waitcnt lgkmcnt(0)
	s_and_saveexec_b64 s[0:1], vcc
	s_cbranch_execz .LBB61_54
; %bb.46:
	v_mov_b32_e32 v6, 0
	ds_read_b128 v[2:5], v6 offset:576
	ds_read_b128 v[10:13], v6 offset:384
	s_waitcnt lgkmcnt(0)
	v_add_f64 v[2:3], v[10:11], -v[2:3]
	v_add_f64 v[6:7], v[12:13], -v[4:5]
	v_cmp_gt_f64_e32 vcc, 0, v[2:3]
	v_xor_b32_e32 v4, 0x80000000, v3
	v_xor_b32_e32 v5, 0x80000000, v7
	v_cndmask_b32_e32 v3, v3, v4, vcc
	v_cmp_gt_f64_e32 vcc, 0, v[6:7]
	v_mov_b32_e32 v4, v6
	v_cndmask_b32_e32 v5, v7, v5, vcc
	v_cmp_ngt_f64_e32 vcc, v[2:3], v[4:5]
	s_cbranch_vccz .LBB61_51
; %bb.47:
	v_cmp_eq_f64_e32 vcc, 0, v[6:7]
	s_mov_b64 s[4:5], 0
	s_cbranch_vccnz .LBB61_95
; %bb.48:
	v_div_scale_f64 v[6:7], s[16:17], v[4:5], v[4:5], v[2:3]
	s_mov_b32 s16, 0
	s_brev_b32 s17, 8
	v_rcp_f64_e32 v[10:11], v[6:7]
	v_fma_f64 v[12:13], -v[6:7], v[10:11], 1.0
	v_fma_f64 v[10:11], v[10:11], v[12:13], v[10:11]
	v_div_scale_f64 v[12:13], vcc, v[2:3], v[4:5], v[2:3]
	v_fma_f64 v[14:15], -v[6:7], v[10:11], 1.0
	v_fma_f64 v[10:11], v[10:11], v[14:15], v[10:11]
	v_mul_f64 v[14:15], v[12:13], v[10:11]
	v_fma_f64 v[6:7], -v[6:7], v[14:15], v[12:13]
	v_div_fmas_f64 v[6:7], v[6:7], v[10:11], v[14:15]
	v_div_fixup_f64 v[6:7], v[6:7], v[4:5], v[2:3]
	v_fma_f64 v[6:7], v[6:7], v[6:7], 1.0
	v_cmp_gt_f64_e32 vcc, s[16:17], v[6:7]
	s_and_b64 s[16:17], vcc, exec
	s_cselect_b32 s16, 0x100, 0
	v_ldexp_f64 v[6:7], v[6:7], s16
	s_cselect_b32 s16, 0xffffff80, 0
	v_rsq_f64_e32 v[10:11], v[6:7]
	v_mul_f64 v[12:13], v[6:7], v[10:11]
	v_mul_f64 v[10:11], v[10:11], 0.5
	v_fma_f64 v[14:15], -v[10:11], v[12:13], 0.5
	v_fma_f64 v[12:13], v[12:13], v[14:15], v[12:13]
	v_fma_f64 v[10:11], v[10:11], v[14:15], v[10:11]
	v_fma_f64 v[14:15], -v[12:13], v[12:13], v[6:7]
	v_fma_f64 v[12:13], v[14:15], v[10:11], v[12:13]
	v_fma_f64 v[14:15], -v[12:13], v[12:13], v[6:7]
	v_fma_f64 v[10:11], v[14:15], v[10:11], v[12:13]
	v_mov_b32_e32 v12, 0x260
	v_cmp_class_f64_e32 vcc, v[6:7], v12
	v_ldexp_f64 v[10:11], v[10:11], s16
	v_cndmask_b32_e32 v7, v11, v7, vcc
	v_cndmask_b32_e32 v6, v10, v6, vcc
	v_mul_f64 v[6:7], v[4:5], v[6:7]
	s_andn2_b64 vcc, exec, s[4:5]
	s_cbranch_vccz .LBB61_52
	s_branch .LBB61_53
.LBB61_49:
	s_cbranch_execnz .LBB61_89
.LBB61_50:
	s_endpgm
.LBB61_51:
                                        ; implicit-def: $vgpr6_vgpr7
.LBB61_52:
	v_div_scale_f64 v[6:7], s[4:5], v[2:3], v[2:3], v[4:5]
	s_mov_b32 s4, 0
	s_brev_b32 s5, 8
	v_rcp_f64_e32 v[10:11], v[6:7]
	v_fma_f64 v[12:13], -v[6:7], v[10:11], 1.0
	v_fma_f64 v[10:11], v[10:11], v[12:13], v[10:11]
	v_div_scale_f64 v[12:13], vcc, v[4:5], v[2:3], v[4:5]
	v_fma_f64 v[14:15], -v[6:7], v[10:11], 1.0
	v_fma_f64 v[10:11], v[10:11], v[14:15], v[10:11]
	v_mul_f64 v[14:15], v[12:13], v[10:11]
	v_fma_f64 v[6:7], -v[6:7], v[14:15], v[12:13]
	v_div_fmas_f64 v[6:7], v[6:7], v[10:11], v[14:15]
	v_div_fixup_f64 v[4:5], v[6:7], v[2:3], v[4:5]
	v_fma_f64 v[4:5], v[4:5], v[4:5], 1.0
	v_cmp_gt_f64_e32 vcc, s[4:5], v[4:5]
	s_and_b64 s[4:5], vcc, exec
	s_cselect_b32 s4, 0x100, 0
	v_ldexp_f64 v[4:5], v[4:5], s4
	s_cselect_b32 s4, 0xffffff80, 0
	v_rsq_f64_e32 v[6:7], v[4:5]
	v_mul_f64 v[10:11], v[4:5], v[6:7]
	v_mul_f64 v[6:7], v[6:7], 0.5
	v_fma_f64 v[12:13], -v[6:7], v[10:11], 0.5
	v_fma_f64 v[10:11], v[10:11], v[12:13], v[10:11]
	v_fma_f64 v[6:7], v[6:7], v[12:13], v[6:7]
	v_fma_f64 v[12:13], -v[10:11], v[10:11], v[4:5]
	v_fma_f64 v[10:11], v[12:13], v[6:7], v[10:11]
	v_fma_f64 v[12:13], -v[10:11], v[10:11], v[4:5]
	v_fma_f64 v[6:7], v[12:13], v[6:7], v[10:11]
	v_mov_b32_e32 v10, 0x260
	v_cmp_class_f64_e32 vcc, v[4:5], v10
	v_ldexp_f64 v[6:7], v[6:7], s4
	v_cndmask_b32_e32 v5, v7, v5, vcc
	v_cndmask_b32_e32 v4, v6, v4, vcc
	v_mul_f64 v[6:7], v[2:3], v[4:5]
.LBB61_53:
	s_mov_b32 s4, 0
	s_brev_b32 s5, 8
	v_cmp_gt_f64_e32 vcc, s[4:5], v[6:7]
	s_and_b64 s[4:5], vcc, exec
	s_cselect_b32 s4, 0x100, 0
	v_ldexp_f64 v[2:3], v[6:7], s4
	s_cselect_b32 s4, 0xffffff80, 0
	v_rsq_f64_e32 v[4:5], v[2:3]
	v_mul_f64 v[6:7], v[2:3], v[4:5]
	v_mul_f64 v[4:5], v[4:5], 0.5
	v_fma_f64 v[10:11], -v[4:5], v[6:7], 0.5
	v_fma_f64 v[6:7], v[6:7], v[10:11], v[6:7]
	v_fma_f64 v[4:5], v[4:5], v[10:11], v[4:5]
	v_fma_f64 v[10:11], -v[6:7], v[6:7], v[2:3]
	v_fma_f64 v[6:7], v[10:11], v[4:5], v[6:7]
	v_fma_f64 v[10:11], -v[6:7], v[6:7], v[2:3]
	v_fma_f64 v[4:5], v[10:11], v[4:5], v[6:7]
	v_mov_b32_e32 v7, 0x260
	v_cmp_class_f64_e32 vcc, v[2:3], v7
	v_ldexp_f64 v[5:6], v[4:5], s4
	v_mov_b32_e32 v4, 0
	v_cndmask_b32_e32 v3, v6, v3, vcc
	v_cndmask_b32_e32 v2, v5, v2, vcc
	v_mov_b32_e32 v5, v4
	ds_write_b128 v4, v[2:5] offset:384
.LBB61_54:
	s_or_b64 exec, exec, s[0:1]
	v_mov_b32_e32 v2, 0
	s_waitcnt lgkmcnt(0)
	ds_read_b128 v[2:5], v2 offset:384
	v_or_b32_e32 v10, v0, v1
	v_mov_b32_e32 v6, 0x3ff00000
	v_cmp_ne_u32_e64 s[0:1], 0, v10
	s_add_i32 s18, s12, s13
	s_waitcnt lgkmcnt(0)
	v_cmp_neq_f64_e32 vcc, 0, v[2:3]
	v_cmp_neq_f64_e64 s[4:5], 0, v[4:5]
	s_or_b64 vcc, vcc, s[4:5]
	v_cndmask_b32_e32 v3, v6, v3, vcc
	s_nor_b64 s[16:17], vcc, s[0:1]
	v_cndmask_b32_e32 v2, 0, v2, vcc
	v_cndmask_b32_e32 v5, 0, v5, vcc
	v_cndmask_b32_e32 v4, 0, v4, vcc
	s_and_saveexec_b64 s[4:5], s[16:17]
	s_cbranch_execz .LBB61_58
; %bb.55:
	v_mbcnt_lo_u32_b32 v2, exec_lo, 0
	v_mbcnt_hi_u32_b32 v2, exec_hi, v2
	v_cmp_eq_u32_e32 vcc, 0, v2
	s_and_saveexec_b64 s[16:17], vcc
	s_cbranch_execz .LBB61_57
; %bb.56:
	v_mov_b32_e32 v2, 0
	v_mov_b32_e32 v3, s18
	global_atomic_smin v2, v3, s[14:15]
.LBB61_57:
	s_or_b64 exec, exec, s[16:17]
	v_mov_b32_e32 v4, 0
	v_mov_b32_e32 v2, 0
	;; [unrolled: 1-line block ×4, first 2 shown]
.LBB61_58:
	s_or_b64 exec, exec, s[4:5]
	v_mov_b32_e32 v6, 0x180
	v_lshl_add_u32 v11, v0, 6, v6
	s_and_saveexec_b64 s[4:5], s[2:3]
	s_cbranch_execz .LBB61_60
; %bb.59:
	v_mul_f64 v[6:7], v[4:5], v[4:5]
	v_fma_f64 v[6:7], v[2:3], v[2:3], v[6:7]
	v_div_scale_f64 v[12:13], s[2:3], v[6:7], v[6:7], 1.0
	v_rcp_f64_e32 v[14:15], v[12:13]
	v_fma_f64 v[20:21], -v[12:13], v[14:15], 1.0
	v_fma_f64 v[14:15], v[14:15], v[20:21], v[14:15]
	v_div_scale_f64 v[20:21], vcc, 1.0, v[6:7], 1.0
	v_fma_f64 v[22:23], -v[12:13], v[14:15], 1.0
	v_fma_f64 v[24:25], v[14:15], v[22:23], v[14:15]
	v_mul_f64 v[26:27], v[20:21], v[24:25]
	v_fma_f64 v[28:29], -v[12:13], v[26:27], v[20:21]
	ds_read_b128 v[12:15], v9
	ds_read_b128 v[20:23], v19
	s_waitcnt lgkmcnt(0)
	v_add_f64 v[14:15], v[14:15], -v[22:23]
	v_add_f64 v[12:13], v[12:13], -v[20:21]
	v_div_fmas_f64 v[22:23], v[28:29], v[24:25], v[26:27]
	v_mul_f64 v[20:21], v[4:5], v[14:15]
	v_mul_f64 v[4:5], v[4:5], -v[12:13]
	v_fma_f64 v[12:13], v[12:13], v[2:3], v[20:21]
	v_fma_f64 v[4:5], v[14:15], v[2:3], v[4:5]
	v_div_fixup_f64 v[6:7], v[22:23], v[6:7], 1.0
	v_mul_f64 v[2:3], v[6:7], v[12:13]
	v_mul_f64 v[4:5], v[6:7], v[4:5]
	ds_write_b128 v9, v[2:5]
	s_waitcnt lgkmcnt(0)
	ds_read_b128 v[12:15], v11
	ds_read_b128 v[20:23], v18
	s_waitcnt lgkmcnt(0)
	v_fma_f64 v[6:7], v[2:3], v[12:13], v[20:21]
	v_fma_f64 v[12:13], v[4:5], v[12:13], v[22:23]
	;; [unrolled: 1-line block ×3, first 2 shown]
	v_fma_f64 v[6:7], v[2:3], -v[14:15], v[12:13]
	ds_write_b128 v18, v[4:7]
.LBB61_60:
	s_or_b64 exec, exec, s[4:5]
	v_cmp_eq_u32_e32 vcc, 1, v1
	s_waitcnt lgkmcnt(0)
	s_and_saveexec_b64 s[2:3], vcc
	s_cbranch_execz .LBB61_67
; %bb.61:
	v_mov_b32_e32 v6, 0
	ds_read_b128 v[2:5], v6 offset:656
	ds_read_b128 v[12:15], v6 offset:464
	s_waitcnt lgkmcnt(0)
	v_add_f64 v[2:3], v[12:13], -v[2:3]
	v_add_f64 v[6:7], v[14:15], -v[4:5]
	v_cmp_gt_f64_e32 vcc, 0, v[2:3]
	v_xor_b32_e32 v4, 0x80000000, v3
	v_xor_b32_e32 v5, 0x80000000, v7
	v_cndmask_b32_e32 v3, v3, v4, vcc
	v_cmp_gt_f64_e32 vcc, 0, v[6:7]
	v_mov_b32_e32 v4, v6
	v_cndmask_b32_e32 v5, v7, v5, vcc
	v_cmp_gt_f64_e32 vcc, v[2:3], v[4:5]
	s_cbranch_vccnz .LBB61_64
; %bb.62:
	v_cmp_eq_f64_e32 vcc, 0, v[6:7]
	s_mov_b64 s[4:5], 0
	s_cbranch_vccnz .LBB61_96
; %bb.63:
	v_div_scale_f64 v[6:7], s[16:17], v[4:5], v[4:5], v[2:3]
	s_mov_b32 s16, 0
	s_brev_b32 s17, 8
	v_rcp_f64_e32 v[12:13], v[6:7]
	v_fma_f64 v[14:15], -v[6:7], v[12:13], 1.0
	v_fma_f64 v[12:13], v[12:13], v[14:15], v[12:13]
	v_div_scale_f64 v[14:15], vcc, v[2:3], v[4:5], v[2:3]
	v_fma_f64 v[20:21], -v[6:7], v[12:13], 1.0
	v_fma_f64 v[12:13], v[12:13], v[20:21], v[12:13]
	v_mul_f64 v[20:21], v[14:15], v[12:13]
	v_fma_f64 v[6:7], -v[6:7], v[20:21], v[14:15]
	v_div_fmas_f64 v[6:7], v[6:7], v[12:13], v[20:21]
	v_div_fixup_f64 v[6:7], v[6:7], v[4:5], v[2:3]
	v_fma_f64 v[6:7], v[6:7], v[6:7], 1.0
	v_cmp_gt_f64_e32 vcc, s[16:17], v[6:7]
	s_and_b64 s[16:17], vcc, exec
	s_cselect_b32 s16, 0x100, 0
	v_ldexp_f64 v[6:7], v[6:7], s16
	s_cselect_b32 s16, 0xffffff80, 0
	v_rsq_f64_e32 v[12:13], v[6:7]
	v_mul_f64 v[14:15], v[6:7], v[12:13]
	v_mul_f64 v[12:13], v[12:13], 0.5
	v_fma_f64 v[20:21], -v[12:13], v[14:15], 0.5
	v_fma_f64 v[14:15], v[14:15], v[20:21], v[14:15]
	v_fma_f64 v[12:13], v[12:13], v[20:21], v[12:13]
	v_fma_f64 v[20:21], -v[14:15], v[14:15], v[6:7]
	v_fma_f64 v[14:15], v[20:21], v[12:13], v[14:15]
	v_fma_f64 v[20:21], -v[14:15], v[14:15], v[6:7]
	v_fma_f64 v[12:13], v[20:21], v[12:13], v[14:15]
	v_mov_b32_e32 v14, 0x260
	v_cmp_class_f64_e32 vcc, v[6:7], v14
	v_ldexp_f64 v[12:13], v[12:13], s16
	v_cndmask_b32_e32 v7, v13, v7, vcc
	v_cndmask_b32_e32 v6, v12, v6, vcc
	v_mul_f64 v[6:7], v[4:5], v[6:7]
	s_andn2_b64 vcc, exec, s[4:5]
	s_cbranch_vccz .LBB61_65
	s_branch .LBB61_66
.LBB61_64:
                                        ; implicit-def: $vgpr6_vgpr7
.LBB61_65:
	v_div_scale_f64 v[6:7], s[4:5], v[2:3], v[2:3], v[4:5]
	s_mov_b32 s4, 0
	s_brev_b32 s5, 8
	v_rcp_f64_e32 v[12:13], v[6:7]
	v_fma_f64 v[14:15], -v[6:7], v[12:13], 1.0
	v_fma_f64 v[12:13], v[12:13], v[14:15], v[12:13]
	v_div_scale_f64 v[14:15], vcc, v[4:5], v[2:3], v[4:5]
	v_fma_f64 v[20:21], -v[6:7], v[12:13], 1.0
	v_fma_f64 v[12:13], v[12:13], v[20:21], v[12:13]
	v_mul_f64 v[20:21], v[14:15], v[12:13]
	v_fma_f64 v[6:7], -v[6:7], v[20:21], v[14:15]
	v_div_fmas_f64 v[6:7], v[6:7], v[12:13], v[20:21]
	v_div_fixup_f64 v[4:5], v[6:7], v[2:3], v[4:5]
	v_fma_f64 v[4:5], v[4:5], v[4:5], 1.0
	v_cmp_gt_f64_e32 vcc, s[4:5], v[4:5]
	s_and_b64 s[4:5], vcc, exec
	s_cselect_b32 s4, 0x100, 0
	v_ldexp_f64 v[4:5], v[4:5], s4
	s_cselect_b32 s4, 0xffffff80, 0
	v_rsq_f64_e32 v[6:7], v[4:5]
	v_mul_f64 v[12:13], v[4:5], v[6:7]
	v_mul_f64 v[6:7], v[6:7], 0.5
	v_fma_f64 v[14:15], -v[6:7], v[12:13], 0.5
	v_fma_f64 v[12:13], v[12:13], v[14:15], v[12:13]
	v_fma_f64 v[6:7], v[6:7], v[14:15], v[6:7]
	v_fma_f64 v[14:15], -v[12:13], v[12:13], v[4:5]
	v_fma_f64 v[12:13], v[14:15], v[6:7], v[12:13]
	v_fma_f64 v[14:15], -v[12:13], v[12:13], v[4:5]
	v_fma_f64 v[6:7], v[14:15], v[6:7], v[12:13]
	v_mov_b32_e32 v12, 0x260
	v_cmp_class_f64_e32 vcc, v[4:5], v12
	v_ldexp_f64 v[6:7], v[6:7], s4
	v_cndmask_b32_e32 v5, v7, v5, vcc
	v_cndmask_b32_e32 v4, v6, v4, vcc
	v_mul_f64 v[6:7], v[2:3], v[4:5]
.LBB61_66:
	s_mov_b32 s4, 0
	s_brev_b32 s5, 8
	v_cmp_gt_f64_e32 vcc, s[4:5], v[6:7]
	s_and_b64 s[4:5], vcc, exec
	s_cselect_b32 s4, 0x100, 0
	v_ldexp_f64 v[2:3], v[6:7], s4
	s_cselect_b32 s4, 0xffffff80, 0
	v_rsq_f64_e32 v[4:5], v[2:3]
	v_mul_f64 v[6:7], v[2:3], v[4:5]
	v_mul_f64 v[4:5], v[4:5], 0.5
	v_fma_f64 v[12:13], -v[4:5], v[6:7], 0.5
	v_fma_f64 v[6:7], v[6:7], v[12:13], v[6:7]
	v_fma_f64 v[4:5], v[4:5], v[12:13], v[4:5]
	v_fma_f64 v[12:13], -v[6:7], v[6:7], v[2:3]
	v_fma_f64 v[6:7], v[12:13], v[4:5], v[6:7]
	v_fma_f64 v[12:13], -v[6:7], v[6:7], v[2:3]
	v_fma_f64 v[4:5], v[12:13], v[4:5], v[6:7]
	v_mov_b32_e32 v7, 0x260
	v_cmp_class_f64_e32 vcc, v[2:3], v7
	v_ldexp_f64 v[5:6], v[4:5], s4
	v_mov_b32_e32 v4, 0
	v_cndmask_b32_e32 v3, v6, v3, vcc
	v_cndmask_b32_e32 v2, v5, v2, vcc
	v_mov_b32_e32 v5, v4
	ds_write_b128 v4, v[2:5] offset:464
.LBB61_67:
	s_or_b64 exec, exec, s[2:3]
	v_mov_b32_e32 v2, 0
	s_waitcnt lgkmcnt(0)
	ds_read_b128 v[2:5], v2 offset:464
	v_mov_b32_e32 v6, 0x3ff00000
	s_waitcnt lgkmcnt(0)
	v_cmp_neq_f64_e32 vcc, 0, v[2:3]
	v_cmp_neq_f64_e64 s[2:3], 0, v[4:5]
	s_or_b64 vcc, vcc, s[2:3]
	v_cndmask_b32_e32 v3, v6, v3, vcc
	s_nor_b64 s[4:5], vcc, s[0:1]
	v_cndmask_b32_e32 v2, 0, v2, vcc
	v_cndmask_b32_e32 v5, 0, v5, vcc
	;; [unrolled: 1-line block ×3, first 2 shown]
	s_and_saveexec_b64 s[2:3], s[4:5]
	s_cbranch_execz .LBB61_71
; %bb.68:
	v_mbcnt_lo_u32_b32 v2, exec_lo, 0
	v_mbcnt_hi_u32_b32 v2, exec_hi, v2
	v_cmp_eq_u32_e32 vcc, 0, v2
	s_and_saveexec_b64 s[4:5], vcc
	s_cbranch_execz .LBB61_70
; %bb.69:
	v_mov_b32_e32 v2, 0
	v_mov_b32_e32 v3, s18
	global_atomic_smin v2, v3, s[14:15]
.LBB61_70:
	s_or_b64 exec, exec, s[4:5]
	v_mov_b32_e32 v4, 0
	v_mov_b32_e32 v2, 0
	;; [unrolled: 1-line block ×4, first 2 shown]
.LBB61_71:
	s_or_b64 exec, exec, s[2:3]
	v_cmp_lt_u32_e32 vcc, 1, v1
	s_and_saveexec_b64 s[2:3], vcc
	s_cbranch_execz .LBB61_73
; %bb.72:
	v_mul_f64 v[6:7], v[4:5], v[4:5]
	v_fma_f64 v[6:7], v[2:3], v[2:3], v[6:7]
	v_div_scale_f64 v[12:13], s[4:5], v[6:7], v[6:7], 1.0
	v_rcp_f64_e32 v[14:15], v[12:13]
	v_fma_f64 v[20:21], -v[12:13], v[14:15], 1.0
	v_fma_f64 v[14:15], v[14:15], v[20:21], v[14:15]
	v_div_scale_f64 v[20:21], vcc, 1.0, v[6:7], 1.0
	v_fma_f64 v[22:23], -v[12:13], v[14:15], 1.0
	v_fma_f64 v[24:25], v[14:15], v[22:23], v[14:15]
	v_mul_f64 v[26:27], v[20:21], v[24:25]
	v_fma_f64 v[28:29], -v[12:13], v[26:27], v[20:21]
	ds_read_b128 v[12:15], v9 offset:16
	ds_read_b128 v[20:23], v19 offset:16
	s_waitcnt lgkmcnt(0)
	v_add_f64 v[14:15], v[14:15], -v[22:23]
	v_add_f64 v[12:13], v[12:13], -v[20:21]
	v_div_fmas_f64 v[22:23], v[28:29], v[24:25], v[26:27]
	v_mul_f64 v[20:21], v[4:5], v[14:15]
	v_mul_f64 v[4:5], v[4:5], -v[12:13]
	v_fma_f64 v[12:13], v[12:13], v[2:3], v[20:21]
	v_fma_f64 v[4:5], v[14:15], v[2:3], v[4:5]
	v_div_fixup_f64 v[6:7], v[22:23], v[6:7], 1.0
	v_mul_f64 v[2:3], v[6:7], v[12:13]
	v_mul_f64 v[4:5], v[6:7], v[4:5]
	ds_write_b128 v9, v[2:5] offset:16
	s_waitcnt lgkmcnt(0)
	ds_read_b128 v[12:15], v11 offset:16
	ds_read_b128 v[20:23], v18
	s_waitcnt lgkmcnt(0)
	v_fma_f64 v[6:7], v[2:3], v[12:13], v[20:21]
	v_fma_f64 v[12:13], v[4:5], v[12:13], v[22:23]
	;; [unrolled: 1-line block ×3, first 2 shown]
	v_fma_f64 v[6:7], v[2:3], -v[14:15], v[12:13]
	ds_write_b128 v18, v[4:7]
.LBB61_73:
	s_or_b64 exec, exec, s[2:3]
	v_cmp_eq_u32_e32 vcc, 2, v1
	s_waitcnt lgkmcnt(0)
	s_and_saveexec_b64 s[2:3], vcc
	s_cbranch_execz .LBB61_80
; %bb.74:
	v_mov_b32_e32 v6, 0
	ds_read_b128 v[2:5], v6 offset:736
	ds_read_b128 v[12:15], v6 offset:544
	s_waitcnt lgkmcnt(0)
	v_add_f64 v[2:3], v[12:13], -v[2:3]
	v_add_f64 v[6:7], v[14:15], -v[4:5]
	v_cmp_gt_f64_e32 vcc, 0, v[2:3]
	v_xor_b32_e32 v4, 0x80000000, v3
	v_xor_b32_e32 v5, 0x80000000, v7
	v_cndmask_b32_e32 v3, v3, v4, vcc
	v_cmp_gt_f64_e32 vcc, 0, v[6:7]
	v_mov_b32_e32 v4, v6
	v_cndmask_b32_e32 v5, v7, v5, vcc
	v_cmp_gt_f64_e32 vcc, v[2:3], v[4:5]
	s_cbranch_vccnz .LBB61_77
; %bb.75:
	v_cmp_eq_f64_e32 vcc, 0, v[6:7]
	s_mov_b64 s[4:5], 0
	s_cbranch_vccnz .LBB61_97
; %bb.76:
	v_div_scale_f64 v[6:7], s[16:17], v[4:5], v[4:5], v[2:3]
	s_mov_b32 s16, 0
	s_brev_b32 s17, 8
	v_rcp_f64_e32 v[12:13], v[6:7]
	v_fma_f64 v[14:15], -v[6:7], v[12:13], 1.0
	v_fma_f64 v[12:13], v[12:13], v[14:15], v[12:13]
	v_div_scale_f64 v[14:15], vcc, v[2:3], v[4:5], v[2:3]
	v_fma_f64 v[20:21], -v[6:7], v[12:13], 1.0
	v_fma_f64 v[12:13], v[12:13], v[20:21], v[12:13]
	v_mul_f64 v[20:21], v[14:15], v[12:13]
	v_fma_f64 v[6:7], -v[6:7], v[20:21], v[14:15]
	v_div_fmas_f64 v[6:7], v[6:7], v[12:13], v[20:21]
	v_div_fixup_f64 v[6:7], v[6:7], v[4:5], v[2:3]
	v_fma_f64 v[6:7], v[6:7], v[6:7], 1.0
	v_cmp_gt_f64_e32 vcc, s[16:17], v[6:7]
	s_and_b64 s[16:17], vcc, exec
	s_cselect_b32 s16, 0x100, 0
	v_ldexp_f64 v[6:7], v[6:7], s16
	s_cselect_b32 s16, 0xffffff80, 0
	v_rsq_f64_e32 v[12:13], v[6:7]
	v_mul_f64 v[14:15], v[6:7], v[12:13]
	v_mul_f64 v[12:13], v[12:13], 0.5
	v_fma_f64 v[20:21], -v[12:13], v[14:15], 0.5
	v_fma_f64 v[14:15], v[14:15], v[20:21], v[14:15]
	v_fma_f64 v[12:13], v[12:13], v[20:21], v[12:13]
	v_fma_f64 v[20:21], -v[14:15], v[14:15], v[6:7]
	v_fma_f64 v[14:15], v[20:21], v[12:13], v[14:15]
	v_fma_f64 v[20:21], -v[14:15], v[14:15], v[6:7]
	v_fma_f64 v[12:13], v[20:21], v[12:13], v[14:15]
	v_mov_b32_e32 v14, 0x260
	v_cmp_class_f64_e32 vcc, v[6:7], v14
	v_ldexp_f64 v[12:13], v[12:13], s16
	v_cndmask_b32_e32 v7, v13, v7, vcc
	v_cndmask_b32_e32 v6, v12, v6, vcc
	v_mul_f64 v[6:7], v[4:5], v[6:7]
	s_andn2_b64 vcc, exec, s[4:5]
	s_cbranch_vccz .LBB61_78
	s_branch .LBB61_79
.LBB61_77:
                                        ; implicit-def: $vgpr6_vgpr7
.LBB61_78:
	v_div_scale_f64 v[6:7], s[4:5], v[2:3], v[2:3], v[4:5]
	s_mov_b32 s4, 0
	s_brev_b32 s5, 8
	v_rcp_f64_e32 v[12:13], v[6:7]
	v_fma_f64 v[14:15], -v[6:7], v[12:13], 1.0
	v_fma_f64 v[12:13], v[12:13], v[14:15], v[12:13]
	v_div_scale_f64 v[14:15], vcc, v[4:5], v[2:3], v[4:5]
	v_fma_f64 v[20:21], -v[6:7], v[12:13], 1.0
	v_fma_f64 v[12:13], v[12:13], v[20:21], v[12:13]
	v_mul_f64 v[20:21], v[14:15], v[12:13]
	v_fma_f64 v[6:7], -v[6:7], v[20:21], v[14:15]
	v_div_fmas_f64 v[6:7], v[6:7], v[12:13], v[20:21]
	v_div_fixup_f64 v[4:5], v[6:7], v[2:3], v[4:5]
	v_fma_f64 v[4:5], v[4:5], v[4:5], 1.0
	v_cmp_gt_f64_e32 vcc, s[4:5], v[4:5]
	s_and_b64 s[4:5], vcc, exec
	s_cselect_b32 s4, 0x100, 0
	v_ldexp_f64 v[4:5], v[4:5], s4
	s_cselect_b32 s4, 0xffffff80, 0
	v_rsq_f64_e32 v[6:7], v[4:5]
	v_mul_f64 v[12:13], v[4:5], v[6:7]
	v_mul_f64 v[6:7], v[6:7], 0.5
	v_fma_f64 v[14:15], -v[6:7], v[12:13], 0.5
	v_fma_f64 v[12:13], v[12:13], v[14:15], v[12:13]
	v_fma_f64 v[6:7], v[6:7], v[14:15], v[6:7]
	v_fma_f64 v[14:15], -v[12:13], v[12:13], v[4:5]
	v_fma_f64 v[12:13], v[14:15], v[6:7], v[12:13]
	v_fma_f64 v[14:15], -v[12:13], v[12:13], v[4:5]
	v_fma_f64 v[6:7], v[14:15], v[6:7], v[12:13]
	v_mov_b32_e32 v12, 0x260
	v_cmp_class_f64_e32 vcc, v[4:5], v12
	v_ldexp_f64 v[6:7], v[6:7], s4
	v_cndmask_b32_e32 v5, v7, v5, vcc
	v_cndmask_b32_e32 v4, v6, v4, vcc
	v_mul_f64 v[6:7], v[2:3], v[4:5]
.LBB61_79:
	s_mov_b32 s4, 0
	s_brev_b32 s5, 8
	v_cmp_gt_f64_e32 vcc, s[4:5], v[6:7]
	s_and_b64 s[4:5], vcc, exec
	s_cselect_b32 s4, 0x100, 0
	v_ldexp_f64 v[2:3], v[6:7], s4
	s_cselect_b32 s4, 0xffffff80, 0
	v_rsq_f64_e32 v[4:5], v[2:3]
	v_mul_f64 v[6:7], v[2:3], v[4:5]
	v_mul_f64 v[4:5], v[4:5], 0.5
	v_fma_f64 v[12:13], -v[4:5], v[6:7], 0.5
	v_fma_f64 v[6:7], v[6:7], v[12:13], v[6:7]
	v_fma_f64 v[4:5], v[4:5], v[12:13], v[4:5]
	v_fma_f64 v[12:13], -v[6:7], v[6:7], v[2:3]
	v_fma_f64 v[6:7], v[12:13], v[4:5], v[6:7]
	v_fma_f64 v[12:13], -v[6:7], v[6:7], v[2:3]
	v_fma_f64 v[4:5], v[12:13], v[4:5], v[6:7]
	v_mov_b32_e32 v7, 0x260
	v_cmp_class_f64_e32 vcc, v[2:3], v7
	v_ldexp_f64 v[5:6], v[4:5], s4
	v_mov_b32_e32 v4, 0
	v_cndmask_b32_e32 v3, v6, v3, vcc
	v_cndmask_b32_e32 v2, v5, v2, vcc
	v_mov_b32_e32 v5, v4
	ds_write_b128 v4, v[2:5] offset:544
.LBB61_80:
	s_or_b64 exec, exec, s[2:3]
	v_mov_b32_e32 v2, 0
	s_waitcnt lgkmcnt(0)
	ds_read_b128 v[2:5], v2 offset:544
	v_mov_b32_e32 v6, 0x3ff00000
	s_waitcnt lgkmcnt(0)
	v_cmp_neq_f64_e32 vcc, 0, v[2:3]
	v_cmp_neq_f64_e64 s[2:3], 0, v[4:5]
	s_or_b64 vcc, vcc, s[2:3]
	v_cndmask_b32_e32 v3, v6, v3, vcc
	s_nor_b64 s[2:3], vcc, s[0:1]
	v_cndmask_b32_e32 v2, 0, v2, vcc
	v_cndmask_b32_e32 v5, 0, v5, vcc
	;; [unrolled: 1-line block ×3, first 2 shown]
	s_and_saveexec_b64 s[0:1], s[2:3]
	s_cbranch_execz .LBB61_93
; %bb.81:
	v_mbcnt_lo_u32_b32 v2, exec_lo, 0
	v_mbcnt_hi_u32_b32 v2, exec_hi, v2
	v_cmp_eq_u32_e32 vcc, 0, v2
	s_and_saveexec_b64 s[2:3], vcc
	s_cbranch_execz .LBB61_83
; %bb.82:
	v_mov_b32_e32 v2, 0
	v_mov_b32_e32 v3, s18
	global_atomic_smin v2, v3, s[14:15]
.LBB61_83:
	s_or_b64 exec, exec, s[2:3]
	v_mov_b32_e32 v4, 0
	v_mov_b32_e32 v2, 0
	;; [unrolled: 1-line block ×4, first 2 shown]
	s_or_b64 exec, exec, s[0:1]
	v_cmp_lt_u32_e32 vcc, 2, v1
	s_and_saveexec_b64 s[0:1], vcc
	s_cbranch_execnz .LBB61_94
.LBB61_84:
	s_or_b64 exec, exec, s[0:1]
	s_andn2_b64 vcc, exec, s[8:9]
	s_cbranch_vccnz .LBB61_86
.LBB61_85:
	v_mov_b32_e32 v16, v17
.LBB61_86:
	v_add_u32_e32 v2, s30, v16
	v_ashrrev_i32_e32 v3, 31, v2
	v_lshlrev_b64 v[6:7], 4, v[2:3]
	ds_read2_b64 v[2:5], v8 offset1:1
	v_mov_b32_e32 v9, s21
	v_add_co_u32_e32 v6, vcc, s20, v6
	v_addc_co_u32_e32 v7, vcc, v9, v7, vcc
	v_cmp_eq_u32_e32 vcc, 0, v10
	s_waitcnt lgkmcnt(0)
	global_store_dwordx4 v[6:7], v[2:5], off
	s_and_saveexec_b64 s[0:1], vcc
	s_cbranch_execz .LBB61_88
; %bb.87:
	s_add_u32 s2, s10, s6
	s_addc_u32 s3, s11, s7
	v_mov_b32_e32 v2, 0
	v_mov_b32_e32 v3, 1
	s_waitcnt vmcnt(0)
	global_store_dword v2, v3, s[2:3]
.LBB61_88:
	s_or_b64 exec, exec, s[0:1]
	s_branch .LBB61_50
.LBB61_89:
	v_or_b32_e32 v0, v0, v1
	v_cmp_eq_u32_e32 vcc, 0, v0
	s_and_saveexec_b64 s[0:1], vcc
	s_cbranch_execz .LBB61_50
; %bb.90:
	v_mbcnt_lo_u32_b32 v0, exec_lo, 0
	v_mbcnt_hi_u32_b32 v0, exec_hi, v0
	v_cmp_eq_u32_e32 vcc, 0, v0
	s_and_saveexec_b64 s[0:1], vcc
	s_cbranch_execz .LBB61_92
; %bb.91:
	s_add_i32 s2, s12, s13
	v_mov_b32_e32 v0, 0
	v_mov_b32_e32 v1, s2
	global_atomic_smin v0, v1, s[14:15]
.LBB61_92:
	s_or_b64 exec, exec, s[0:1]
	s_add_u32 s0, s10, s6
	s_addc_u32 s1, s11, s7
	v_mov_b32_e32 v0, 0
	v_mov_b32_e32 v1, 1
	s_waitcnt vmcnt(0)
	global_store_dword v0, v1, s[0:1]
	s_endpgm
.LBB61_93:
	s_or_b64 exec, exec, s[0:1]
	v_cmp_lt_u32_e32 vcc, 2, v1
	s_and_saveexec_b64 s[0:1], vcc
	s_cbranch_execz .LBB61_84
.LBB61_94:
	v_mul_f64 v[6:7], v[4:5], v[4:5]
	v_fma_f64 v[6:7], v[2:3], v[2:3], v[6:7]
	v_div_scale_f64 v[12:13], s[2:3], v[6:7], v[6:7], 1.0
	v_rcp_f64_e32 v[14:15], v[12:13]
	v_fma_f64 v[20:21], -v[12:13], v[14:15], 1.0
	v_fma_f64 v[14:15], v[14:15], v[20:21], v[14:15]
	v_div_scale_f64 v[20:21], vcc, 1.0, v[6:7], 1.0
	v_fma_f64 v[22:23], -v[12:13], v[14:15], 1.0
	v_fma_f64 v[23:24], v[14:15], v[22:23], v[14:15]
	v_mul_f64 v[25:26], v[20:21], v[23:24]
	v_fma_f64 v[27:28], -v[12:13], v[25:26], v[20:21]
	ds_read_b128 v[12:15], v9 offset:32
	ds_read_b128 v[19:22], v19 offset:32
	s_waitcnt lgkmcnt(0)
	v_add_f64 v[14:15], v[14:15], -v[21:22]
	v_add_f64 v[12:13], v[12:13], -v[19:20]
	v_div_fmas_f64 v[21:22], v[27:28], v[23:24], v[25:26]
	v_mul_f64 v[19:20], v[4:5], v[14:15]
	v_mul_f64 v[4:5], v[4:5], -v[12:13]
	v_fma_f64 v[12:13], v[12:13], v[2:3], v[19:20]
	v_fma_f64 v[4:5], v[14:15], v[2:3], v[4:5]
	v_div_fixup_f64 v[6:7], v[21:22], v[6:7], 1.0
	v_mul_f64 v[2:3], v[6:7], v[12:13]
	v_mul_f64 v[4:5], v[6:7], v[4:5]
	ds_write_b128 v9, v[2:5] offset:32
	s_waitcnt lgkmcnt(0)
	ds_read_b128 v[11:14], v11 offset:32
	ds_read_b128 v[19:22], v18
	s_waitcnt lgkmcnt(0)
	v_fma_f64 v[6:7], v[2:3], v[11:12], v[19:20]
	v_fma_f64 v[11:12], v[4:5], v[11:12], v[21:22]
	;; [unrolled: 1-line block ×3, first 2 shown]
	v_fma_f64 v[6:7], v[2:3], -v[13:14], v[11:12]
	ds_write_b128 v18, v[4:7]
	s_or_b64 exec, exec, s[0:1]
	s_andn2_b64 vcc, exec, s[8:9]
	s_waitcnt lgkmcnt(0)
	s_cbranch_vccz .LBB61_85
	s_branch .LBB61_86
.LBB61_95:
	v_mov_b32_e32 v6, 0
	v_mov_b32_e32 v7, 0
	s_andn2_b64 vcc, exec, s[4:5]
	s_cbranch_vccz .LBB61_52
	s_branch .LBB61_53
.LBB61_96:
	v_mov_b32_e32 v6, 0
	v_mov_b32_e32 v7, 0
	s_andn2_b64 vcc, exec, s[4:5]
	s_cbranch_vccz .LBB61_65
	s_branch .LBB61_66
.LBB61_97:
	v_mov_b32_e32 v6, 0
	v_mov_b32_e32 v7, 0
	s_andn2_b64 vcc, exec, s[4:5]
	s_cbranch_vccz .LBB61_78
	s_branch .LBB61_79
	.section	.rodata,"a",@progbits
	.p2align	6, 0x0
	.amdhsa_kernel _ZN9rocsparseL26bsric0_2_8_unrolled_kernelILi9ELi32ELi3E21rocsparse_complex_numIdEEEv20rocsparse_direction_iiPKiS5_PT2_S5_PiS5_S8_21rocsparse_index_base_
		.amdhsa_group_segment_fixed_size 1152
		.amdhsa_private_segment_fixed_size 0
		.amdhsa_kernarg_size 76
		.amdhsa_user_sgpr_count 6
		.amdhsa_user_sgpr_private_segment_buffer 1
		.amdhsa_user_sgpr_dispatch_ptr 0
		.amdhsa_user_sgpr_queue_ptr 0
		.amdhsa_user_sgpr_kernarg_segment_ptr 1
		.amdhsa_user_sgpr_dispatch_id 0
		.amdhsa_user_sgpr_flat_scratch_init 0
		.amdhsa_user_sgpr_private_segment_size 0
		.amdhsa_uses_dynamic_stack 0
		.amdhsa_system_sgpr_private_segment_wavefront_offset 0
		.amdhsa_system_sgpr_workgroup_id_x 1
		.amdhsa_system_sgpr_workgroup_id_y 0
		.amdhsa_system_sgpr_workgroup_id_z 0
		.amdhsa_system_sgpr_workgroup_info 0
		.amdhsa_system_vgpr_workitem_id 1
		.amdhsa_next_free_vgpr 53
		.amdhsa_next_free_sgpr 40
		.amdhsa_reserve_vcc 1
		.amdhsa_reserve_flat_scratch 0
		.amdhsa_float_round_mode_32 0
		.amdhsa_float_round_mode_16_64 0
		.amdhsa_float_denorm_mode_32 3
		.amdhsa_float_denorm_mode_16_64 3
		.amdhsa_dx10_clamp 1
		.amdhsa_ieee_mode 1
		.amdhsa_fp16_overflow 0
		.amdhsa_exception_fp_ieee_invalid_op 0
		.amdhsa_exception_fp_denorm_src 0
		.amdhsa_exception_fp_ieee_div_zero 0
		.amdhsa_exception_fp_ieee_overflow 0
		.amdhsa_exception_fp_ieee_underflow 0
		.amdhsa_exception_fp_ieee_inexact 0
		.amdhsa_exception_int_div_zero 0
	.end_amdhsa_kernel
	.section	.text._ZN9rocsparseL26bsric0_2_8_unrolled_kernelILi9ELi32ELi3E21rocsparse_complex_numIdEEEv20rocsparse_direction_iiPKiS5_PT2_S5_PiS5_S8_21rocsparse_index_base_,"axG",@progbits,_ZN9rocsparseL26bsric0_2_8_unrolled_kernelILi9ELi32ELi3E21rocsparse_complex_numIdEEEv20rocsparse_direction_iiPKiS5_PT2_S5_PiS5_S8_21rocsparse_index_base_,comdat
.Lfunc_end61:
	.size	_ZN9rocsparseL26bsric0_2_8_unrolled_kernelILi9ELi32ELi3E21rocsparse_complex_numIdEEEv20rocsparse_direction_iiPKiS5_PT2_S5_PiS5_S8_21rocsparse_index_base_, .Lfunc_end61-_ZN9rocsparseL26bsric0_2_8_unrolled_kernelILi9ELi32ELi3E21rocsparse_complex_numIdEEEv20rocsparse_direction_iiPKiS5_PT2_S5_PiS5_S8_21rocsparse_index_base_
                                        ; -- End function
	.set _ZN9rocsparseL26bsric0_2_8_unrolled_kernelILi9ELi32ELi3E21rocsparse_complex_numIdEEEv20rocsparse_direction_iiPKiS5_PT2_S5_PiS5_S8_21rocsparse_index_base_.num_vgpr, 53
	.set _ZN9rocsparseL26bsric0_2_8_unrolled_kernelILi9ELi32ELi3E21rocsparse_complex_numIdEEEv20rocsparse_direction_iiPKiS5_PT2_S5_PiS5_S8_21rocsparse_index_base_.num_agpr, 0
	.set _ZN9rocsparseL26bsric0_2_8_unrolled_kernelILi9ELi32ELi3E21rocsparse_complex_numIdEEEv20rocsparse_direction_iiPKiS5_PT2_S5_PiS5_S8_21rocsparse_index_base_.numbered_sgpr, 40
	.set _ZN9rocsparseL26bsric0_2_8_unrolled_kernelILi9ELi32ELi3E21rocsparse_complex_numIdEEEv20rocsparse_direction_iiPKiS5_PT2_S5_PiS5_S8_21rocsparse_index_base_.num_named_barrier, 0
	.set _ZN9rocsparseL26bsric0_2_8_unrolled_kernelILi9ELi32ELi3E21rocsparse_complex_numIdEEEv20rocsparse_direction_iiPKiS5_PT2_S5_PiS5_S8_21rocsparse_index_base_.private_seg_size, 0
	.set _ZN9rocsparseL26bsric0_2_8_unrolled_kernelILi9ELi32ELi3E21rocsparse_complex_numIdEEEv20rocsparse_direction_iiPKiS5_PT2_S5_PiS5_S8_21rocsparse_index_base_.uses_vcc, 1
	.set _ZN9rocsparseL26bsric0_2_8_unrolled_kernelILi9ELi32ELi3E21rocsparse_complex_numIdEEEv20rocsparse_direction_iiPKiS5_PT2_S5_PiS5_S8_21rocsparse_index_base_.uses_flat_scratch, 0
	.set _ZN9rocsparseL26bsric0_2_8_unrolled_kernelILi9ELi32ELi3E21rocsparse_complex_numIdEEEv20rocsparse_direction_iiPKiS5_PT2_S5_PiS5_S8_21rocsparse_index_base_.has_dyn_sized_stack, 0
	.set _ZN9rocsparseL26bsric0_2_8_unrolled_kernelILi9ELi32ELi3E21rocsparse_complex_numIdEEEv20rocsparse_direction_iiPKiS5_PT2_S5_PiS5_S8_21rocsparse_index_base_.has_recursion, 0
	.set _ZN9rocsparseL26bsric0_2_8_unrolled_kernelILi9ELi32ELi3E21rocsparse_complex_numIdEEEv20rocsparse_direction_iiPKiS5_PT2_S5_PiS5_S8_21rocsparse_index_base_.has_indirect_call, 0
	.section	.AMDGPU.csdata,"",@progbits
; Kernel info:
; codeLenInByte = 7020
; TotalNumSgprs: 44
; NumVgprs: 53
; ScratchSize: 0
; MemoryBound: 1
; FloatMode: 240
; IeeeMode: 1
; LDSByteSize: 1152 bytes/workgroup (compile time only)
; SGPRBlocks: 5
; VGPRBlocks: 13
; NumSGPRsForWavesPerEU: 44
; NumVGPRsForWavesPerEU: 53
; Occupancy: 4
; WaveLimiterHint : 1
; COMPUTE_PGM_RSRC2:SCRATCH_EN: 0
; COMPUTE_PGM_RSRC2:USER_SGPR: 6
; COMPUTE_PGM_RSRC2:TRAP_HANDLER: 0
; COMPUTE_PGM_RSRC2:TGID_X_EN: 1
; COMPUTE_PGM_RSRC2:TGID_Y_EN: 0
; COMPUTE_PGM_RSRC2:TGID_Z_EN: 0
; COMPUTE_PGM_RSRC2:TIDIG_COMP_CNT: 1
	.section	.text._ZN9rocsparseL26bsric0_2_8_unrolled_kernelILi16ELi32ELi4E21rocsparse_complex_numIdEEEv20rocsparse_direction_iiPKiS5_PT2_S5_PiS5_S8_21rocsparse_index_base_,"axG",@progbits,_ZN9rocsparseL26bsric0_2_8_unrolled_kernelILi16ELi32ELi4E21rocsparse_complex_numIdEEEv20rocsparse_direction_iiPKiS5_PT2_S5_PiS5_S8_21rocsparse_index_base_,comdat
	.globl	_ZN9rocsparseL26bsric0_2_8_unrolled_kernelILi16ELi32ELi4E21rocsparse_complex_numIdEEEv20rocsparse_direction_iiPKiS5_PT2_S5_PiS5_S8_21rocsparse_index_base_ ; -- Begin function _ZN9rocsparseL26bsric0_2_8_unrolled_kernelILi16ELi32ELi4E21rocsparse_complex_numIdEEEv20rocsparse_direction_iiPKiS5_PT2_S5_PiS5_S8_21rocsparse_index_base_
	.p2align	8
	.type	_ZN9rocsparseL26bsric0_2_8_unrolled_kernelILi16ELi32ELi4E21rocsparse_complex_numIdEEEv20rocsparse_direction_iiPKiS5_PT2_S5_PiS5_S8_21rocsparse_index_base_,@function
_ZN9rocsparseL26bsric0_2_8_unrolled_kernelILi16ELi32ELi4E21rocsparse_complex_numIdEEEv20rocsparse_direction_iiPKiS5_PT2_S5_PiS5_S8_21rocsparse_index_base_: ; @_ZN9rocsparseL26bsric0_2_8_unrolled_kernelILi16ELi32ELi4E21rocsparse_complex_numIdEEEv20rocsparse_direction_iiPKiS5_PT2_S5_PiS5_S8_21rocsparse_index_base_
; %bb.0:
	s_load_dwordx8 s[8:15], s[4:5], 0x28
	s_mov_b32 s7, 0
	s_lshl_b64 s[0:1], s[6:7], 2
	s_waitcnt lgkmcnt(0)
	s_add_u32 s0, s12, s0
	s_addc_u32 s1, s13, s1
	s_load_dword s12, s[0:1], 0x0
	s_waitcnt lgkmcnt(0)
	s_ashr_i32 s13, s12, 31
	s_lshl_b64 s[6:7], s[12:13], 2
	s_add_u32 s0, s8, s6
	s_addc_u32 s1, s9, s7
	s_load_dword s30, s[0:1], 0x0
	s_load_dword s13, s[4:5], 0x48
	s_waitcnt lgkmcnt(0)
	s_cmp_lg_u32 s30, -1
	s_cbranch_scc0 .LBB62_6
; %bb.1:
	s_load_dwordx4 s[16:19], s[4:5], 0x10
	s_load_dwordx2 s[20:21], s[4:5], 0x20
	v_lshlrev_b32_e32 v18, 2, v1
	v_add_u32_e32 v17, v18, v0
	s_waitcnt lgkmcnt(0)
	s_add_u32 s0, s16, s6
	s_addc_u32 s1, s17, s7
	s_load_dword s0, s[0:1], 0x0
	s_waitcnt lgkmcnt(0)
	s_sub_i32 s31, s0, s13
	v_add_u32_e32 v2, s31, v17
	v_cmp_ge_i32_e32 vcc, s30, v2
	s_and_saveexec_b64 s[0:1], vcc
	s_cbranch_execz .LBB62_4
; %bb.2:
	v_lshlrev_b32_e32 v3, 2, v0
	v_lshl_add_u32 v3, v1, 4, v3
	v_or_b32_e32 v5, 0x600, v3
	v_ashrrev_i32_e32 v3, 31, v2
	v_lshlrev_b64 v[3:4], 2, v[2:3]
	v_mov_b32_e32 v6, s19
	v_add_co_u32_e32 v3, vcc, s18, v3
	v_addc_co_u32_e32 v4, vcc, v6, v4, vcc
	s_mov_b64 s[2:3], 0
.LBB62_3:                               ; =>This Inner Loop Header: Depth=1
	global_load_dword v6, v[3:4], off
	v_add_co_u32_e32 v3, vcc, 64, v3
	v_add_u32_e32 v2, 16, v2
	v_addc_co_u32_e32 v4, vcc, 0, v4, vcc
	v_cmp_lt_i32_e32 vcc, s30, v2
	s_or_b64 s[2:3], vcc, s[2:3]
	s_waitcnt vmcnt(0)
	v_subrev_u32_e32 v6, s13, v6
	ds_write_b32 v5, v6
	v_add_u32_e32 v5, 64, v5
	s_andn2_b64 exec, exec, s[2:3]
	s_cbranch_execnz .LBB62_3
.LBB62_4:
	s_or_b64 exec, exec, s[0:1]
	s_movk_i32 s0, 0x50
	v_mov_b32_e32 v2, 0x3c0
	v_mad_u32_u24 v16, v1, s0, v2
	v_mov_b32_e32 v2, 0
	v_lshl_add_u32 v14, v0, 4, v16
	v_mov_b32_e32 v3, v2
	v_mov_b32_e32 v4, v2
	;; [unrolled: 1-line block ×3, first 2 shown]
	s_cmp_lt_i32 s31, s30
	ds_write_b128 v14, v[2:5]
	s_waitcnt lgkmcnt(0)
	s_cbranch_scc1 .LBB62_8
; %bb.5:
	v_lshl_add_u32 v19, v0, 2, v1
	v_or_b32_e32 v15, v0, v1
	s_load_dword s33, s[4:5], 0x0
	s_cbranch_execz .LBB62_9
	s_branch .LBB62_51
.LBB62_6:
	s_cbranch_execnz .LBB62_106
.LBB62_7:
	s_endpgm
.LBB62_8:
                                        ; implicit-def: $vgpr19
                                        ; implicit-def: $vgpr15
	s_load_dword s33, s[4:5], 0x0
.LBB62_9:
	s_waitcnt lgkmcnt(0)
	s_cmp_lg_u32 s33, 0
	s_cselect_b64 s[4:5], -1, 0
	s_cmp_eq_u32 s33, 0
	v_lshlrev_b32_e32 v20, 2, v0
	s_movk_i32 s0, 0x50
	v_mov_b32_e32 v2, 0x280
	v_mov_b32_e32 v4, 0x140
	v_add_u32_e32 v19, v20, v1
	v_mad_u32_u24 v21, v1, s0, v2
	v_lshlrev_b32_e32 v3, 4, v0
	v_mad_u32_u24 v24, v1, s0, v4
	v_or_b32_e32 v15, v0, v1
	s_cselect_b64 vcc, -1, 0
	v_add_u32_e32 v22, v21, v3
	v_mad_u32_u24 v23, v1, s0, v3
	v_add_u32_e32 v25, v24, v3
	v_mad_u32_u24 v26, v0, s0, v2
	v_cmp_ne_u32_e64 s[0:1], 0, v15
	v_cndmask_b32_e32 v27, v19, v17, vcc
	v_mov_b32_e32 v28, 0
	v_mov_b32_e32 v29, 0x3ff00000
	s_mov_b32 s22, s31
	s_branch .LBB62_12
.LBB62_10:                              ;   in Loop: Header=BB62_12 Depth=1
	s_or_b64 exec, exec, s[24:25]
	v_mov_b32_e32 v10, 0
	v_mov_b32_e32 v8, 0
	;; [unrolled: 1-line block ×4, first 2 shown]
.LBB62_11:                              ;   in Loop: Header=BB62_12 Depth=1
	s_or_b64 exec, exec, s[2:3]
	v_mul_f64 v[12:13], v[10:11], v[10:11]
	ds_read_b128 v[30:33], v21
	ds_read_b128 v[34:37], v24 offset:48
	ds_read_b128 v[38:41], v28 offset:240
	;; [unrolled: 1-line block ×4, first 2 shown]
	s_add_i32 s22, s22, 1
	s_cmp_ge_i32 s22, s30
	s_waitcnt lgkmcnt(2)
	v_fma_f64 v[36:37], v[40:41], v[30:31], v[36:37]
	v_fma_f64 v[30:31], v[38:39], v[30:31], v[34:35]
	;; [unrolled: 1-line block ×3, first 2 shown]
	v_fma_f64 v[34:35], v[38:39], -v[32:33], v[36:37]
	v_fma_f64 v[30:31], v[40:41], v[32:33], v[30:31]
	v_div_scale_f64 v[50:51], s[2:3], v[12:13], v[12:13], 1.0
	v_div_scale_f64 v[40:41], vcc, 1.0, v[12:13], 1.0
	s_waitcnt lgkmcnt(0)
	v_fma_f64 v[34:35], v[44:45], v[46:47], v[34:35]
	v_fma_f64 v[46:47], v[42:43], v[46:47], v[30:31]
	ds_read_b128 v[30:33], v21 offset:32
	s_cselect_b64 s[2:3], -1, 0
	v_fma_f64 v[42:43], v[42:43], -v[48:49], v[34:35]
	v_fma_f64 v[44:45], v[44:45], v[48:49], v[46:47]
	ds_read_b128 v[34:37], v28 offset:272
	v_rcp_f64_e32 v[52:53], v[50:51]
	s_waitcnt lgkmcnt(0)
	v_fma_f64 v[42:43], v[36:37], v[30:31], v[42:43]
	v_fma_f64 v[30:31], v[34:35], v[30:31], v[44:45]
	v_fma_f64 v[34:35], v[34:35], -v[32:33], v[42:43]
	v_fma_f64 v[30:31], v[36:37], v[32:33], v[30:31]
	v_fma_f64 v[54:55], -v[50:51], v[52:53], 1.0
	v_add_f64 v[4:5], v[4:5], -v[34:35]
	v_add_f64 v[2:3], v[2:3], -v[30:31]
	v_fma_f64 v[38:39], v[52:53], v[54:55], v[52:53]
	v_mul_f64 v[30:31], v[10:11], v[4:5]
	v_mul_f64 v[10:11], v[10:11], -v[2:3]
	v_fma_f64 v[52:53], -v[50:51], v[38:39], 1.0
	v_fma_f64 v[2:3], v[2:3], v[8:9], v[30:31]
	v_fma_f64 v[4:5], v[4:5], v[8:9], v[10:11]
	;; [unrolled: 1-line block ×3, first 2 shown]
	v_mul_f64 v[46:47], v[40:41], v[38:39]
	v_fma_f64 v[40:41], -v[50:51], v[46:47], v[40:41]
	v_div_fmas_f64 v[32:33], v[40:41], v[38:39], v[46:47]
	v_div_fixup_f64 v[12:13], v[32:33], v[12:13], 1.0
	v_mul_f64 v[2:3], v[12:13], v[2:3]
	v_mul_f64 v[4:5], v[12:13], v[4:5]
	ds_write_b128 v21, v[2:5] offset:48
	s_waitcnt lgkmcnt(0)
	ds_read_b128 v[8:11], v26 offset:48
	ds_read_b128 v[30:33], v14
	s_waitcnt lgkmcnt(0)
	v_fma_f64 v[12:13], v[2:3], v[8:9], v[30:31]
	v_fma_f64 v[30:31], v[4:5], v[8:9], v[32:33]
	;; [unrolled: 1-line block ×3, first 2 shown]
	v_fma_f64 v[10:11], v[2:3], -v[10:11], v[30:31]
	ds_write_b128 v14, v[8:11]
	s_waitcnt lgkmcnt(0)
	ds_read2_b64 v[2:5], v22 offset1:1
	s_waitcnt lgkmcnt(0)
	global_store_dwordx4 v[6:7], v[2:5], off
	s_waitcnt vmcnt(0)
	buffer_wbinvl1_vol
	s_and_b64 vcc, exec, s[2:3]
	s_cbranch_vccnz .LBB62_51
.LBB62_12:                              ; =>This Loop Header: Depth=1
                                        ;     Child Loop BB62_15 Depth 2
                                        ;     Child Loop BB62_26 Depth 2
	;; [unrolled: 1-line block ×3, first 2 shown]
	s_ashr_i32 s23, s22, 31
	s_lshl_b64 s[2:3], s[22:23], 2
	s_add_u32 s2, s18, s2
	s_addc_u32 s3, s19, s3
	s_load_dword s23, s[2:3], 0x0
	s_waitcnt lgkmcnt(0)
	s_sub_i32 s24, s23, s13
	s_ashr_i32 s25, s24, 31
	s_lshl_b64 s[2:3], s[24:25], 2
	s_add_u32 s26, s8, s2
	s_addc_u32 s27, s9, s3
	s_load_dword s25, s[26:27], 0x0
	s_waitcnt lgkmcnt(0)
	s_cmp_eq_u32 s25, -1
	s_cbranch_scc1 .LBB62_50
; %bb.13:                               ;   in Loop: Header=BB62_12 Depth=1
	v_lshl_add_u32 v2, s22, 4, v27
	v_ashrrev_i32_e32 v3, 31, v2
	v_lshlrev_b64 v[2:3], 4, v[2:3]
	v_mov_b32_e32 v4, s21
	v_add_co_u32_e32 v6, vcc, s20, v2
	v_addc_co_u32_e32 v7, vcc, v4, v3, vcc
	global_load_dwordx4 v[2:5], v[6:7], off
	s_add_u32 s26, s16, s2
	s_addc_u32 s27, s17, s3
	s_load_dword s26, s[26:27], 0x0
	ds_read_b32 v8, v28 offset:1536
	s_mov_b32 s27, 0
	s_waitcnt lgkmcnt(0)
	s_sub_i32 s26, s26, s13
	s_cmp_le_i32 s26, s25
	v_cmp_ge_i32_e32 vcc, s24, v8
	s_cselect_b64 s[28:29], -1, 0
	s_and_b64 s[28:29], s[28:29], vcc
	s_andn2_b64 vcc, exec, s[28:29]
	s_waitcnt vmcnt(0)
	ds_write2_b64 v22, v[2:3], v[4:5] offset1:1
	s_cbranch_vccnz .LBB62_25
; %bb.14:                               ;   in Loop: Header=BB62_12 Depth=1
	s_mov_b32 s34, 0
	s_mov_b32 s35, 0
.LBB62_15:                              ;   Parent Loop BB62_12 Depth=1
                                        ; =>  This Inner Loop Header: Depth=2
	s_ashr_i32 s27, s26, 31
	s_lshl_b64 s[28:29], s[26:27], 2
	s_add_u32 s28, s18, s28
	s_addc_u32 s29, s19, s29
	s_load_dword s27, s[28:29], 0x0
	s_lshl_b32 s28, s35, 2
	v_mov_b32_e32 v2, s28
	ds_read_b32 v2, v2 offset:1536
	s_mov_b64 s[28:29], -1
	s_waitcnt lgkmcnt(0)
	s_sub_i32 s39, s27, s13
                                        ; implicit-def: $sgpr27
                                        ; implicit-def: $sgpr38
                                        ; implicit-def: $sgpr37
	v_cmp_ge_i32_e32 vcc, s39, v2
	v_readfirstlane_b32 s36, v2
	s_cbranch_vccz .LBB62_21
; %bb.16:                               ;   in Loop: Header=BB62_15 Depth=2
	s_cmp_le_i32 s39, s36
                                        ; implicit-def: $sgpr27
                                        ; implicit-def: $sgpr38
                                        ; implicit-def: $sgpr37
	s_cbranch_scc0 .LBB62_18
; %bb.17:                               ;   in Loop: Header=BB62_15 Depth=2
	s_add_i32 s27, s35, s31
	s_lshl_b32 s27, s27, 4
	s_lshl_b32 s28, s34, 2
	v_mov_b32_e32 v2, s28
	v_mov_b32_e32 v3, s27
	s_lshl_b32 s27, s26, 4
	v_mov_b32_e32 v4, s27
	v_add_u32_e32 v2, 0x400, v2
	ds_write2_b32 v2, v4, v3 offset0:64 offset1:96
	s_add_i32 s37, s35, 1
	s_add_i32 s38, s26, 1
	;; [unrolled: 1-line block ×3, first 2 shown]
	s_mov_b64 s[28:29], 0
.LBB62_18:                              ;   in Loop: Header=BB62_15 Depth=2
	s_andn2_b64 vcc, exec, s[28:29]
	s_cbranch_vccnz .LBB62_20
; %bb.19:                               ;   in Loop: Header=BB62_15 Depth=2
	s_add_i32 s37, s35, 1
	s_mov_b32 s27, s34
	s_mov_b32 s38, s26
.LBB62_20:                              ;   in Loop: Header=BB62_15 Depth=2
	s_mov_b64 s[28:29], 0
.LBB62_21:                              ;   in Loop: Header=BB62_15 Depth=2
	s_andn2_b64 vcc, exec, s[28:29]
	s_cbranch_vccnz .LBB62_23
; %bb.22:                               ;   in Loop: Header=BB62_15 Depth=2
	s_add_i32 s38, s26, 1
	s_mov_b32 s37, s35
	s_mov_b32 s27, s34
.LBB62_23:                              ;   in Loop: Header=BB62_15 Depth=2
	s_cmp_le_i32 s38, s25
	s_cselect_b64 s[28:29], -1, 0
	s_cmp_le_i32 s36, s24
	s_cselect_b64 s[34:35], -1, 0
	s_and_b64 s[28:29], s[28:29], s[34:35]
	s_and_b64 vcc, exec, s[28:29]
	s_cbranch_vccz .LBB62_25
; %bb.24:                               ;   in Loop: Header=BB62_15 Depth=2
	s_mov_b32 s34, s27
	s_mov_b32 s26, s38
	;; [unrolled: 1-line block ×3, first 2 shown]
	s_branch .LBB62_15
.LBB62_25:                              ;   in Loop: Header=BB62_12 Depth=1
	s_add_u32 s2, s10, s2
	s_addc_u32 s3, s11, s3
	s_waitcnt lgkmcnt(0)
.LBB62_26:                              ;   Parent Loop BB62_12 Depth=1
                                        ; =>  This Inner Loop Header: Depth=2
	global_load_dword v2, v28, s[2:3] glc
	s_waitcnt vmcnt(0)
	v_cmp_eq_u32_e32 vcc, 0, v2
	s_cbranch_vccnz .LBB62_26
; %bb.27:                               ;   in Loop: Header=BB62_12 Depth=1
	v_lshl_add_u32 v2, s25, 4, v27
	v_ashrrev_i32_e32 v3, 31, v2
	v_lshlrev_b64 v[2:3], 4, v[2:3]
	v_mov_b32_e32 v4, s21
	v_add_co_u32_e32 v2, vcc, s20, v2
	v_addc_co_u32_e32 v3, vcc, v4, v3, vcc
	buffer_wbinvl1_vol
	global_load_dwordx4 v[8:11], v[2:3], off
	v_mov_b32_e32 v4, 0
	v_mov_b32_e32 v2, 0
	;; [unrolled: 1-line block ×3, first 2 shown]
	s_cmp_lt_i32 s27, 2
	v_mov_b32_e32 v3, 0
	s_waitcnt vmcnt(0)
	ds_write2_b64 v23, v[8:9], v[10:11] offset1:1
	s_waitcnt lgkmcnt(0)
	s_cbranch_scc1 .LBB62_35
; %bb.28:                               ;   in Loop: Header=BB62_12 Depth=1
	v_mov_b32_e32 v8, 0
	v_mov_b32_e32 v10, 0
	s_add_i32 s24, s27, -1
	v_mov_b32_e32 v9, 0
	v_mov_b32_e32 v11, 0
	s_movk_i32 s25, 0x500
.LBB62_29:                              ;   Parent Loop BB62_12 Depth=1
                                        ; =>  This Inner Loop Header: Depth=2
	v_mov_b32_e32 v2, s25
	s_waitcnt lgkmcnt(0)
	ds_read2_b32 v[12:13], v2 offset1:32
	s_mov_b64 s[2:3], -1
	s_and_b64 vcc, exec, s[4:5]
                                        ; implicit-def: $vgpr4_vgpr5
	s_cbranch_vccz .LBB62_32
; %bb.30:                               ;   in Loop: Header=BB62_29 Depth=2
	s_waitcnt lgkmcnt(0)
	v_add_u32_e32 v50, v12, v0
	v_ashrrev_i32_e32 v51, 31, v50
	v_lshlrev_b64 v[2:3], 4, v[50:51]
	v_add_u32_e32 v51, v13, v1
	v_mov_b32_e32 v4, s21
	v_add_co_u32_e32 v34, vcc, s20, v2
	v_ashrrev_i32_e32 v52, 31, v51
	v_addc_co_u32_e32 v35, vcc, v4, v3, vcc
	v_lshlrev_b64 v[2:3], 4, v[51:52]
	v_add_co_u32_e32 v36, vcc, s20, v2
	v_addc_co_u32_e32 v37, vcc, v4, v3, vcc
	global_load_dwordx4 v[2:5], v[34:35], off
	global_load_dwordx4 v[30:33], v[36:37], off
	v_add_u32_e32 v34, 4, v50
	v_ashrrev_i32_e32 v35, 31, v34
	v_lshlrev_b64 v[34:35], 4, v[34:35]
	v_mov_b32_e32 v36, s21
	v_add_co_u32_e32 v42, vcc, s20, v34
	v_add_u32_e32 v34, 4, v51
	v_addc_co_u32_e32 v43, vcc, v36, v35, vcc
	v_ashrrev_i32_e32 v35, 31, v34
	v_lshlrev_b64 v[34:35], 4, v[34:35]
	v_add_co_u32_e32 v44, vcc, s20, v34
	v_addc_co_u32_e32 v45, vcc, v36, v35, vcc
	global_load_dwordx4 v[34:37], v[42:43], off
	global_load_dwordx4 v[38:41], v[44:45], off
	v_add_u32_e32 v42, 8, v50
	v_ashrrev_i32_e32 v43, 31, v42
	v_lshlrev_b64 v[42:43], 4, v[42:43]
	v_mov_b32_e32 v44, s21
	v_add_co_u32_e32 v52, vcc, s20, v42
	v_add_u32_e32 v42, 8, v51
	v_addc_co_u32_e32 v53, vcc, v44, v43, vcc
	v_ashrrev_i32_e32 v43, 31, v42
	v_lshlrev_b64 v[42:43], 4, v[42:43]
	v_add_co_u32_e32 v54, vcc, s20, v42
	v_addc_co_u32_e32 v55, vcc, v44, v43, vcc
	global_load_dwordx4 v[42:45], v[52:53], off
	global_load_dwordx4 v[46:49], v[54:55], off
	v_add_u32_e32 v52, 12, v50
	v_ashrrev_i32_e32 v53, 31, v52
	v_lshlrev_b64 v[52:53], 4, v[52:53]
	v_mov_b32_e32 v50, s21
	v_add_co_u32_e32 v58, vcc, s20, v52
	v_addc_co_u32_e32 v59, vcc, v50, v53, vcc
	v_add_u32_e32 v50, 12, v51
	v_ashrrev_i32_e32 v51, 31, v50
	v_lshlrev_b64 v[50:51], 4, v[50:51]
	v_mov_b32_e32 v52, s21
	v_add_co_u32_e32 v60, vcc, s20, v50
	v_addc_co_u32_e32 v61, vcc, v52, v51, vcc
	global_load_dwordx4 v[50:53], v[58:59], off
	global_load_dwordx4 v[54:57], v[60:61], off
	s_waitcnt vmcnt(6)
	v_fma_f64 v[58:59], v[2:3], v[30:31], v[10:11]
	v_fma_f64 v[30:31], v[4:5], v[30:31], v[8:9]
	v_fma_f64 v[4:5], v[4:5], v[32:33], v[58:59]
	v_fma_f64 v[2:3], v[2:3], -v[32:33], v[30:31]
	s_waitcnt vmcnt(4)
	v_fma_f64 v[4:5], v[34:35], v[38:39], v[4:5]
	v_fma_f64 v[2:3], v[36:37], v[38:39], v[2:3]
	v_fma_f64 v[4:5], v[36:37], v[40:41], v[4:5]
	v_fma_f64 v[2:3], v[34:35], -v[40:41], v[2:3]
	;; [unrolled: 5-line block ×4, first 2 shown]
	s_cbranch_execz .LBB62_33
.LBB62_31:                              ;   in Loop: Header=BB62_29 Depth=2
	s_add_i32 s24, s24, -1
	s_add_i32 s25, s25, 4
	s_cmp_eq_u32 s24, 0
	s_cbranch_scc0 .LBB62_34
	s_branch .LBB62_35
.LBB62_32:                              ;   in Loop: Header=BB62_29 Depth=2
	s_andn2_b64 vcc, exec, s[2:3]
	s_cbranch_vccnz .LBB62_31
.LBB62_33:                              ;   in Loop: Header=BB62_29 Depth=2
	s_waitcnt lgkmcnt(0)
	v_add_u32_e32 v2, v12, v20
	v_ashrrev_i32_e32 v3, 31, v2
	v_lshlrev_b64 v[2:3], 4, v[2:3]
	v_mov_b32_e32 v4, s21
	v_add_co_u32_e32 v58, vcc, s20, v2
	v_add_u32_e32 v2, v13, v18
	v_addc_co_u32_e32 v59, vcc, v4, v3, vcc
	v_ashrrev_i32_e32 v3, 31, v2
	v_lshlrev_b64 v[2:3], 4, v[2:3]
	v_add_co_u32_e32 v12, vcc, s20, v2
	v_addc_co_u32_e32 v13, vcc, v4, v3, vcc
	global_load_dwordx4 v[2:5], v[12:13], off
	global_load_dwordx4 v[30:33], v[58:59], off
	global_load_dwordx4 v[34:37], v[58:59], off offset:16
	global_load_dwordx4 v[38:41], v[12:13], off offset:16
	;; [unrolled: 1-line block ×6, first 2 shown]
	s_waitcnt vmcnt(6)
	v_fma_f64 v[10:11], v[30:31], v[2:3], v[10:11]
	v_fma_f64 v[2:3], v[32:33], v[2:3], v[8:9]
	v_fma_f64 v[8:9], v[32:33], v[4:5], v[10:11]
	v_fma_f64 v[2:3], v[30:31], -v[4:5], v[2:3]
	s_waitcnt vmcnt(4)
	v_fma_f64 v[4:5], v[34:35], v[38:39], v[8:9]
	v_fma_f64 v[2:3], v[36:37], v[38:39], v[2:3]
	v_fma_f64 v[4:5], v[36:37], v[40:41], v[4:5]
	v_fma_f64 v[2:3], v[34:35], -v[40:41], v[2:3]
	;; [unrolled: 5-line block ×4, first 2 shown]
	s_add_i32 s24, s24, -1
	s_add_i32 s25, s25, 4
	s_cmp_eq_u32 s24, 0
	s_cbranch_scc1 .LBB62_35
.LBB62_34:                              ;   in Loop: Header=BB62_29 Depth=2
	v_mov_b32_e32 v9, v5
	v_mov_b32_e32 v11, v3
	;; [unrolled: 1-line block ×4, first 2 shown]
	s_branch .LBB62_29
.LBB62_35:                              ;   in Loop: Header=BB62_12 Depth=1
	ds_write_b128 v25, v[2:5]
	s_waitcnt lgkmcnt(0)
	ds_read_b128 v[8:11], v28
	ds_read_b128 v[2:5], v21
	s_waitcnt lgkmcnt(1)
	v_cmp_neq_f64_e32 vcc, 0, v[8:9]
	v_cmp_neq_f64_e64 s[2:3], 0, v[10:11]
	s_or_b64 vcc, vcc, s[2:3]
	v_cndmask_b32_e32 v9, v29, v9, vcc
	s_nor_b64 s[24:25], vcc, s[0:1]
	v_cndmask_b32_e32 v8, 0, v8, vcc
	v_cndmask_b32_e32 v11, 0, v11, vcc
	;; [unrolled: 1-line block ×3, first 2 shown]
	s_and_saveexec_b64 s[2:3], s[24:25]
	s_cbranch_execz .LBB62_39
; %bb.36:                               ;   in Loop: Header=BB62_12 Depth=1
	v_mbcnt_lo_u32_b32 v8, exec_lo, 0
	v_mbcnt_hi_u32_b32 v8, exec_hi, v8
	v_cmp_eq_u32_e32 vcc, 0, v8
	s_and_saveexec_b64 s[24:25], vcc
	s_cbranch_execz .LBB62_38
; %bb.37:                               ;   in Loop: Header=BB62_12 Depth=1
	v_mov_b32_e32 v8, s23
	global_atomic_smin v28, v8, s[14:15]
.LBB62_38:                              ;   in Loop: Header=BB62_12 Depth=1
	s_or_b64 exec, exec, s[24:25]
	v_mov_b32_e32 v10, 0
	v_mov_b32_e32 v8, 0
	;; [unrolled: 1-line block ×4, first 2 shown]
.LBB62_39:                              ;   in Loop: Header=BB62_12 Depth=1
	s_or_b64 exec, exec, s[2:3]
	v_mul_f64 v[12:13], v[10:11], v[10:11]
	v_fma_f64 v[12:13], v[8:9], v[8:9], v[12:13]
	v_div_scale_f64 v[30:31], s[2:3], v[12:13], v[12:13], 1.0
	v_rcp_f64_e32 v[32:33], v[30:31]
	v_fma_f64 v[34:35], -v[30:31], v[32:33], 1.0
	v_fma_f64 v[32:33], v[32:33], v[34:35], v[32:33]
	v_div_scale_f64 v[34:35], vcc, 1.0, v[12:13], 1.0
	v_fma_f64 v[36:37], -v[30:31], v[32:33], 1.0
	v_fma_f64 v[36:37], v[32:33], v[36:37], v[32:33]
	v_mul_f64 v[38:39], v[34:35], v[36:37]
	v_fma_f64 v[34:35], -v[30:31], v[38:39], v[34:35]
	ds_read_b128 v[30:33], v24
	s_waitcnt lgkmcnt(0)
	v_add_f64 v[4:5], v[4:5], -v[32:33]
	v_add_f64 v[2:3], v[2:3], -v[30:31]
	v_div_fmas_f64 v[32:33], v[34:35], v[36:37], v[38:39]
	v_mul_f64 v[30:31], v[10:11], v[4:5]
	v_mul_f64 v[10:11], v[10:11], -v[2:3]
	v_fma_f64 v[2:3], v[2:3], v[8:9], v[30:31]
	v_fma_f64 v[4:5], v[4:5], v[8:9], v[10:11]
	v_div_fixup_f64 v[12:13], v[32:33], v[12:13], 1.0
	v_mul_f64 v[2:3], v[12:13], v[2:3]
	v_mul_f64 v[4:5], v[12:13], v[4:5]
	ds_write_b128 v21, v[2:5]
	s_waitcnt lgkmcnt(0)
	ds_read_b128 v[8:11], v26
	ds_read_b128 v[30:33], v14
	s_waitcnt lgkmcnt(0)
	v_fma_f64 v[12:13], v[2:3], v[8:9], v[30:31]
	v_fma_f64 v[30:31], v[4:5], v[8:9], v[32:33]
	;; [unrolled: 1-line block ×3, first 2 shown]
	v_fma_f64 v[10:11], v[2:3], -v[10:11], v[30:31]
	ds_write_b128 v14, v[8:11]
	s_waitcnt lgkmcnt(0)
	ds_read_b128 v[8:11], v28 offset:96
	ds_read_b128 v[2:5], v21 offset:16
	s_waitcnt lgkmcnt(1)
	v_cmp_neq_f64_e32 vcc, 0, v[8:9]
	v_cmp_neq_f64_e64 s[2:3], 0, v[10:11]
	s_or_b64 vcc, vcc, s[2:3]
	v_cndmask_b32_e32 v9, v29, v9, vcc
	s_nor_b64 s[24:25], vcc, s[0:1]
	v_cndmask_b32_e32 v8, 0, v8, vcc
	v_cndmask_b32_e32 v11, 0, v11, vcc
	v_cndmask_b32_e32 v10, 0, v10, vcc
	s_and_saveexec_b64 s[2:3], s[24:25]
	s_cbranch_execz .LBB62_43
; %bb.40:                               ;   in Loop: Header=BB62_12 Depth=1
	v_mbcnt_lo_u32_b32 v8, exec_lo, 0
	v_mbcnt_hi_u32_b32 v8, exec_hi, v8
	v_cmp_eq_u32_e32 vcc, 0, v8
	s_and_saveexec_b64 s[24:25], vcc
	s_cbranch_execz .LBB62_42
; %bb.41:                               ;   in Loop: Header=BB62_12 Depth=1
	v_mov_b32_e32 v8, s23
	global_atomic_smin v28, v8, s[14:15]
.LBB62_42:                              ;   in Loop: Header=BB62_12 Depth=1
	s_or_b64 exec, exec, s[24:25]
	v_mov_b32_e32 v10, 0
	v_mov_b32_e32 v8, 0
	v_mov_b32_e32 v11, 0
	v_mov_b32_e32 v9, 0x3ff00000
.LBB62_43:                              ;   in Loop: Header=BB62_12 Depth=1
	s_or_b64 exec, exec, s[2:3]
	v_mul_f64 v[12:13], v[10:11], v[10:11]
	v_fma_f64 v[12:13], v[8:9], v[8:9], v[12:13]
	v_div_scale_f64 v[42:43], s[2:3], v[12:13], v[12:13], 1.0
	v_div_scale_f64 v[44:45], vcc, 1.0, v[12:13], 1.0
	v_rcp_f64_e32 v[30:31], v[42:43]
	v_fma_f64 v[32:33], -v[42:43], v[30:31], 1.0
	v_fma_f64 v[34:35], v[30:31], v[32:33], v[30:31]
	ds_read_b128 v[30:33], v28 offset:80
	v_fma_f64 v[36:37], -v[42:43], v[34:35], 1.0
	v_fma_f64 v[46:47], v[34:35], v[36:37], v[34:35]
	ds_read_b128 v[34:37], v21
	ds_read_b128 v[38:41], v24 offset:16
	s_waitcnt lgkmcnt(0)
	v_fma_f64 v[40:41], v[32:33], v[34:35], v[40:41]
	v_fma_f64 v[34:35], v[30:31], v[34:35], v[38:39]
	v_mul_f64 v[48:49], v[44:45], v[46:47]
	v_fma_f64 v[30:31], v[30:31], -v[36:37], v[40:41]
	v_fma_f64 v[32:33], v[32:33], v[36:37], v[34:35]
	v_fma_f64 v[38:39], -v[42:43], v[48:49], v[44:45]
	v_add_f64 v[4:5], v[4:5], -v[30:31]
	v_add_f64 v[2:3], v[2:3], -v[32:33]
	v_div_fmas_f64 v[30:31], v[38:39], v[46:47], v[48:49]
	v_mul_f64 v[32:33], v[10:11], v[4:5]
	v_mul_f64 v[10:11], v[10:11], -v[2:3]
	v_fma_f64 v[2:3], v[2:3], v[8:9], v[32:33]
	v_fma_f64 v[4:5], v[4:5], v[8:9], v[10:11]
	v_div_fixup_f64 v[12:13], v[30:31], v[12:13], 1.0
	v_mul_f64 v[2:3], v[12:13], v[2:3]
	v_mul_f64 v[4:5], v[12:13], v[4:5]
	ds_write_b128 v21, v[2:5] offset:16
	s_waitcnt lgkmcnt(0)
	ds_read_b128 v[8:11], v26 offset:16
	ds_read_b128 v[30:33], v14
	s_waitcnt lgkmcnt(0)
	v_fma_f64 v[12:13], v[2:3], v[8:9], v[30:31]
	v_fma_f64 v[30:31], v[4:5], v[8:9], v[32:33]
	v_fma_f64 v[8:9], v[4:5], v[10:11], v[12:13]
	v_fma_f64 v[10:11], v[2:3], -v[10:11], v[30:31]
	ds_write_b128 v14, v[8:11]
	s_waitcnt lgkmcnt(0)
	ds_read_b128 v[8:11], v28 offset:192
	ds_read_b128 v[2:5], v21 offset:32
	s_waitcnt lgkmcnt(1)
	v_cmp_neq_f64_e32 vcc, 0, v[8:9]
	v_cmp_neq_f64_e64 s[2:3], 0, v[10:11]
	s_or_b64 vcc, vcc, s[2:3]
	v_cndmask_b32_e32 v9, v29, v9, vcc
	s_nor_b64 s[24:25], vcc, s[0:1]
	v_cndmask_b32_e32 v8, 0, v8, vcc
	v_cndmask_b32_e32 v11, 0, v11, vcc
	;; [unrolled: 1-line block ×3, first 2 shown]
	s_and_saveexec_b64 s[2:3], s[24:25]
	s_cbranch_execz .LBB62_47
; %bb.44:                               ;   in Loop: Header=BB62_12 Depth=1
	v_mbcnt_lo_u32_b32 v8, exec_lo, 0
	v_mbcnt_hi_u32_b32 v8, exec_hi, v8
	v_cmp_eq_u32_e32 vcc, 0, v8
	s_and_saveexec_b64 s[24:25], vcc
	s_cbranch_execz .LBB62_46
; %bb.45:                               ;   in Loop: Header=BB62_12 Depth=1
	v_mov_b32_e32 v8, s23
	global_atomic_smin v28, v8, s[14:15]
.LBB62_46:                              ;   in Loop: Header=BB62_12 Depth=1
	s_or_b64 exec, exec, s[24:25]
	v_mov_b32_e32 v10, 0
	v_mov_b32_e32 v8, 0
	;; [unrolled: 1-line block ×4, first 2 shown]
.LBB62_47:                              ;   in Loop: Header=BB62_12 Depth=1
	s_or_b64 exec, exec, s[2:3]
	v_mul_f64 v[12:13], v[10:11], v[10:11]
	ds_read_b128 v[30:33], v28 offset:160
	ds_read_b128 v[34:37], v24 offset:32
	v_fma_f64 v[12:13], v[8:9], v[8:9], v[12:13]
	v_div_scale_f64 v[46:47], s[2:3], v[12:13], v[12:13], 1.0
	v_div_scale_f64 v[50:51], vcc, 1.0, v[12:13], 1.0
	v_rcp_f64_e32 v[38:39], v[46:47]
	v_fma_f64 v[40:41], -v[46:47], v[38:39], 1.0
	v_fma_f64 v[48:49], v[38:39], v[40:41], v[38:39]
	ds_read_b128 v[38:41], v21
	ds_read_b128 v[42:45], v21 offset:16
	s_waitcnt lgkmcnt(1)
	v_fma_f64 v[36:37], v[32:33], v[38:39], v[36:37]
	v_fma_f64 v[38:39], v[30:31], v[38:39], v[34:35]
	v_fma_f64 v[52:53], -v[46:47], v[48:49], 1.0
	v_fma_f64 v[30:31], v[30:31], -v[40:41], v[36:37]
	v_fma_f64 v[32:33], v[32:33], v[40:41], v[38:39]
	ds_read_b128 v[34:37], v28 offset:176
	v_fma_f64 v[48:49], v[48:49], v[52:53], v[48:49]
	s_waitcnt lgkmcnt(0)
	v_fma_f64 v[30:31], v[36:37], v[42:43], v[30:31]
	v_fma_f64 v[32:33], v[34:35], v[42:43], v[32:33]
	v_mul_f64 v[38:39], v[50:51], v[48:49]
	v_fma_f64 v[30:31], v[34:35], -v[44:45], v[30:31]
	v_fma_f64 v[32:33], v[36:37], v[44:45], v[32:33]
	v_fma_f64 v[34:35], -v[46:47], v[38:39], v[50:51]
	v_add_f64 v[4:5], v[4:5], -v[30:31]
	v_add_f64 v[2:3], v[2:3], -v[32:33]
	v_div_fmas_f64 v[30:31], v[34:35], v[48:49], v[38:39]
	v_mul_f64 v[32:33], v[10:11], v[4:5]
	v_mul_f64 v[10:11], v[10:11], -v[2:3]
	v_fma_f64 v[2:3], v[2:3], v[8:9], v[32:33]
	v_fma_f64 v[4:5], v[4:5], v[8:9], v[10:11]
	v_div_fixup_f64 v[12:13], v[30:31], v[12:13], 1.0
	v_mul_f64 v[2:3], v[12:13], v[2:3]
	v_mul_f64 v[4:5], v[12:13], v[4:5]
	ds_write_b128 v21, v[2:5] offset:32
	s_waitcnt lgkmcnt(0)
	ds_read_b128 v[8:11], v26 offset:32
	ds_read_b128 v[30:33], v14
	s_waitcnt lgkmcnt(0)
	v_fma_f64 v[12:13], v[2:3], v[8:9], v[30:31]
	v_fma_f64 v[30:31], v[4:5], v[8:9], v[32:33]
	;; [unrolled: 1-line block ×3, first 2 shown]
	v_fma_f64 v[10:11], v[2:3], -v[10:11], v[30:31]
	ds_write_b128 v14, v[8:11]
	s_waitcnt lgkmcnt(0)
	ds_read_b128 v[8:11], v28 offset:288
	ds_read_b128 v[2:5], v21 offset:48
	s_waitcnt lgkmcnt(1)
	v_cmp_neq_f64_e32 vcc, 0, v[8:9]
	v_cmp_neq_f64_e64 s[2:3], 0, v[10:11]
	s_or_b64 vcc, vcc, s[2:3]
	v_cndmask_b32_e32 v9, v29, v9, vcc
	s_nor_b64 s[24:25], vcc, s[0:1]
	v_cndmask_b32_e32 v8, 0, v8, vcc
	v_cndmask_b32_e32 v11, 0, v11, vcc
	;; [unrolled: 1-line block ×3, first 2 shown]
	s_and_saveexec_b64 s[2:3], s[24:25]
	s_cbranch_execz .LBB62_11
; %bb.48:                               ;   in Loop: Header=BB62_12 Depth=1
	v_mbcnt_lo_u32_b32 v8, exec_lo, 0
	v_mbcnt_hi_u32_b32 v8, exec_hi, v8
	v_cmp_eq_u32_e32 vcc, 0, v8
	s_and_saveexec_b64 s[24:25], vcc
	s_cbranch_execz .LBB62_10
; %bb.49:                               ;   in Loop: Header=BB62_12 Depth=1
	v_mov_b32_e32 v8, s23
	global_atomic_smin v28, v8, s[14:15]
	s_branch .LBB62_10
.LBB62_50:                              ;   in Loop: Header=BB62_12 Depth=1
                                        ; implicit-def: $sgpr22
	s_cbranch_execz .LBB62_12
.LBB62_51:
	s_waitcnt lgkmcnt(0)
	s_cmp_eq_u32 s33, 0
	s_cselect_b64 vcc, -1, 0
	v_cndmask_b32_e32 v2, v19, v17, vcc
	v_lshl_add_u32 v2, s30, 4, v2
	v_ashrrev_i32_e32 v3, 31, v2
	v_lshlrev_b64 v[2:3], 4, v[2:3]
	v_mov_b32_e32 v4, s21
	v_add_co_u32_e32 v2, vcc, s20, v2
	v_addc_co_u32_e32 v3, vcc, v4, v3, vcc
	global_load_dwordx4 v[4:7], v[2:3], off
	s_movk_i32 s0, 0x50
	v_mov_b32_e32 v8, 0x280
	v_mad_u32_u24 v11, v1, s0, v8
	v_cmp_ne_u32_e64 s[2:3], 0, v1
	v_lshl_add_u32 v10, v0, 4, v11
	v_cmp_eq_u32_e32 vcc, 0, v1
	s_waitcnt vmcnt(0)
	ds_write2_b64 v10, v[4:5], v[6:7] offset1:1
	s_waitcnt lgkmcnt(0)
	s_and_saveexec_b64 s[0:1], vcc
	s_cbranch_execz .LBB62_58
; %bb.52:
	v_mov_b32_e32 v8, 0
	ds_read_b128 v[4:7], v8 offset:960
	ds_read_b128 v[17:20], v8 offset:640
	s_waitcnt lgkmcnt(0)
	v_add_f64 v[4:5], v[17:18], -v[4:5]
	v_add_f64 v[8:9], v[19:20], -v[6:7]
	v_cmp_gt_f64_e32 vcc, 0, v[4:5]
	v_xor_b32_e32 v6, 0x80000000, v5
	v_xor_b32_e32 v7, 0x80000000, v9
	v_cndmask_b32_e32 v5, v5, v6, vcc
	v_cmp_gt_f64_e32 vcc, 0, v[8:9]
	v_mov_b32_e32 v6, v8
	v_cndmask_b32_e32 v7, v9, v7, vcc
	v_cmp_ngt_f64_e32 vcc, v[4:5], v[6:7]
	s_cbranch_vccz .LBB62_55
; %bb.53:
	v_cmp_eq_f64_e32 vcc, 0, v[8:9]
	s_mov_b64 s[4:5], 0
	s_cbranch_vccnz .LBB62_110
; %bb.54:
	v_div_scale_f64 v[8:9], s[8:9], v[6:7], v[6:7], v[4:5]
	s_mov_b32 s8, 0
	s_brev_b32 s9, 8
	v_rcp_f64_e32 v[12:13], v[8:9]
	v_fma_f64 v[17:18], -v[8:9], v[12:13], 1.0
	v_fma_f64 v[12:13], v[12:13], v[17:18], v[12:13]
	v_div_scale_f64 v[17:18], vcc, v[4:5], v[6:7], v[4:5]
	v_fma_f64 v[19:20], -v[8:9], v[12:13], 1.0
	v_fma_f64 v[12:13], v[12:13], v[19:20], v[12:13]
	v_mul_f64 v[19:20], v[17:18], v[12:13]
	v_fma_f64 v[8:9], -v[8:9], v[19:20], v[17:18]
	v_div_fmas_f64 v[8:9], v[8:9], v[12:13], v[19:20]
	v_div_fixup_f64 v[8:9], v[8:9], v[6:7], v[4:5]
	v_fma_f64 v[8:9], v[8:9], v[8:9], 1.0
	v_cmp_gt_f64_e32 vcc, s[8:9], v[8:9]
	s_and_b64 s[8:9], vcc, exec
	s_cselect_b32 s8, 0x100, 0
	v_ldexp_f64 v[8:9], v[8:9], s8
	s_cselect_b32 s8, 0xffffff80, 0
	v_rsq_f64_e32 v[12:13], v[8:9]
	v_mul_f64 v[17:18], v[8:9], v[12:13]
	v_mul_f64 v[12:13], v[12:13], 0.5
	v_fma_f64 v[19:20], -v[12:13], v[17:18], 0.5
	v_fma_f64 v[17:18], v[17:18], v[19:20], v[17:18]
	v_fma_f64 v[12:13], v[12:13], v[19:20], v[12:13]
	v_fma_f64 v[19:20], -v[17:18], v[17:18], v[8:9]
	v_fma_f64 v[17:18], v[19:20], v[12:13], v[17:18]
	v_fma_f64 v[19:20], -v[17:18], v[17:18], v[8:9]
	v_fma_f64 v[12:13], v[19:20], v[12:13], v[17:18]
	v_mov_b32_e32 v17, 0x260
	v_cmp_class_f64_e32 vcc, v[8:9], v17
	v_ldexp_f64 v[12:13], v[12:13], s8
	v_cndmask_b32_e32 v9, v13, v9, vcc
	v_cndmask_b32_e32 v8, v12, v8, vcc
	v_mul_f64 v[8:9], v[6:7], v[8:9]
	s_andn2_b64 vcc, exec, s[4:5]
	s_cbranch_vccz .LBB62_56
	s_branch .LBB62_57
.LBB62_55:
                                        ; implicit-def: $vgpr8_vgpr9
.LBB62_56:
	v_div_scale_f64 v[8:9], s[4:5], v[4:5], v[4:5], v[6:7]
	s_mov_b32 s4, 0
	s_brev_b32 s5, 8
	v_rcp_f64_e32 v[12:13], v[8:9]
	v_fma_f64 v[17:18], -v[8:9], v[12:13], 1.0
	v_fma_f64 v[12:13], v[12:13], v[17:18], v[12:13]
	v_div_scale_f64 v[17:18], vcc, v[6:7], v[4:5], v[6:7]
	v_fma_f64 v[19:20], -v[8:9], v[12:13], 1.0
	v_fma_f64 v[12:13], v[12:13], v[19:20], v[12:13]
	v_mul_f64 v[19:20], v[17:18], v[12:13]
	v_fma_f64 v[8:9], -v[8:9], v[19:20], v[17:18]
	v_div_fmas_f64 v[8:9], v[8:9], v[12:13], v[19:20]
	v_div_fixup_f64 v[6:7], v[8:9], v[4:5], v[6:7]
	v_fma_f64 v[6:7], v[6:7], v[6:7], 1.0
	v_cmp_gt_f64_e32 vcc, s[4:5], v[6:7]
	s_and_b64 s[4:5], vcc, exec
	s_cselect_b32 s4, 0x100, 0
	v_ldexp_f64 v[6:7], v[6:7], s4
	s_cselect_b32 s4, 0xffffff80, 0
	v_rsq_f64_e32 v[8:9], v[6:7]
	v_mul_f64 v[12:13], v[6:7], v[8:9]
	v_mul_f64 v[8:9], v[8:9], 0.5
	v_fma_f64 v[17:18], -v[8:9], v[12:13], 0.5
	v_fma_f64 v[12:13], v[12:13], v[17:18], v[12:13]
	v_fma_f64 v[8:9], v[8:9], v[17:18], v[8:9]
	v_fma_f64 v[17:18], -v[12:13], v[12:13], v[6:7]
	v_fma_f64 v[12:13], v[17:18], v[8:9], v[12:13]
	v_fma_f64 v[17:18], -v[12:13], v[12:13], v[6:7]
	v_fma_f64 v[8:9], v[17:18], v[8:9], v[12:13]
	v_mov_b32_e32 v12, 0x260
	v_cmp_class_f64_e32 vcc, v[6:7], v12
	v_ldexp_f64 v[8:9], v[8:9], s4
	v_cndmask_b32_e32 v7, v9, v7, vcc
	v_cndmask_b32_e32 v6, v8, v6, vcc
	v_mul_f64 v[8:9], v[4:5], v[6:7]
.LBB62_57:
	s_mov_b32 s4, 0
	s_brev_b32 s5, 8
	v_cmp_gt_f64_e32 vcc, s[4:5], v[8:9]
	s_and_b64 s[4:5], vcc, exec
	s_cselect_b32 s4, 0x100, 0
	v_ldexp_f64 v[4:5], v[8:9], s4
	s_cselect_b32 s4, 0xffffff80, 0
	v_rsq_f64_e32 v[6:7], v[4:5]
	v_mul_f64 v[8:9], v[4:5], v[6:7]
	v_mul_f64 v[6:7], v[6:7], 0.5
	v_fma_f64 v[12:13], -v[6:7], v[8:9], 0.5
	v_fma_f64 v[8:9], v[8:9], v[12:13], v[8:9]
	v_fma_f64 v[6:7], v[6:7], v[12:13], v[6:7]
	v_fma_f64 v[12:13], -v[8:9], v[8:9], v[4:5]
	v_fma_f64 v[8:9], v[12:13], v[6:7], v[8:9]
	v_fma_f64 v[12:13], -v[8:9], v[8:9], v[4:5]
	v_fma_f64 v[6:7], v[12:13], v[6:7], v[8:9]
	v_mov_b32_e32 v9, 0x260
	v_cmp_class_f64_e32 vcc, v[4:5], v9
	v_ldexp_f64 v[7:8], v[6:7], s4
	v_mov_b32_e32 v6, 0
	v_cndmask_b32_e32 v5, v8, v5, vcc
	v_cndmask_b32_e32 v4, v7, v4, vcc
	v_mov_b32_e32 v7, v6
	ds_write_b128 v6, v[4:7] offset:640
.LBB62_58:
	s_or_b64 exec, exec, s[0:1]
	v_mov_b32_e32 v4, 0
	s_waitcnt lgkmcnt(0)
	ds_read_b128 v[4:7], v4 offset:640
	v_cmp_ne_u32_e64 s[0:1], 0, v15
	v_mov_b32_e32 v8, 0x3ff00000
	s_add_i32 s16, s12, s13
	s_waitcnt lgkmcnt(0)
	v_cmp_neq_f64_e32 vcc, 0, v[4:5]
	v_cmp_neq_f64_e64 s[4:5], 0, v[6:7]
	s_or_b64 vcc, vcc, s[4:5]
	v_cndmask_b32_e32 v5, v8, v5, vcc
	s_nor_b64 s[8:9], vcc, s[0:1]
	v_cndmask_b32_e32 v4, 0, v4, vcc
	v_cndmask_b32_e32 v7, 0, v7, vcc
	v_cndmask_b32_e32 v6, 0, v6, vcc
	s_and_saveexec_b64 s[4:5], s[8:9]
	s_cbranch_execz .LBB62_62
; %bb.59:
	v_mbcnt_lo_u32_b32 v4, exec_lo, 0
	v_mbcnt_hi_u32_b32 v4, exec_hi, v4
	v_cmp_eq_u32_e32 vcc, 0, v4
	s_and_saveexec_b64 s[8:9], vcc
	s_cbranch_execz .LBB62_61
; %bb.60:
	v_mov_b32_e32 v4, 0
	v_mov_b32_e32 v5, s16
	global_atomic_smin v4, v5, s[14:15]
.LBB62_61:
	s_or_b64 exec, exec, s[8:9]
	v_mov_b32_e32 v6, 0
	v_mov_b32_e32 v4, 0
	;; [unrolled: 1-line block ×4, first 2 shown]
.LBB62_62:
	s_or_b64 exec, exec, s[4:5]
	s_movk_i32 s4, 0x50
	v_mov_b32_e32 v8, 0x280
	v_mad_u32_u24 v12, v0, s4, v8
	s_and_saveexec_b64 s[4:5], s[2:3]
	s_cbranch_execz .LBB62_64
; %bb.63:
	v_mul_f64 v[8:9], v[6:7], v[6:7]
	v_fma_f64 v[8:9], v[4:5], v[4:5], v[8:9]
	v_div_scale_f64 v[17:18], s[2:3], v[8:9], v[8:9], 1.0
	v_rcp_f64_e32 v[19:20], v[17:18]
	v_fma_f64 v[21:22], -v[17:18], v[19:20], 1.0
	v_fma_f64 v[19:20], v[19:20], v[21:22], v[19:20]
	v_div_scale_f64 v[21:22], vcc, 1.0, v[8:9], 1.0
	v_fma_f64 v[23:24], -v[17:18], v[19:20], 1.0
	v_fma_f64 v[25:26], v[19:20], v[23:24], v[19:20]
	v_mul_f64 v[27:28], v[21:22], v[25:26]
	v_fma_f64 v[29:30], -v[17:18], v[27:28], v[21:22]
	ds_read_b128 v[17:20], v11
	ds_read_b128 v[21:24], v16
	s_waitcnt lgkmcnt(0)
	v_add_f64 v[19:20], v[19:20], -v[23:24]
	v_add_f64 v[17:18], v[17:18], -v[21:22]
	v_div_fmas_f64 v[23:24], v[29:30], v[25:26], v[27:28]
	v_mul_f64 v[21:22], v[6:7], v[19:20]
	v_mul_f64 v[6:7], v[6:7], -v[17:18]
	v_fma_f64 v[17:18], v[17:18], v[4:5], v[21:22]
	v_fma_f64 v[6:7], v[19:20], v[4:5], v[6:7]
	v_div_fixup_f64 v[8:9], v[23:24], v[8:9], 1.0
	v_mul_f64 v[4:5], v[8:9], v[17:18]
	v_mul_f64 v[6:7], v[8:9], v[6:7]
	ds_write_b128 v11, v[4:7]
	s_waitcnt lgkmcnt(0)
	ds_read_b128 v[17:20], v12
	ds_read_b128 v[21:24], v14
	s_waitcnt lgkmcnt(0)
	v_fma_f64 v[8:9], v[4:5], v[17:18], v[21:22]
	v_fma_f64 v[17:18], v[6:7], v[17:18], v[23:24]
	;; [unrolled: 1-line block ×3, first 2 shown]
	v_fma_f64 v[8:9], v[4:5], -v[19:20], v[17:18]
	ds_write_b128 v14, v[6:9]
.LBB62_64:
	s_or_b64 exec, exec, s[4:5]
	v_cmp_eq_u32_e32 vcc, 1, v1
	s_waitcnt lgkmcnt(0)
	s_and_saveexec_b64 s[2:3], vcc
	s_cbranch_execz .LBB62_71
; %bb.65:
	v_mov_b32_e32 v8, 0
	ds_read_b128 v[4:7], v8 offset:1056
	ds_read_b128 v[17:20], v8 offset:736
	s_waitcnt lgkmcnt(0)
	v_add_f64 v[4:5], v[17:18], -v[4:5]
	v_add_f64 v[8:9], v[19:20], -v[6:7]
	v_cmp_gt_f64_e32 vcc, 0, v[4:5]
	v_xor_b32_e32 v6, 0x80000000, v5
	v_xor_b32_e32 v7, 0x80000000, v9
	v_cndmask_b32_e32 v5, v5, v6, vcc
	v_cmp_gt_f64_e32 vcc, 0, v[8:9]
	v_mov_b32_e32 v6, v8
	v_cndmask_b32_e32 v7, v9, v7, vcc
	v_cmp_gt_f64_e32 vcc, v[4:5], v[6:7]
	s_cbranch_vccnz .LBB62_68
; %bb.66:
	v_cmp_eq_f64_e32 vcc, 0, v[8:9]
	s_mov_b64 s[4:5], 0
	s_cbranch_vccnz .LBB62_111
; %bb.67:
	v_div_scale_f64 v[8:9], s[8:9], v[6:7], v[6:7], v[4:5]
	s_mov_b32 s8, 0
	s_brev_b32 s9, 8
	v_mov_b32_e32 v13, 0x260
	v_rcp_f64_e32 v[17:18], v[8:9]
	v_fma_f64 v[19:20], -v[8:9], v[17:18], 1.0
	v_fma_f64 v[17:18], v[17:18], v[19:20], v[17:18]
	v_div_scale_f64 v[19:20], vcc, v[4:5], v[6:7], v[4:5]
	v_fma_f64 v[21:22], -v[8:9], v[17:18], 1.0
	v_fma_f64 v[17:18], v[17:18], v[21:22], v[17:18]
	v_mul_f64 v[21:22], v[19:20], v[17:18]
	v_fma_f64 v[8:9], -v[8:9], v[21:22], v[19:20]
	v_div_fmas_f64 v[8:9], v[8:9], v[17:18], v[21:22]
	v_div_fixup_f64 v[8:9], v[8:9], v[6:7], v[4:5]
	v_fma_f64 v[8:9], v[8:9], v[8:9], 1.0
	v_cmp_gt_f64_e32 vcc, s[8:9], v[8:9]
	s_and_b64 s[8:9], vcc, exec
	s_cselect_b32 s8, 0x100, 0
	v_ldexp_f64 v[8:9], v[8:9], s8
	s_cselect_b32 s8, 0xffffff80, 0
	v_rsq_f64_e32 v[17:18], v[8:9]
	v_cmp_class_f64_e32 vcc, v[8:9], v13
	v_mul_f64 v[19:20], v[8:9], v[17:18]
	v_mul_f64 v[17:18], v[17:18], 0.5
	v_fma_f64 v[21:22], -v[17:18], v[19:20], 0.5
	v_fma_f64 v[19:20], v[19:20], v[21:22], v[19:20]
	v_fma_f64 v[17:18], v[17:18], v[21:22], v[17:18]
	v_fma_f64 v[21:22], -v[19:20], v[19:20], v[8:9]
	v_fma_f64 v[19:20], v[21:22], v[17:18], v[19:20]
	v_fma_f64 v[21:22], -v[19:20], v[19:20], v[8:9]
	v_fma_f64 v[17:18], v[21:22], v[17:18], v[19:20]
	v_ldexp_f64 v[17:18], v[17:18], s8
	v_cndmask_b32_e32 v9, v18, v9, vcc
	v_cndmask_b32_e32 v8, v17, v8, vcc
	v_mul_f64 v[8:9], v[6:7], v[8:9]
	s_andn2_b64 vcc, exec, s[4:5]
	s_cbranch_vccz .LBB62_69
	s_branch .LBB62_70
.LBB62_68:
                                        ; implicit-def: $vgpr8_vgpr9
.LBB62_69:
	v_div_scale_f64 v[8:9], s[4:5], v[4:5], v[4:5], v[6:7]
	s_mov_b32 s4, 0
	s_brev_b32 s5, 8
	v_mov_b32_e32 v13, 0x260
	v_rcp_f64_e32 v[17:18], v[8:9]
	v_fma_f64 v[19:20], -v[8:9], v[17:18], 1.0
	v_fma_f64 v[17:18], v[17:18], v[19:20], v[17:18]
	v_div_scale_f64 v[19:20], vcc, v[6:7], v[4:5], v[6:7]
	v_fma_f64 v[21:22], -v[8:9], v[17:18], 1.0
	v_fma_f64 v[17:18], v[17:18], v[21:22], v[17:18]
	v_mul_f64 v[21:22], v[19:20], v[17:18]
	v_fma_f64 v[8:9], -v[8:9], v[21:22], v[19:20]
	v_div_fmas_f64 v[8:9], v[8:9], v[17:18], v[21:22]
	v_div_fixup_f64 v[6:7], v[8:9], v[4:5], v[6:7]
	v_fma_f64 v[6:7], v[6:7], v[6:7], 1.0
	v_cmp_gt_f64_e32 vcc, s[4:5], v[6:7]
	s_and_b64 s[4:5], vcc, exec
	s_cselect_b32 s4, 0x100, 0
	v_ldexp_f64 v[6:7], v[6:7], s4
	s_cselect_b32 s4, 0xffffff80, 0
	v_rsq_f64_e32 v[8:9], v[6:7]
	v_cmp_class_f64_e32 vcc, v[6:7], v13
	v_mul_f64 v[17:18], v[6:7], v[8:9]
	v_mul_f64 v[8:9], v[8:9], 0.5
	v_fma_f64 v[19:20], -v[8:9], v[17:18], 0.5
	v_fma_f64 v[17:18], v[17:18], v[19:20], v[17:18]
	v_fma_f64 v[8:9], v[8:9], v[19:20], v[8:9]
	v_fma_f64 v[19:20], -v[17:18], v[17:18], v[6:7]
	v_fma_f64 v[17:18], v[19:20], v[8:9], v[17:18]
	v_fma_f64 v[19:20], -v[17:18], v[17:18], v[6:7]
	v_fma_f64 v[8:9], v[19:20], v[8:9], v[17:18]
	v_ldexp_f64 v[8:9], v[8:9], s4
	v_cndmask_b32_e32 v7, v9, v7, vcc
	v_cndmask_b32_e32 v6, v8, v6, vcc
	v_mul_f64 v[8:9], v[4:5], v[6:7]
.LBB62_70:
	s_mov_b32 s4, 0
	s_brev_b32 s5, 8
	v_cmp_gt_f64_e32 vcc, s[4:5], v[8:9]
	s_and_b64 s[4:5], vcc, exec
	s_cselect_b32 s4, 0x100, 0
	v_ldexp_f64 v[4:5], v[8:9], s4
	s_cselect_b32 s4, 0xffffff80, 0
	v_rsq_f64_e32 v[6:7], v[4:5]
	v_mul_f64 v[8:9], v[4:5], v[6:7]
	v_mul_f64 v[6:7], v[6:7], 0.5
	v_fma_f64 v[17:18], -v[6:7], v[8:9], 0.5
	v_fma_f64 v[8:9], v[8:9], v[17:18], v[8:9]
	v_fma_f64 v[6:7], v[6:7], v[17:18], v[6:7]
	v_fma_f64 v[17:18], -v[8:9], v[8:9], v[4:5]
	v_fma_f64 v[8:9], v[17:18], v[6:7], v[8:9]
	v_fma_f64 v[17:18], -v[8:9], v[8:9], v[4:5]
	v_fma_f64 v[6:7], v[17:18], v[6:7], v[8:9]
	v_mov_b32_e32 v9, 0x260
	v_cmp_class_f64_e32 vcc, v[4:5], v9
	v_ldexp_f64 v[7:8], v[6:7], s4
	v_mov_b32_e32 v6, 0
	v_cndmask_b32_e32 v5, v8, v5, vcc
	v_cndmask_b32_e32 v4, v7, v4, vcc
	v_mov_b32_e32 v7, v6
	ds_write_b128 v6, v[4:7] offset:736
.LBB62_71:
	s_or_b64 exec, exec, s[2:3]
	v_mov_b32_e32 v4, 0
	s_waitcnt lgkmcnt(0)
	ds_read_b128 v[4:7], v4 offset:736
	v_mov_b32_e32 v8, 0x3ff00000
	s_waitcnt lgkmcnt(0)
	v_cmp_neq_f64_e32 vcc, 0, v[4:5]
	v_cmp_neq_f64_e64 s[2:3], 0, v[6:7]
	s_or_b64 vcc, vcc, s[2:3]
	v_cndmask_b32_e32 v5, v8, v5, vcc
	s_nor_b64 s[4:5], vcc, s[0:1]
	v_cndmask_b32_e32 v4, 0, v4, vcc
	v_cndmask_b32_e32 v7, 0, v7, vcc
	;; [unrolled: 1-line block ×3, first 2 shown]
	s_and_saveexec_b64 s[2:3], s[4:5]
	s_cbranch_execz .LBB62_75
; %bb.72:
	v_mbcnt_lo_u32_b32 v4, exec_lo, 0
	v_mbcnt_hi_u32_b32 v4, exec_hi, v4
	v_cmp_eq_u32_e32 vcc, 0, v4
	s_and_saveexec_b64 s[4:5], vcc
	s_cbranch_execz .LBB62_74
; %bb.73:
	v_mov_b32_e32 v4, 0
	v_mov_b32_e32 v5, s16
	global_atomic_smin v4, v5, s[14:15]
.LBB62_74:
	s_or_b64 exec, exec, s[4:5]
	v_mov_b32_e32 v6, 0
	v_mov_b32_e32 v4, 0
	;; [unrolled: 1-line block ×4, first 2 shown]
.LBB62_75:
	s_or_b64 exec, exec, s[2:3]
	v_cmp_lt_u32_e32 vcc, 1, v1
	s_and_saveexec_b64 s[2:3], vcc
	s_cbranch_execz .LBB62_77
; %bb.76:
	v_mul_f64 v[8:9], v[6:7], v[6:7]
	v_fma_f64 v[8:9], v[4:5], v[4:5], v[8:9]
	v_div_scale_f64 v[17:18], s[4:5], v[8:9], v[8:9], 1.0
	v_rcp_f64_e32 v[19:20], v[17:18]
	v_fma_f64 v[21:22], -v[17:18], v[19:20], 1.0
	v_fma_f64 v[19:20], v[19:20], v[21:22], v[19:20]
	v_div_scale_f64 v[21:22], vcc, 1.0, v[8:9], 1.0
	v_fma_f64 v[23:24], -v[17:18], v[19:20], 1.0
	v_fma_f64 v[25:26], v[19:20], v[23:24], v[19:20]
	v_mul_f64 v[27:28], v[21:22], v[25:26]
	v_fma_f64 v[29:30], -v[17:18], v[27:28], v[21:22]
	ds_read_b128 v[17:20], v11 offset:16
	ds_read_b128 v[21:24], v16 offset:16
	s_waitcnt lgkmcnt(0)
	v_add_f64 v[19:20], v[19:20], -v[23:24]
	v_add_f64 v[17:18], v[17:18], -v[21:22]
	v_div_fmas_f64 v[23:24], v[29:30], v[25:26], v[27:28]
	v_mul_f64 v[21:22], v[6:7], v[19:20]
	v_mul_f64 v[6:7], v[6:7], -v[17:18]
	v_fma_f64 v[17:18], v[17:18], v[4:5], v[21:22]
	v_fma_f64 v[6:7], v[19:20], v[4:5], v[6:7]
	v_div_fixup_f64 v[8:9], v[23:24], v[8:9], 1.0
	v_mul_f64 v[4:5], v[8:9], v[17:18]
	v_mul_f64 v[6:7], v[8:9], v[6:7]
	ds_write_b128 v11, v[4:7] offset:16
	s_waitcnt lgkmcnt(0)
	ds_read_b128 v[17:20], v12 offset:16
	ds_read_b128 v[21:24], v14
	s_waitcnt lgkmcnt(0)
	v_fma_f64 v[8:9], v[4:5], v[17:18], v[21:22]
	v_fma_f64 v[17:18], v[6:7], v[17:18], v[23:24]
	;; [unrolled: 1-line block ×3, first 2 shown]
	v_fma_f64 v[8:9], v[4:5], -v[19:20], v[17:18]
	ds_write_b128 v14, v[6:9]
.LBB62_77:
	s_or_b64 exec, exec, s[2:3]
	v_cmp_eq_u32_e32 vcc, 2, v1
	s_waitcnt lgkmcnt(0)
	s_and_saveexec_b64 s[2:3], vcc
	s_cbranch_execz .LBB62_84
; %bb.78:
	v_mov_b32_e32 v8, 0
	ds_read_b128 v[4:7], v8 offset:1152
	ds_read_b128 v[17:20], v8 offset:832
	s_waitcnt lgkmcnt(0)
	v_add_f64 v[4:5], v[17:18], -v[4:5]
	v_add_f64 v[8:9], v[19:20], -v[6:7]
	v_cmp_gt_f64_e32 vcc, 0, v[4:5]
	v_xor_b32_e32 v6, 0x80000000, v5
	v_xor_b32_e32 v7, 0x80000000, v9
	v_cndmask_b32_e32 v5, v5, v6, vcc
	v_cmp_gt_f64_e32 vcc, 0, v[8:9]
	v_mov_b32_e32 v6, v8
	v_cndmask_b32_e32 v7, v9, v7, vcc
	v_cmp_gt_f64_e32 vcc, v[4:5], v[6:7]
	s_cbranch_vccnz .LBB62_81
; %bb.79:
	v_cmp_eq_f64_e32 vcc, 0, v[8:9]
	s_mov_b64 s[4:5], 0
	s_cbranch_vccnz .LBB62_112
; %bb.80:
	v_div_scale_f64 v[8:9], s[8:9], v[6:7], v[6:7], v[4:5]
	s_mov_b32 s8, 0
	s_brev_b32 s9, 8
	v_mov_b32_e32 v13, 0x260
	v_rcp_f64_e32 v[17:18], v[8:9]
	v_fma_f64 v[19:20], -v[8:9], v[17:18], 1.0
	v_fma_f64 v[17:18], v[17:18], v[19:20], v[17:18]
	v_div_scale_f64 v[19:20], vcc, v[4:5], v[6:7], v[4:5]
	v_fma_f64 v[21:22], -v[8:9], v[17:18], 1.0
	v_fma_f64 v[17:18], v[17:18], v[21:22], v[17:18]
	v_mul_f64 v[21:22], v[19:20], v[17:18]
	v_fma_f64 v[8:9], -v[8:9], v[21:22], v[19:20]
	v_div_fmas_f64 v[8:9], v[8:9], v[17:18], v[21:22]
	v_div_fixup_f64 v[8:9], v[8:9], v[6:7], v[4:5]
	v_fma_f64 v[8:9], v[8:9], v[8:9], 1.0
	v_cmp_gt_f64_e32 vcc, s[8:9], v[8:9]
	s_and_b64 s[8:9], vcc, exec
	s_cselect_b32 s8, 0x100, 0
	v_ldexp_f64 v[8:9], v[8:9], s8
	s_cselect_b32 s8, 0xffffff80, 0
	v_rsq_f64_e32 v[17:18], v[8:9]
	v_cmp_class_f64_e32 vcc, v[8:9], v13
	v_mul_f64 v[19:20], v[8:9], v[17:18]
	v_mul_f64 v[17:18], v[17:18], 0.5
	v_fma_f64 v[21:22], -v[17:18], v[19:20], 0.5
	v_fma_f64 v[19:20], v[19:20], v[21:22], v[19:20]
	v_fma_f64 v[17:18], v[17:18], v[21:22], v[17:18]
	v_fma_f64 v[21:22], -v[19:20], v[19:20], v[8:9]
	v_fma_f64 v[19:20], v[21:22], v[17:18], v[19:20]
	v_fma_f64 v[21:22], -v[19:20], v[19:20], v[8:9]
	v_fma_f64 v[17:18], v[21:22], v[17:18], v[19:20]
	v_ldexp_f64 v[17:18], v[17:18], s8
	v_cndmask_b32_e32 v9, v18, v9, vcc
	v_cndmask_b32_e32 v8, v17, v8, vcc
	v_mul_f64 v[8:9], v[6:7], v[8:9]
	s_andn2_b64 vcc, exec, s[4:5]
	s_cbranch_vccz .LBB62_82
	s_branch .LBB62_83
.LBB62_81:
                                        ; implicit-def: $vgpr8_vgpr9
.LBB62_82:
	v_div_scale_f64 v[8:9], s[4:5], v[4:5], v[4:5], v[6:7]
	s_mov_b32 s4, 0
	s_brev_b32 s5, 8
	v_mov_b32_e32 v13, 0x260
	v_rcp_f64_e32 v[17:18], v[8:9]
	v_fma_f64 v[19:20], -v[8:9], v[17:18], 1.0
	v_fma_f64 v[17:18], v[17:18], v[19:20], v[17:18]
	v_div_scale_f64 v[19:20], vcc, v[6:7], v[4:5], v[6:7]
	v_fma_f64 v[21:22], -v[8:9], v[17:18], 1.0
	v_fma_f64 v[17:18], v[17:18], v[21:22], v[17:18]
	v_mul_f64 v[21:22], v[19:20], v[17:18]
	v_fma_f64 v[8:9], -v[8:9], v[21:22], v[19:20]
	v_div_fmas_f64 v[8:9], v[8:9], v[17:18], v[21:22]
	v_div_fixup_f64 v[6:7], v[8:9], v[4:5], v[6:7]
	v_fma_f64 v[6:7], v[6:7], v[6:7], 1.0
	v_cmp_gt_f64_e32 vcc, s[4:5], v[6:7]
	s_and_b64 s[4:5], vcc, exec
	s_cselect_b32 s4, 0x100, 0
	v_ldexp_f64 v[6:7], v[6:7], s4
	s_cselect_b32 s4, 0xffffff80, 0
	v_rsq_f64_e32 v[8:9], v[6:7]
	v_cmp_class_f64_e32 vcc, v[6:7], v13
	v_mul_f64 v[17:18], v[6:7], v[8:9]
	v_mul_f64 v[8:9], v[8:9], 0.5
	v_fma_f64 v[19:20], -v[8:9], v[17:18], 0.5
	v_fma_f64 v[17:18], v[17:18], v[19:20], v[17:18]
	v_fma_f64 v[8:9], v[8:9], v[19:20], v[8:9]
	v_fma_f64 v[19:20], -v[17:18], v[17:18], v[6:7]
	v_fma_f64 v[17:18], v[19:20], v[8:9], v[17:18]
	v_fma_f64 v[19:20], -v[17:18], v[17:18], v[6:7]
	v_fma_f64 v[8:9], v[19:20], v[8:9], v[17:18]
	v_ldexp_f64 v[8:9], v[8:9], s4
	v_cndmask_b32_e32 v7, v9, v7, vcc
	v_cndmask_b32_e32 v6, v8, v6, vcc
	v_mul_f64 v[8:9], v[4:5], v[6:7]
.LBB62_83:
	s_mov_b32 s4, 0
	s_brev_b32 s5, 8
	v_cmp_gt_f64_e32 vcc, s[4:5], v[8:9]
	s_and_b64 s[4:5], vcc, exec
	s_cselect_b32 s4, 0x100, 0
	v_ldexp_f64 v[4:5], v[8:9], s4
	s_cselect_b32 s4, 0xffffff80, 0
	v_rsq_f64_e32 v[6:7], v[4:5]
	v_mul_f64 v[8:9], v[4:5], v[6:7]
	v_mul_f64 v[6:7], v[6:7], 0.5
	v_fma_f64 v[17:18], -v[6:7], v[8:9], 0.5
	v_fma_f64 v[8:9], v[8:9], v[17:18], v[8:9]
	v_fma_f64 v[6:7], v[6:7], v[17:18], v[6:7]
	v_fma_f64 v[17:18], -v[8:9], v[8:9], v[4:5]
	v_fma_f64 v[8:9], v[17:18], v[6:7], v[8:9]
	v_fma_f64 v[17:18], -v[8:9], v[8:9], v[4:5]
	v_fma_f64 v[6:7], v[17:18], v[6:7], v[8:9]
	v_mov_b32_e32 v9, 0x260
	v_cmp_class_f64_e32 vcc, v[4:5], v9
	v_ldexp_f64 v[7:8], v[6:7], s4
	v_mov_b32_e32 v6, 0
	v_cndmask_b32_e32 v5, v8, v5, vcc
	v_cndmask_b32_e32 v4, v7, v4, vcc
	v_mov_b32_e32 v7, v6
	ds_write_b128 v6, v[4:7] offset:832
.LBB62_84:
	s_or_b64 exec, exec, s[2:3]
	v_mov_b32_e32 v4, 0
	s_waitcnt lgkmcnt(0)
	ds_read_b128 v[4:7], v4 offset:832
	v_mov_b32_e32 v8, 0x3ff00000
	s_waitcnt lgkmcnt(0)
	v_cmp_neq_f64_e32 vcc, 0, v[4:5]
	v_cmp_neq_f64_e64 s[2:3], 0, v[6:7]
	s_or_b64 vcc, vcc, s[2:3]
	v_cndmask_b32_e32 v5, v8, v5, vcc
	s_nor_b64 s[4:5], vcc, s[0:1]
	v_cndmask_b32_e32 v4, 0, v4, vcc
	v_cndmask_b32_e32 v7, 0, v7, vcc
	;; [unrolled: 1-line block ×3, first 2 shown]
	s_and_saveexec_b64 s[2:3], s[4:5]
	s_cbranch_execz .LBB62_88
; %bb.85:
	v_mbcnt_lo_u32_b32 v4, exec_lo, 0
	v_mbcnt_hi_u32_b32 v4, exec_hi, v4
	v_cmp_eq_u32_e32 vcc, 0, v4
	s_and_saveexec_b64 s[4:5], vcc
	s_cbranch_execz .LBB62_87
; %bb.86:
	v_mov_b32_e32 v4, 0
	v_mov_b32_e32 v5, s16
	global_atomic_smin v4, v5, s[14:15]
.LBB62_87:
	s_or_b64 exec, exec, s[4:5]
	v_mov_b32_e32 v6, 0
	v_mov_b32_e32 v4, 0
	;; [unrolled: 1-line block ×4, first 2 shown]
.LBB62_88:
	s_or_b64 exec, exec, s[2:3]
	v_cmp_lt_u32_e32 vcc, 2, v1
	s_and_saveexec_b64 s[2:3], vcc
	s_cbranch_execz .LBB62_90
; %bb.89:
	v_mul_f64 v[8:9], v[6:7], v[6:7]
	v_fma_f64 v[8:9], v[4:5], v[4:5], v[8:9]
	v_div_scale_f64 v[17:18], s[4:5], v[8:9], v[8:9], 1.0
	v_rcp_f64_e32 v[19:20], v[17:18]
	v_fma_f64 v[21:22], -v[17:18], v[19:20], 1.0
	v_fma_f64 v[19:20], v[19:20], v[21:22], v[19:20]
	v_div_scale_f64 v[21:22], vcc, 1.0, v[8:9], 1.0
	v_fma_f64 v[23:24], -v[17:18], v[19:20], 1.0
	v_fma_f64 v[25:26], v[19:20], v[23:24], v[19:20]
	v_mul_f64 v[27:28], v[21:22], v[25:26]
	v_fma_f64 v[29:30], -v[17:18], v[27:28], v[21:22]
	ds_read_b128 v[17:20], v11 offset:32
	ds_read_b128 v[21:24], v16 offset:32
	s_waitcnt lgkmcnt(0)
	v_add_f64 v[19:20], v[19:20], -v[23:24]
	v_add_f64 v[17:18], v[17:18], -v[21:22]
	v_div_fmas_f64 v[23:24], v[29:30], v[25:26], v[27:28]
	v_mul_f64 v[21:22], v[6:7], v[19:20]
	v_mul_f64 v[6:7], v[6:7], -v[17:18]
	v_fma_f64 v[17:18], v[17:18], v[4:5], v[21:22]
	v_fma_f64 v[6:7], v[19:20], v[4:5], v[6:7]
	v_div_fixup_f64 v[8:9], v[23:24], v[8:9], 1.0
	v_mul_f64 v[4:5], v[8:9], v[17:18]
	v_mul_f64 v[6:7], v[8:9], v[6:7]
	ds_write_b128 v11, v[4:7] offset:32
	s_waitcnt lgkmcnt(0)
	ds_read_b128 v[17:20], v12 offset:32
	ds_read_b128 v[21:24], v14
	s_waitcnt lgkmcnt(0)
	v_fma_f64 v[8:9], v[4:5], v[17:18], v[21:22]
	v_fma_f64 v[17:18], v[6:7], v[17:18], v[23:24]
	;; [unrolled: 1-line block ×3, first 2 shown]
	v_fma_f64 v[8:9], v[4:5], -v[19:20], v[17:18]
	ds_write_b128 v14, v[6:9]
.LBB62_90:
	s_or_b64 exec, exec, s[2:3]
	v_cmp_eq_u32_e32 vcc, 3, v1
	s_waitcnt lgkmcnt(0)
	s_and_saveexec_b64 s[2:3], vcc
	s_cbranch_execz .LBB62_97
; %bb.91:
	v_mov_b32_e32 v8, 0
	ds_read_b128 v[4:7], v8 offset:1248
	ds_read_b128 v[17:20], v8 offset:928
	s_waitcnt lgkmcnt(0)
	v_add_f64 v[4:5], v[17:18], -v[4:5]
	v_add_f64 v[8:9], v[19:20], -v[6:7]
	v_cmp_gt_f64_e32 vcc, 0, v[4:5]
	v_xor_b32_e32 v6, 0x80000000, v5
	v_xor_b32_e32 v7, 0x80000000, v9
	v_cndmask_b32_e32 v5, v5, v6, vcc
	v_cmp_gt_f64_e32 vcc, 0, v[8:9]
	v_mov_b32_e32 v6, v8
	v_cndmask_b32_e32 v7, v9, v7, vcc
	v_cmp_gt_f64_e32 vcc, v[4:5], v[6:7]
	s_cbranch_vccnz .LBB62_94
; %bb.92:
	v_cmp_eq_f64_e32 vcc, 0, v[8:9]
	s_mov_b64 s[4:5], 0
	s_cbranch_vccnz .LBB62_113
; %bb.93:
	v_div_scale_f64 v[8:9], s[8:9], v[6:7], v[6:7], v[4:5]
	s_mov_b32 s8, 0
	s_brev_b32 s9, 8
	v_mov_b32_e32 v13, 0x260
	v_rcp_f64_e32 v[17:18], v[8:9]
	v_fma_f64 v[19:20], -v[8:9], v[17:18], 1.0
	v_fma_f64 v[17:18], v[17:18], v[19:20], v[17:18]
	v_div_scale_f64 v[19:20], vcc, v[4:5], v[6:7], v[4:5]
	v_fma_f64 v[21:22], -v[8:9], v[17:18], 1.0
	v_fma_f64 v[17:18], v[17:18], v[21:22], v[17:18]
	v_mul_f64 v[21:22], v[19:20], v[17:18]
	v_fma_f64 v[8:9], -v[8:9], v[21:22], v[19:20]
	v_div_fmas_f64 v[8:9], v[8:9], v[17:18], v[21:22]
	v_div_fixup_f64 v[8:9], v[8:9], v[6:7], v[4:5]
	v_fma_f64 v[8:9], v[8:9], v[8:9], 1.0
	v_cmp_gt_f64_e32 vcc, s[8:9], v[8:9]
	s_and_b64 s[8:9], vcc, exec
	s_cselect_b32 s8, 0x100, 0
	v_ldexp_f64 v[8:9], v[8:9], s8
	s_cselect_b32 s8, 0xffffff80, 0
	v_rsq_f64_e32 v[17:18], v[8:9]
	v_cmp_class_f64_e32 vcc, v[8:9], v13
	v_mul_f64 v[19:20], v[8:9], v[17:18]
	v_mul_f64 v[17:18], v[17:18], 0.5
	v_fma_f64 v[21:22], -v[17:18], v[19:20], 0.5
	v_fma_f64 v[19:20], v[19:20], v[21:22], v[19:20]
	v_fma_f64 v[17:18], v[17:18], v[21:22], v[17:18]
	v_fma_f64 v[21:22], -v[19:20], v[19:20], v[8:9]
	v_fma_f64 v[19:20], v[21:22], v[17:18], v[19:20]
	v_fma_f64 v[21:22], -v[19:20], v[19:20], v[8:9]
	v_fma_f64 v[17:18], v[21:22], v[17:18], v[19:20]
	v_ldexp_f64 v[17:18], v[17:18], s8
	v_cndmask_b32_e32 v9, v18, v9, vcc
	v_cndmask_b32_e32 v8, v17, v8, vcc
	v_mul_f64 v[8:9], v[6:7], v[8:9]
	s_andn2_b64 vcc, exec, s[4:5]
	s_cbranch_vccz .LBB62_95
	s_branch .LBB62_96
.LBB62_94:
                                        ; implicit-def: $vgpr8_vgpr9
.LBB62_95:
	v_div_scale_f64 v[8:9], s[4:5], v[4:5], v[4:5], v[6:7]
	s_mov_b32 s4, 0
	s_brev_b32 s5, 8
	v_mov_b32_e32 v13, 0x260
	v_rcp_f64_e32 v[17:18], v[8:9]
	v_fma_f64 v[19:20], -v[8:9], v[17:18], 1.0
	v_fma_f64 v[17:18], v[17:18], v[19:20], v[17:18]
	v_div_scale_f64 v[19:20], vcc, v[6:7], v[4:5], v[6:7]
	v_fma_f64 v[21:22], -v[8:9], v[17:18], 1.0
	v_fma_f64 v[17:18], v[17:18], v[21:22], v[17:18]
	v_mul_f64 v[21:22], v[19:20], v[17:18]
	v_fma_f64 v[8:9], -v[8:9], v[21:22], v[19:20]
	v_div_fmas_f64 v[8:9], v[8:9], v[17:18], v[21:22]
	v_div_fixup_f64 v[6:7], v[8:9], v[4:5], v[6:7]
	v_fma_f64 v[6:7], v[6:7], v[6:7], 1.0
	v_cmp_gt_f64_e32 vcc, s[4:5], v[6:7]
	s_and_b64 s[4:5], vcc, exec
	s_cselect_b32 s4, 0x100, 0
	v_ldexp_f64 v[6:7], v[6:7], s4
	s_cselect_b32 s4, 0xffffff80, 0
	v_rsq_f64_e32 v[8:9], v[6:7]
	v_cmp_class_f64_e32 vcc, v[6:7], v13
	v_mul_f64 v[17:18], v[6:7], v[8:9]
	v_mul_f64 v[8:9], v[8:9], 0.5
	v_fma_f64 v[19:20], -v[8:9], v[17:18], 0.5
	v_fma_f64 v[17:18], v[17:18], v[19:20], v[17:18]
	v_fma_f64 v[8:9], v[8:9], v[19:20], v[8:9]
	v_fma_f64 v[19:20], -v[17:18], v[17:18], v[6:7]
	v_fma_f64 v[17:18], v[19:20], v[8:9], v[17:18]
	v_fma_f64 v[19:20], -v[17:18], v[17:18], v[6:7]
	v_fma_f64 v[8:9], v[19:20], v[8:9], v[17:18]
	v_ldexp_f64 v[8:9], v[8:9], s4
	v_cndmask_b32_e32 v7, v9, v7, vcc
	v_cndmask_b32_e32 v6, v8, v6, vcc
	v_mul_f64 v[8:9], v[4:5], v[6:7]
.LBB62_96:
	s_mov_b32 s4, 0
	s_brev_b32 s5, 8
	v_cmp_gt_f64_e32 vcc, s[4:5], v[8:9]
	s_and_b64 s[4:5], vcc, exec
	s_cselect_b32 s4, 0x100, 0
	v_ldexp_f64 v[4:5], v[8:9], s4
	s_cselect_b32 s4, 0xffffff80, 0
	v_rsq_f64_e32 v[6:7], v[4:5]
	v_mul_f64 v[8:9], v[4:5], v[6:7]
	v_mul_f64 v[6:7], v[6:7], 0.5
	v_fma_f64 v[17:18], -v[6:7], v[8:9], 0.5
	v_fma_f64 v[8:9], v[8:9], v[17:18], v[8:9]
	v_fma_f64 v[6:7], v[6:7], v[17:18], v[6:7]
	v_fma_f64 v[17:18], -v[8:9], v[8:9], v[4:5]
	v_fma_f64 v[8:9], v[17:18], v[6:7], v[8:9]
	v_fma_f64 v[17:18], -v[8:9], v[8:9], v[4:5]
	v_fma_f64 v[6:7], v[17:18], v[6:7], v[8:9]
	v_mov_b32_e32 v9, 0x260
	v_cmp_class_f64_e32 vcc, v[4:5], v9
	v_ldexp_f64 v[7:8], v[6:7], s4
	v_mov_b32_e32 v6, 0
	v_cndmask_b32_e32 v5, v8, v5, vcc
	v_cndmask_b32_e32 v4, v7, v4, vcc
	v_mov_b32_e32 v7, v6
	ds_write_b128 v6, v[4:7] offset:928
.LBB62_97:
	s_or_b64 exec, exec, s[2:3]
	v_mov_b32_e32 v4, 0
	s_waitcnt lgkmcnt(0)
	ds_read_b128 v[4:7], v4 offset:928
	v_mov_b32_e32 v8, 0x3ff00000
	s_waitcnt lgkmcnt(0)
	v_cmp_neq_f64_e32 vcc, 0, v[4:5]
	v_cmp_neq_f64_e64 s[2:3], 0, v[6:7]
	s_or_b64 vcc, vcc, s[2:3]
	v_cndmask_b32_e32 v5, v8, v5, vcc
	s_nor_b64 s[2:3], vcc, s[0:1]
	v_cndmask_b32_e32 v4, 0, v4, vcc
	v_cndmask_b32_e32 v7, 0, v7, vcc
	;; [unrolled: 1-line block ×3, first 2 shown]
	s_and_saveexec_b64 s[0:1], s[2:3]
	s_cbranch_execz .LBB62_101
; %bb.98:
	v_mbcnt_lo_u32_b32 v4, exec_lo, 0
	v_mbcnt_hi_u32_b32 v4, exec_hi, v4
	v_cmp_eq_u32_e32 vcc, 0, v4
	s_and_saveexec_b64 s[2:3], vcc
	s_cbranch_execz .LBB62_100
; %bb.99:
	v_mov_b32_e32 v4, 0
	v_mov_b32_e32 v5, s16
	global_atomic_smin v4, v5, s[14:15]
.LBB62_100:
	s_or_b64 exec, exec, s[2:3]
	v_mov_b32_e32 v6, 0
	v_mov_b32_e32 v4, 0
	;; [unrolled: 1-line block ×4, first 2 shown]
.LBB62_101:
	s_or_b64 exec, exec, s[0:1]
	v_cmp_lt_u32_e32 vcc, 3, v1
	s_and_saveexec_b64 s[0:1], vcc
	s_cbranch_execz .LBB62_103
; %bb.102:
	v_mul_f64 v[8:9], v[6:7], v[6:7]
	v_fma_f64 v[8:9], v[4:5], v[4:5], v[8:9]
	v_div_scale_f64 v[17:18], s[2:3], v[8:9], v[8:9], 1.0
	v_rcp_f64_e32 v[19:20], v[17:18]
	v_fma_f64 v[21:22], -v[17:18], v[19:20], 1.0
	v_fma_f64 v[19:20], v[19:20], v[21:22], v[19:20]
	v_div_scale_f64 v[21:22], vcc, 1.0, v[8:9], 1.0
	v_fma_f64 v[23:24], -v[17:18], v[19:20], 1.0
	v_fma_f64 v[25:26], v[19:20], v[23:24], v[19:20]
	v_mul_f64 v[27:28], v[21:22], v[25:26]
	v_fma_f64 v[29:30], -v[17:18], v[27:28], v[21:22]
	ds_read_b128 v[17:20], v11 offset:48
	ds_read_b128 v[21:24], v16 offset:48
	s_waitcnt lgkmcnt(0)
	v_add_f64 v[19:20], v[19:20], -v[23:24]
	v_add_f64 v[16:17], v[17:18], -v[21:22]
	v_div_fmas_f64 v[23:24], v[29:30], v[25:26], v[27:28]
	v_mul_f64 v[21:22], v[6:7], v[19:20]
	v_mul_f64 v[6:7], v[6:7], -v[16:17]
	v_fma_f64 v[16:17], v[16:17], v[4:5], v[21:22]
	v_fma_f64 v[6:7], v[19:20], v[4:5], v[6:7]
	v_div_fixup_f64 v[8:9], v[23:24], v[8:9], 1.0
	v_mul_f64 v[4:5], v[8:9], v[16:17]
	v_mul_f64 v[6:7], v[8:9], v[6:7]
	ds_write_b128 v11, v[4:7] offset:48
	s_waitcnt lgkmcnt(0)
	ds_read_b128 v[16:19], v12 offset:48
	ds_read_b128 v[20:23], v14
	s_waitcnt lgkmcnt(0)
	v_fma_f64 v[8:9], v[4:5], v[16:17], v[20:21]
	v_fma_f64 v[11:12], v[6:7], v[16:17], v[22:23]
	;; [unrolled: 1-line block ×3, first 2 shown]
	v_fma_f64 v[8:9], v[4:5], -v[18:19], v[11:12]
	ds_write_b128 v14, v[6:9]
.LBB62_103:
	s_or_b64 exec, exec, s[0:1]
	s_waitcnt lgkmcnt(0)
	ds_read2_b64 v[4:7], v10 offset1:1
	v_cmp_eq_u32_e32 vcc, 0, v15
	s_waitcnt lgkmcnt(0)
	global_store_dwordx4 v[2:3], v[4:7], off
	s_and_saveexec_b64 s[0:1], vcc
	s_cbranch_execz .LBB62_105
; %bb.104:
	s_add_u32 s2, s10, s6
	s_addc_u32 s3, s11, s7
	v_mov_b32_e32 v2, 0
	v_mov_b32_e32 v3, 1
	s_waitcnt vmcnt(0)
	global_store_dword v2, v3, s[2:3]
.LBB62_105:
	s_or_b64 exec, exec, s[0:1]
	s_branch .LBB62_7
.LBB62_106:
	v_or_b32_e32 v0, v0, v1
	v_cmp_eq_u32_e32 vcc, 0, v0
	s_and_saveexec_b64 s[0:1], vcc
	s_cbranch_execz .LBB62_7
; %bb.107:
	v_mbcnt_lo_u32_b32 v0, exec_lo, 0
	v_mbcnt_hi_u32_b32 v0, exec_hi, v0
	v_cmp_eq_u32_e32 vcc, 0, v0
	s_and_saveexec_b64 s[0:1], vcc
	s_cbranch_execz .LBB62_109
; %bb.108:
	s_add_i32 s2, s12, s13
	v_mov_b32_e32 v0, 0
	v_mov_b32_e32 v1, s2
	global_atomic_smin v0, v1, s[14:15]
.LBB62_109:
	s_or_b64 exec, exec, s[0:1]
	s_add_u32 s0, s10, s6
	s_addc_u32 s1, s11, s7
	v_mov_b32_e32 v0, 0
	v_mov_b32_e32 v1, 1
	s_waitcnt vmcnt(0)
	global_store_dword v0, v1, s[0:1]
	s_endpgm
.LBB62_110:
	v_mov_b32_e32 v8, 0
	v_mov_b32_e32 v9, 0
	s_andn2_b64 vcc, exec, s[4:5]
	s_cbranch_vccz .LBB62_56
	s_branch .LBB62_57
.LBB62_111:
	v_mov_b32_e32 v8, 0
	v_mov_b32_e32 v9, 0
	s_andn2_b64 vcc, exec, s[4:5]
	s_cbranch_vccz .LBB62_69
	s_branch .LBB62_70
.LBB62_112:
	v_mov_b32_e32 v8, 0
	v_mov_b32_e32 v9, 0
	s_andn2_b64 vcc, exec, s[4:5]
	s_cbranch_vccz .LBB62_82
	s_branch .LBB62_83
.LBB62_113:
	v_mov_b32_e32 v8, 0
	v_mov_b32_e32 v9, 0
	s_andn2_b64 vcc, exec, s[4:5]
	s_cbranch_vccz .LBB62_95
	s_branch .LBB62_96
	.section	.rodata,"a",@progbits
	.p2align	6, 0x0
	.amdhsa_kernel _ZN9rocsparseL26bsric0_2_8_unrolled_kernelILi16ELi32ELi4E21rocsparse_complex_numIdEEEv20rocsparse_direction_iiPKiS5_PT2_S5_PiS5_S8_21rocsparse_index_base_
		.amdhsa_group_segment_fixed_size 1664
		.amdhsa_private_segment_fixed_size 0
		.amdhsa_kernarg_size 76
		.amdhsa_user_sgpr_count 6
		.amdhsa_user_sgpr_private_segment_buffer 1
		.amdhsa_user_sgpr_dispatch_ptr 0
		.amdhsa_user_sgpr_queue_ptr 0
		.amdhsa_user_sgpr_kernarg_segment_ptr 1
		.amdhsa_user_sgpr_dispatch_id 0
		.amdhsa_user_sgpr_flat_scratch_init 0
		.amdhsa_user_sgpr_private_segment_size 0
		.amdhsa_uses_dynamic_stack 0
		.amdhsa_system_sgpr_private_segment_wavefront_offset 0
		.amdhsa_system_sgpr_workgroup_id_x 1
		.amdhsa_system_sgpr_workgroup_id_y 0
		.amdhsa_system_sgpr_workgroup_id_z 0
		.amdhsa_system_sgpr_workgroup_info 0
		.amdhsa_system_vgpr_workitem_id 1
		.amdhsa_next_free_vgpr 62
		.amdhsa_next_free_sgpr 40
		.amdhsa_reserve_vcc 1
		.amdhsa_reserve_flat_scratch 0
		.amdhsa_float_round_mode_32 0
		.amdhsa_float_round_mode_16_64 0
		.amdhsa_float_denorm_mode_32 3
		.amdhsa_float_denorm_mode_16_64 3
		.amdhsa_dx10_clamp 1
		.amdhsa_ieee_mode 1
		.amdhsa_fp16_overflow 0
		.amdhsa_exception_fp_ieee_invalid_op 0
		.amdhsa_exception_fp_denorm_src 0
		.amdhsa_exception_fp_ieee_div_zero 0
		.amdhsa_exception_fp_ieee_overflow 0
		.amdhsa_exception_fp_ieee_underflow 0
		.amdhsa_exception_fp_ieee_inexact 0
		.amdhsa_exception_int_div_zero 0
	.end_amdhsa_kernel
	.section	.text._ZN9rocsparseL26bsric0_2_8_unrolled_kernelILi16ELi32ELi4E21rocsparse_complex_numIdEEEv20rocsparse_direction_iiPKiS5_PT2_S5_PiS5_S8_21rocsparse_index_base_,"axG",@progbits,_ZN9rocsparseL26bsric0_2_8_unrolled_kernelILi16ELi32ELi4E21rocsparse_complex_numIdEEEv20rocsparse_direction_iiPKiS5_PT2_S5_PiS5_S8_21rocsparse_index_base_,comdat
.Lfunc_end62:
	.size	_ZN9rocsparseL26bsric0_2_8_unrolled_kernelILi16ELi32ELi4E21rocsparse_complex_numIdEEEv20rocsparse_direction_iiPKiS5_PT2_S5_PiS5_S8_21rocsparse_index_base_, .Lfunc_end62-_ZN9rocsparseL26bsric0_2_8_unrolled_kernelILi16ELi32ELi4E21rocsparse_complex_numIdEEEv20rocsparse_direction_iiPKiS5_PT2_S5_PiS5_S8_21rocsparse_index_base_
                                        ; -- End function
	.set _ZN9rocsparseL26bsric0_2_8_unrolled_kernelILi16ELi32ELi4E21rocsparse_complex_numIdEEEv20rocsparse_direction_iiPKiS5_PT2_S5_PiS5_S8_21rocsparse_index_base_.num_vgpr, 62
	.set _ZN9rocsparseL26bsric0_2_8_unrolled_kernelILi16ELi32ELi4E21rocsparse_complex_numIdEEEv20rocsparse_direction_iiPKiS5_PT2_S5_PiS5_S8_21rocsparse_index_base_.num_agpr, 0
	.set _ZN9rocsparseL26bsric0_2_8_unrolled_kernelILi16ELi32ELi4E21rocsparse_complex_numIdEEEv20rocsparse_direction_iiPKiS5_PT2_S5_PiS5_S8_21rocsparse_index_base_.numbered_sgpr, 40
	.set _ZN9rocsparseL26bsric0_2_8_unrolled_kernelILi16ELi32ELi4E21rocsparse_complex_numIdEEEv20rocsparse_direction_iiPKiS5_PT2_S5_PiS5_S8_21rocsparse_index_base_.num_named_barrier, 0
	.set _ZN9rocsparseL26bsric0_2_8_unrolled_kernelILi16ELi32ELi4E21rocsparse_complex_numIdEEEv20rocsparse_direction_iiPKiS5_PT2_S5_PiS5_S8_21rocsparse_index_base_.private_seg_size, 0
	.set _ZN9rocsparseL26bsric0_2_8_unrolled_kernelILi16ELi32ELi4E21rocsparse_complex_numIdEEEv20rocsparse_direction_iiPKiS5_PT2_S5_PiS5_S8_21rocsparse_index_base_.uses_vcc, 1
	.set _ZN9rocsparseL26bsric0_2_8_unrolled_kernelILi16ELi32ELi4E21rocsparse_complex_numIdEEEv20rocsparse_direction_iiPKiS5_PT2_S5_PiS5_S8_21rocsparse_index_base_.uses_flat_scratch, 0
	.set _ZN9rocsparseL26bsric0_2_8_unrolled_kernelILi16ELi32ELi4E21rocsparse_complex_numIdEEEv20rocsparse_direction_iiPKiS5_PT2_S5_PiS5_S8_21rocsparse_index_base_.has_dyn_sized_stack, 0
	.set _ZN9rocsparseL26bsric0_2_8_unrolled_kernelILi16ELi32ELi4E21rocsparse_complex_numIdEEEv20rocsparse_direction_iiPKiS5_PT2_S5_PiS5_S8_21rocsparse_index_base_.has_recursion, 0
	.set _ZN9rocsparseL26bsric0_2_8_unrolled_kernelILi16ELi32ELi4E21rocsparse_complex_numIdEEEv20rocsparse_direction_iiPKiS5_PT2_S5_PiS5_S8_21rocsparse_index_base_.has_indirect_call, 0
	.section	.AMDGPU.csdata,"",@progbits
; Kernel info:
; codeLenInByte = 8892
; TotalNumSgprs: 44
; NumVgprs: 62
; ScratchSize: 0
; MemoryBound: 1
; FloatMode: 240
; IeeeMode: 1
; LDSByteSize: 1664 bytes/workgroup (compile time only)
; SGPRBlocks: 5
; VGPRBlocks: 15
; NumSGPRsForWavesPerEU: 44
; NumVGPRsForWavesPerEU: 62
; Occupancy: 4
; WaveLimiterHint : 1
; COMPUTE_PGM_RSRC2:SCRATCH_EN: 0
; COMPUTE_PGM_RSRC2:USER_SGPR: 6
; COMPUTE_PGM_RSRC2:TRAP_HANDLER: 0
; COMPUTE_PGM_RSRC2:TGID_X_EN: 1
; COMPUTE_PGM_RSRC2:TGID_Y_EN: 0
; COMPUTE_PGM_RSRC2:TGID_Z_EN: 0
; COMPUTE_PGM_RSRC2:TIDIG_COMP_CNT: 1
	.section	.text._ZN9rocsparseL26bsric0_2_8_unrolled_kernelILi25ELi32ELi5E21rocsparse_complex_numIdEEEv20rocsparse_direction_iiPKiS5_PT2_S5_PiS5_S8_21rocsparse_index_base_,"axG",@progbits,_ZN9rocsparseL26bsric0_2_8_unrolled_kernelILi25ELi32ELi5E21rocsparse_complex_numIdEEEv20rocsparse_direction_iiPKiS5_PT2_S5_PiS5_S8_21rocsparse_index_base_,comdat
	.globl	_ZN9rocsparseL26bsric0_2_8_unrolled_kernelILi25ELi32ELi5E21rocsparse_complex_numIdEEEv20rocsparse_direction_iiPKiS5_PT2_S5_PiS5_S8_21rocsparse_index_base_ ; -- Begin function _ZN9rocsparseL26bsric0_2_8_unrolled_kernelILi25ELi32ELi5E21rocsparse_complex_numIdEEEv20rocsparse_direction_iiPKiS5_PT2_S5_PiS5_S8_21rocsparse_index_base_
	.p2align	8
	.type	_ZN9rocsparseL26bsric0_2_8_unrolled_kernelILi25ELi32ELi5E21rocsparse_complex_numIdEEEv20rocsparse_direction_iiPKiS5_PT2_S5_PiS5_S8_21rocsparse_index_base_,@function
_ZN9rocsparseL26bsric0_2_8_unrolled_kernelILi25ELi32ELi5E21rocsparse_complex_numIdEEEv20rocsparse_direction_iiPKiS5_PT2_S5_PiS5_S8_21rocsparse_index_base_: ; @_ZN9rocsparseL26bsric0_2_8_unrolled_kernelILi25ELi32ELi5E21rocsparse_complex_numIdEEEv20rocsparse_direction_iiPKiS5_PT2_S5_PiS5_S8_21rocsparse_index_base_
; %bb.0:
	s_load_dwordx8 s[8:15], s[4:5], 0x28
	s_mov_b32 s7, 0
	s_lshl_b64 s[0:1], s[6:7], 2
	s_waitcnt lgkmcnt(0)
	s_add_u32 s0, s12, s0
	s_addc_u32 s1, s13, s1
	s_load_dword s12, s[0:1], 0x0
	s_waitcnt lgkmcnt(0)
	s_ashr_i32 s13, s12, 31
	s_lshl_b64 s[6:7], s[12:13], 2
	s_add_u32 s0, s8, s6
	s_addc_u32 s1, s9, s7
	s_load_dword s30, s[0:1], 0x0
	s_load_dword s13, s[4:5], 0x48
	s_waitcnt lgkmcnt(0)
	s_cmp_lg_u32 s30, -1
	s_cbranch_scc0 .LBB63_57
; %bb.1:
	s_load_dwordx4 s[16:19], s[4:5], 0x10
	s_load_dwordx2 s[20:21], s[4:5], 0x20
	v_mad_u32_u24 v16, v1, 5, v0
	s_waitcnt lgkmcnt(0)
	s_add_u32 s0, s16, s6
	s_addc_u32 s1, s17, s7
	s_load_dword s0, s[0:1], 0x0
	s_waitcnt lgkmcnt(0)
	s_sub_i32 s31, s0, s13
	v_add_u32_e32 v2, s31, v16
	v_cmp_ge_i32_e32 vcc, s30, v2
	s_and_saveexec_b64 s[0:1], vcc
	s_cbranch_execz .LBB63_4
; %bb.2:
	v_mov_b32_e32 v3, 0x880
	v_lshl_add_u32 v5, v16, 2, v3
	v_ashrrev_i32_e32 v3, 31, v2
	v_lshlrev_b64 v[3:4], 2, v[2:3]
	v_mov_b32_e32 v6, s19
	v_add_co_u32_e32 v3, vcc, s18, v3
	v_addc_co_u32_e32 v4, vcc, v6, v4, vcc
	s_mov_b64 s[2:3], 0
.LBB63_3:                               ; =>This Inner Loop Header: Depth=1
	global_load_dword v6, v[3:4], off
	v_add_co_u32_e32 v3, vcc, 0x64, v3
	v_add_u32_e32 v2, 25, v2
	v_addc_co_u32_e32 v4, vcc, 0, v4, vcc
	v_cmp_lt_i32_e32 vcc, s30, v2
	s_or_b64 s[2:3], vcc, s[2:3]
	s_waitcnt vmcnt(0)
	v_subrev_u32_e32 v6, s13, v6
	ds_write_b32 v5, v6
	v_add_u32_e32 v5, 0x64, v5
	s_andn2_b64 exec, exec, s[2:3]
	s_cbranch_execnz .LBB63_3
.LBB63_4:
	s_or_b64 exec, exec, s[0:1]
	s_load_dword s33, s[4:5], 0x0
	s_movk_i32 s0, 0x60
	v_mov_b32_e32 v2, 0x5a0
	v_mad_u32_u24 v19, v1, s0, v2
	v_mov_b32_e32 v2, 0
	v_mul_u32_u24_e32 v20, 5, v1
	v_lshl_add_u32 v18, v0, 4, v19
	v_mov_b32_e32 v3, v2
	v_mov_b32_e32 v4, v2
	;; [unrolled: 1-line block ×3, first 2 shown]
	s_cmp_ge_i32 s31, s30
	v_mad_u32_u24 v17, v0, 5, v1
	ds_write_b128 v18, v[2:5]
	s_waitcnt lgkmcnt(0)
	s_cbranch_scc1 .LBB63_51
; %bb.5:
	s_cmp_lg_u32 s33, 0
	s_cselect_b64 s[4:5], -1, 0
	s_cmp_eq_u32 s33, 0
	v_mov_b32_e32 v4, 0x3c0
	v_mov_b32_e32 v6, 0x1e0
	v_mad_u32_u24 v3, v0, 5, v1
	v_mad_u32_u24 v22, v1, s0, v4
	v_lshlrev_b32_e32 v5, 4, v0
	v_mad_u32_u24 v25, v1, s0, v6
	v_mad_u32_u24 v27, v0, s0, v4
	v_or_b32_e32 v4, v0, v1
	s_cselect_b64 vcc, -1, 0
	v_mul_u32_u24_e32 v21, 5, v0
	v_add_u32_e32 v23, v22, v5
	v_mad_u32_u24 v24, v1, s0, v5
	v_add_u32_e32 v26, v25, v5
	v_cmp_ne_u32_e64 s[0:1], 0, v4
	v_cndmask_b32_e32 v7, v3, v16, vcc
	v_mov_b32_e32 v28, 0x3ff00000
	s_mov_b32 s22, s31
	s_branch .LBB63_8
.LBB63_6:                               ;   in Loop: Header=BB63_8 Depth=1
	s_or_b64 exec, exec, s[24:25]
	v_mov_b32_e32 v12, 0
	v_mov_b32_e32 v10, 0
	;; [unrolled: 1-line block ×4, first 2 shown]
.LBB63_7:                               ;   in Loop: Header=BB63_8 Depth=1
	s_or_b64 exec, exec, s[2:3]
	v_mul_f64 v[14:15], v[12:13], v[12:13]
	ds_read_b128 v[29:32], v2 offset:384
	ds_read_b128 v[33:36], v25 offset:64
	ds_read_b128 v[37:40], v22
	ds_read_b128 v[41:44], v22 offset:16
	s_add_i32 s22, s22, 1
	s_cmp_ge_i32 s22, s30
	s_waitcnt lgkmcnt(1)
	v_fma_f64 v[35:36], v[31:32], v[37:38], v[35:36]
	v_fma_f64 v[37:38], v[29:30], v[37:38], v[33:34]
	;; [unrolled: 1-line block ×3, first 2 shown]
	v_fma_f64 v[49:50], v[29:30], -v[39:40], v[35:36]
	v_fma_f64 v[37:38], v[31:32], v[39:40], v[37:38]
	ds_read_b128 v[33:36], v2 offset:400
	ds_read_b128 v[29:32], v2 offset:416
	v_div_scale_f64 v[45:46], s[2:3], v[14:15], v[14:15], 1.0
	s_cselect_b64 s[2:3], -1, 0
	s_waitcnt lgkmcnt(1)
	v_fma_f64 v[39:40], v[35:36], v[41:42], v[49:50]
	v_fma_f64 v[41:42], v[33:34], v[41:42], v[37:38]
	v_fma_f64 v[51:52], v[33:34], -v[43:44], v[39:40]
	v_fma_f64 v[41:42], v[35:36], v[43:44], v[41:42]
	ds_read_b128 v[37:40], v22 offset:32
	ds_read_b128 v[33:36], v22 offset:48
	v_rcp_f64_e32 v[47:48], v[45:46]
	s_waitcnt lgkmcnt(1)
	v_fma_f64 v[43:44], v[31:32], v[37:38], v[51:52]
	v_fma_f64 v[37:38], v[29:30], v[37:38], v[41:42]
	v_fma_f64 v[29:30], v[29:30], -v[39:40], v[43:44]
	v_fma_f64 v[31:32], v[31:32], v[39:40], v[37:38]
	ds_read_b128 v[41:44], v2 offset:432
	v_fma_f64 v[49:50], -v[45:46], v[47:48], 1.0
	s_waitcnt lgkmcnt(0)
	v_fma_f64 v[29:30], v[43:44], v[33:34], v[29:30]
	v_fma_f64 v[31:32], v[41:42], v[33:34], v[31:32]
	;; [unrolled: 1-line block ×3, first 2 shown]
	v_div_scale_f64 v[49:50], vcc, 1.0, v[14:15], 1.0
	v_fma_f64 v[29:30], v[41:42], -v[35:36], v[29:30]
	v_fma_f64 v[31:32], v[43:44], v[35:36], v[31:32]
	v_fma_f64 v[51:52], -v[45:46], v[47:48], 1.0
	v_add_f64 v[5:6], v[5:6], -v[29:30]
	v_add_f64 v[3:4], v[3:4], -v[31:32]
	v_fma_f64 v[47:48], v[47:48], v[51:52], v[47:48]
	v_mul_f64 v[31:32], v[12:13], v[5:6]
	v_mul_f64 v[12:13], v[12:13], -v[3:4]
	v_mul_f64 v[37:38], v[49:50], v[47:48]
	v_fma_f64 v[3:4], v[3:4], v[10:11], v[31:32]
	v_fma_f64 v[5:6], v[5:6], v[10:11], v[12:13]
	v_fma_f64 v[33:34], -v[45:46], v[37:38], v[49:50]
	v_div_fmas_f64 v[29:30], v[33:34], v[47:48], v[37:38]
	v_div_fixup_f64 v[14:15], v[29:30], v[14:15], 1.0
	v_mul_f64 v[3:4], v[14:15], v[3:4]
	v_mul_f64 v[5:6], v[14:15], v[5:6]
	ds_write_b128 v22, v[3:6] offset:64
	s_waitcnt lgkmcnt(0)
	ds_read_b128 v[10:13], v27 offset:64
	ds_read_b128 v[29:32], v18
	s_waitcnt lgkmcnt(0)
	v_fma_f64 v[14:15], v[3:4], v[10:11], v[29:30]
	v_fma_f64 v[29:30], v[5:6], v[10:11], v[31:32]
	;; [unrolled: 1-line block ×3, first 2 shown]
	v_fma_f64 v[12:13], v[3:4], -v[12:13], v[29:30]
	ds_write_b128 v18, v[10:13]
	s_waitcnt lgkmcnt(0)
	ds_read2_b64 v[3:6], v23 offset1:1
	s_waitcnt lgkmcnt(0)
	global_store_dwordx4 v[8:9], v[3:6], off
	s_waitcnt vmcnt(0)
	buffer_wbinvl1_vol
	s_and_b64 vcc, exec, s[2:3]
	s_cbranch_vccnz .LBB63_51
.LBB63_8:                               ; =>This Loop Header: Depth=1
                                        ;     Child Loop BB63_11 Depth 2
                                        ;     Child Loop BB63_22 Depth 2
	;; [unrolled: 1-line block ×3, first 2 shown]
	s_ashr_i32 s23, s22, 31
	s_lshl_b64 s[2:3], s[22:23], 2
	s_add_u32 s2, s18, s2
	s_addc_u32 s3, s19, s3
	s_load_dword s23, s[2:3], 0x0
	s_waitcnt lgkmcnt(0)
	s_sub_i32 s24, s23, s13
	s_ashr_i32 s25, s24, 31
	s_lshl_b64 s[2:3], s[24:25], 2
	s_add_u32 s26, s8, s2
	s_addc_u32 s27, s9, s3
	s_load_dword s25, s[26:27], 0x0
	s_waitcnt lgkmcnt(0)
	s_cmp_eq_u32 s25, -1
	s_cbranch_scc1 .LBB63_50
; %bb.9:                                ;   in Loop: Header=BB63_8 Depth=1
	v_mad_u64_u32 v[3:4], s[26:27], s22, 25, v[7:8]
	v_mov_b32_e32 v5, s21
	s_add_u32 s26, s16, s2
	v_ashrrev_i32_e32 v4, 31, v3
	v_lshlrev_b64 v[3:4], 4, v[3:4]
	s_addc_u32 s27, s17, s3
	v_add_co_u32_e32 v8, vcc, s20, v3
	v_addc_co_u32_e32 v9, vcc, v5, v4, vcc
	global_load_dwordx4 v[3:6], v[8:9], off
	s_load_dword s26, s[26:27], 0x0
	ds_read_b32 v10, v2 offset:2176
	s_mov_b32 s27, 0
	s_waitcnt lgkmcnt(0)
	s_sub_i32 s26, s26, s13
	s_cmp_le_i32 s26, s25
	v_cmp_ge_i32_e32 vcc, s24, v10
	s_cselect_b64 s[28:29], -1, 0
	s_and_b64 s[28:29], s[28:29], vcc
	s_andn2_b64 vcc, exec, s[28:29]
	s_waitcnt vmcnt(0)
	ds_write2_b64 v23, v[3:4], v[5:6] offset1:1
	s_cbranch_vccnz .LBB63_21
; %bb.10:                               ;   in Loop: Header=BB63_8 Depth=1
	s_mov_b32 s34, 0
	s_mov_b32 s35, 0
.LBB63_11:                              ;   Parent Loop BB63_8 Depth=1
                                        ; =>  This Inner Loop Header: Depth=2
	s_ashr_i32 s27, s26, 31
	s_lshl_b64 s[28:29], s[26:27], 2
	s_add_u32 s28, s18, s28
	s_addc_u32 s29, s19, s29
	s_load_dword s27, s[28:29], 0x0
	s_lshl_b32 s28, s35, 2
	v_mov_b32_e32 v3, s28
	ds_read_b32 v3, v3 offset:2176
	s_mov_b64 s[28:29], -1
	s_waitcnt lgkmcnt(0)
	s_sub_i32 s39, s27, s13
                                        ; implicit-def: $sgpr27
                                        ; implicit-def: $sgpr38
                                        ; implicit-def: $sgpr37
	v_cmp_ge_i32_e32 vcc, s39, v3
	v_readfirstlane_b32 s36, v3
	s_cbranch_vccz .LBB63_17
; %bb.12:                               ;   in Loop: Header=BB63_11 Depth=2
	s_cmp_le_i32 s39, s36
                                        ; implicit-def: $sgpr27
                                        ; implicit-def: $sgpr38
                                        ; implicit-def: $sgpr37
	s_cbranch_scc0 .LBB63_14
; %bb.13:                               ;   in Loop: Header=BB63_11 Depth=2
	s_add_i32 s27, s35, s31
	s_mul_i32 s27, s27, 25
	s_lshl_b32 s28, s34, 2
	v_mov_b32_e32 v3, s28
	v_mov_b32_e32 v4, s27
	s_mul_i32 s27, s26, 25
	v_mov_b32_e32 v5, s27
	v_add_u32_e32 v3, 0x600, v3
	ds_write2_b32 v3, v5, v4 offset0:96 offset1:128
	s_add_i32 s37, s35, 1
	s_add_i32 s38, s26, 1
	;; [unrolled: 1-line block ×3, first 2 shown]
	s_mov_b64 s[28:29], 0
.LBB63_14:                              ;   in Loop: Header=BB63_11 Depth=2
	s_andn2_b64 vcc, exec, s[28:29]
	s_cbranch_vccnz .LBB63_16
; %bb.15:                               ;   in Loop: Header=BB63_11 Depth=2
	s_add_i32 s37, s35, 1
	s_mov_b32 s27, s34
	s_mov_b32 s38, s26
.LBB63_16:                              ;   in Loop: Header=BB63_11 Depth=2
	s_mov_b64 s[28:29], 0
.LBB63_17:                              ;   in Loop: Header=BB63_11 Depth=2
	s_andn2_b64 vcc, exec, s[28:29]
	s_cbranch_vccnz .LBB63_19
; %bb.18:                               ;   in Loop: Header=BB63_11 Depth=2
	s_add_i32 s38, s26, 1
	s_mov_b32 s37, s35
	s_mov_b32 s27, s34
.LBB63_19:                              ;   in Loop: Header=BB63_11 Depth=2
	s_cmp_le_i32 s38, s25
	s_cselect_b64 s[28:29], -1, 0
	s_cmp_le_i32 s36, s24
	s_cselect_b64 s[34:35], -1, 0
	s_and_b64 s[28:29], s[28:29], s[34:35]
	s_and_b64 vcc, exec, s[28:29]
	s_cbranch_vccz .LBB63_21
; %bb.20:                               ;   in Loop: Header=BB63_11 Depth=2
	s_mov_b32 s34, s27
	s_mov_b32 s26, s38
	;; [unrolled: 1-line block ×3, first 2 shown]
	s_branch .LBB63_11
.LBB63_21:                              ;   in Loop: Header=BB63_8 Depth=1
	s_add_u32 s2, s10, s2
	s_addc_u32 s3, s11, s3
	s_waitcnt lgkmcnt(0)
.LBB63_22:                              ;   Parent Loop BB63_8 Depth=1
                                        ; =>  This Inner Loop Header: Depth=2
	global_load_dword v3, v2, s[2:3] glc
	s_waitcnt vmcnt(0)
	v_cmp_eq_u32_e32 vcc, 0, v3
	s_cbranch_vccnz .LBB63_22
; %bb.23:                               ;   in Loop: Header=BB63_8 Depth=1
	v_mad_u64_u32 v[3:4], s[2:3], s25, 25, v[7:8]
	v_mov_b32_e32 v5, s21
	buffer_wbinvl1_vol
	v_ashrrev_i32_e32 v4, 31, v3
	v_lshlrev_b64 v[3:4], 4, v[3:4]
	s_cmp_lt_i32 s27, 2
	v_add_co_u32_e32 v3, vcc, s20, v3
	v_addc_co_u32_e32 v4, vcc, v5, v4, vcc
	global_load_dwordx4 v[10:13], v[3:4], off
	v_mov_b32_e32 v5, 0
	v_mov_b32_e32 v3, 0
	;; [unrolled: 1-line block ×4, first 2 shown]
	s_waitcnt vmcnt(0)
	ds_write2_b64 v24, v[10:11], v[12:13] offset1:1
	s_waitcnt lgkmcnt(0)
	s_cbranch_scc1 .LBB63_31
; %bb.24:                               ;   in Loop: Header=BB63_8 Depth=1
	v_mov_b32_e32 v10, 0
	v_mov_b32_e32 v12, 0
	s_add_i32 s24, s27, -1
	v_mov_b32_e32 v11, 0
	v_mov_b32_e32 v13, 0
	s_movk_i32 s25, 0x780
.LBB63_25:                              ;   Parent Loop BB63_8 Depth=1
                                        ; =>  This Inner Loop Header: Depth=2
	v_mov_b32_e32 v3, s25
	s_waitcnt lgkmcnt(0)
	ds_read2_b32 v[14:15], v3 offset1:32
	s_mov_b64 s[2:3], -1
	s_and_b64 vcc, exec, s[4:5]
                                        ; implicit-def: $vgpr5_vgpr6
	s_cbranch_vccz .LBB63_28
; %bb.26:                               ;   in Loop: Header=BB63_25 Depth=2
	s_waitcnt lgkmcnt(0)
	v_add_u32_e32 v33, v14, v0
	v_ashrrev_i32_e32 v34, 31, v33
	v_lshlrev_b64 v[3:4], 4, v[33:34]
	v_add_u32_e32 v34, v15, v1
	v_ashrrev_i32_e32 v35, 31, v34
	v_add_co_u32_e32 v3, vcc, s20, v3
	v_mov_b32_e32 v5, s21
	v_lshlrev_b64 v[29:30], 4, v[34:35]
	v_addc_co_u32_e32 v4, vcc, v5, v4, vcc
	v_add_co_u32_e32 v29, vcc, s20, v29
	v_mov_b32_e32 v31, s21
	v_addc_co_u32_e32 v30, vcc, v31, v30, vcc
	global_load_dwordx4 v[3:6], v[3:4], off
	s_nop 0
	global_load_dwordx4 v[29:32], v[29:30], off
	s_waitcnt vmcnt(0)
	v_fma_f64 v[35:36], v[3:4], v[29:30], v[12:13]
	v_fma_f64 v[35:36], v[5:6], v[31:32], v[35:36]
	v_fma_f64 v[5:6], v[5:6], v[29:30], v[10:11]
	v_add_u32_e32 v29, 5, v34
	v_ashrrev_i32_e32 v30, 31, v29
	v_lshlrev_b64 v[29:30], 4, v[29:30]
	v_fma_f64 v[37:38], v[3:4], -v[31:32], v[5:6]
	v_add_u32_e32 v3, 5, v33
	v_ashrrev_i32_e32 v4, 31, v3
	v_lshlrev_b64 v[3:4], 4, v[3:4]
	v_mov_b32_e32 v5, s21
	v_add_co_u32_e32 v3, vcc, s20, v3
	v_addc_co_u32_e32 v4, vcc, v5, v4, vcc
	v_add_co_u32_e32 v29, vcc, s20, v29
	v_mov_b32_e32 v31, s21
	v_addc_co_u32_e32 v30, vcc, v31, v30, vcc
	global_load_dwordx4 v[3:6], v[3:4], off
	s_nop 0
	global_load_dwordx4 v[29:32], v[29:30], off
	s_waitcnt vmcnt(0)
	v_fma_f64 v[35:36], v[3:4], v[29:30], v[35:36]
	v_fma_f64 v[35:36], v[5:6], v[31:32], v[35:36]
	v_fma_f64 v[5:6], v[5:6], v[29:30], v[37:38]
	v_add_u32_e32 v29, 10, v34
	v_ashrrev_i32_e32 v30, 31, v29
	v_lshlrev_b64 v[29:30], 4, v[29:30]
	v_fma_f64 v[37:38], v[3:4], -v[31:32], v[5:6]
	v_add_u32_e32 v3, 10, v33
	v_ashrrev_i32_e32 v4, 31, v3
	v_lshlrev_b64 v[3:4], 4, v[3:4]
	v_mov_b32_e32 v5, s21
	v_add_co_u32_e32 v3, vcc, s20, v3
	;; [unrolled: 20-line block ×3, first 2 shown]
	v_addc_co_u32_e32 v4, vcc, v5, v4, vcc
	v_add_co_u32_e32 v29, vcc, s20, v29
	v_mov_b32_e32 v31, s21
	v_addc_co_u32_e32 v30, vcc, v31, v30, vcc
	global_load_dwordx4 v[3:6], v[3:4], off
	s_nop 0
	global_load_dwordx4 v[29:32], v[29:30], off
	s_waitcnt vmcnt(0)
	v_fma_f64 v[35:36], v[3:4], v[29:30], v[35:36]
	v_fma_f64 v[39:40], v[5:6], v[31:32], v[35:36]
	;; [unrolled: 1-line block ×3, first 2 shown]
	v_mov_b32_e32 v29, s21
	v_fma_f64 v[5:6], v[3:4], -v[31:32], v[5:6]
	v_add_u32_e32 v3, 20, v33
	v_ashrrev_i32_e32 v4, 31, v3
	v_lshlrev_b64 v[3:4], 4, v[3:4]
	v_mov_b32_e32 v33, s21
	v_add_co_u32_e32 v3, vcc, s20, v3
	v_addc_co_u32_e32 v4, vcc, v29, v4, vcc
	global_load_dwordx4 v[29:32], v[3:4], off
	v_add_u32_e32 v3, 20, v34
	v_ashrrev_i32_e32 v4, 31, v3
	v_lshlrev_b64 v[3:4], 4, v[3:4]
	v_add_co_u32_e32 v3, vcc, s20, v3
	v_addc_co_u32_e32 v4, vcc, v33, v4, vcc
	global_load_dwordx4 v[33:36], v[3:4], off
	s_waitcnt vmcnt(0)
	v_fma_f64 v[3:4], v[29:30], v[33:34], v[39:40]
	v_fma_f64 v[5:6], v[31:32], v[33:34], v[5:6]
	v_fma_f64 v[3:4], v[31:32], v[35:36], v[3:4]
	v_fma_f64 v[5:6], v[29:30], -v[35:36], v[5:6]
	s_cbranch_execz .LBB63_29
.LBB63_27:                              ;   in Loop: Header=BB63_25 Depth=2
	s_add_i32 s24, s24, -1
	s_add_i32 s25, s25, 4
	s_cmp_eq_u32 s24, 0
	s_cbranch_scc0 .LBB63_30
	s_branch .LBB63_31
.LBB63_28:                              ;   in Loop: Header=BB63_25 Depth=2
	s_andn2_b64 vcc, exec, s[2:3]
	s_cbranch_vccnz .LBB63_27
.LBB63_29:                              ;   in Loop: Header=BB63_25 Depth=2
	s_waitcnt lgkmcnt(0)
	v_add_u32_e32 v3, v14, v21
	v_ashrrev_i32_e32 v4, 31, v3
	v_lshlrev_b64 v[3:4], 4, v[3:4]
	v_mov_b32_e32 v5, s21
	v_add_co_u32_e32 v49, vcc, s20, v3
	v_add_u32_e32 v3, v15, v20
	v_addc_co_u32_e32 v50, vcc, v5, v4, vcc
	v_ashrrev_i32_e32 v4, 31, v3
	v_lshlrev_b64 v[3:4], 4, v[3:4]
	v_add_co_u32_e32 v14, vcc, s20, v3
	v_addc_co_u32_e32 v15, vcc, v5, v4, vcc
	global_load_dwordx4 v[3:6], v[14:15], off
	global_load_dwordx4 v[29:32], v[49:50], off
	global_load_dwordx4 v[33:36], v[49:50], off offset:16
	global_load_dwordx4 v[37:40], v[14:15], off offset:16
	;; [unrolled: 1-line block ×4, first 2 shown]
	s_waitcnt vmcnt(4)
	v_fma_f64 v[12:13], v[29:30], v[3:4], v[12:13]
	v_fma_f64 v[3:4], v[31:32], v[3:4], v[10:11]
	v_fma_f64 v[31:32], v[31:32], v[5:6], v[12:13]
	v_fma_f64 v[29:30], v[29:30], -v[5:6], v[3:4]
	global_load_dwordx4 v[3:6], v[49:50], off offset:48
	global_load_dwordx4 v[10:13], v[14:15], off offset:48
	s_waitcnt vmcnt(4)
	v_fma_f64 v[51:52], v[33:34], v[37:38], v[31:32]
	v_fma_f64 v[37:38], v[35:36], v[37:38], v[29:30]
	global_load_dwordx4 v[29:32], v[49:50], off offset:64
	v_fma_f64 v[49:50], v[35:36], v[39:40], v[51:52]
	v_fma_f64 v[37:38], v[33:34], -v[39:40], v[37:38]
	global_load_dwordx4 v[33:36], v[14:15], off offset:64
	s_waitcnt vmcnt(4)
	v_fma_f64 v[14:15], v[45:46], v[41:42], v[49:50]
	v_fma_f64 v[37:38], v[47:48], v[41:42], v[37:38]
	v_fma_f64 v[14:15], v[47:48], v[43:44], v[14:15]
	v_fma_f64 v[37:38], v[45:46], -v[43:44], v[37:38]
	s_waitcnt vmcnt(2)
	v_fma_f64 v[14:15], v[3:4], v[10:11], v[14:15]
	v_fma_f64 v[10:11], v[5:6], v[10:11], v[37:38]
	v_fma_f64 v[5:6], v[5:6], v[12:13], v[14:15]
	v_fma_f64 v[3:4], v[3:4], -v[12:13], v[10:11]
	;; [unrolled: 5-line block ×3, first 2 shown]
	s_add_i32 s24, s24, -1
	s_add_i32 s25, s25, 4
	s_cmp_eq_u32 s24, 0
	s_cbranch_scc1 .LBB63_31
.LBB63_30:                              ;   in Loop: Header=BB63_25 Depth=2
	v_mov_b32_e32 v11, v6
	v_mov_b32_e32 v13, v4
	;; [unrolled: 1-line block ×4, first 2 shown]
	s_branch .LBB63_25
.LBB63_31:                              ;   in Loop: Header=BB63_8 Depth=1
	ds_write_b128 v26, v[3:6]
	s_waitcnt lgkmcnt(0)
	ds_read_b128 v[10:13], v2
	ds_read_b128 v[3:6], v22
	s_waitcnt lgkmcnt(1)
	v_cmp_neq_f64_e32 vcc, 0, v[10:11]
	v_cmp_neq_f64_e64 s[2:3], 0, v[12:13]
	s_or_b64 vcc, vcc, s[2:3]
	v_cndmask_b32_e32 v11, v28, v11, vcc
	s_nor_b64 s[24:25], vcc, s[0:1]
	v_cndmask_b32_e32 v10, 0, v10, vcc
	v_cndmask_b32_e32 v13, 0, v13, vcc
	;; [unrolled: 1-line block ×3, first 2 shown]
	s_and_saveexec_b64 s[2:3], s[24:25]
	s_cbranch_execz .LBB63_35
; %bb.32:                               ;   in Loop: Header=BB63_8 Depth=1
	v_mbcnt_lo_u32_b32 v10, exec_lo, 0
	v_mbcnt_hi_u32_b32 v10, exec_hi, v10
	v_cmp_eq_u32_e32 vcc, 0, v10
	s_and_saveexec_b64 s[24:25], vcc
	s_cbranch_execz .LBB63_34
; %bb.33:                               ;   in Loop: Header=BB63_8 Depth=1
	v_mov_b32_e32 v10, s23
	global_atomic_smin v2, v10, s[14:15]
.LBB63_34:                              ;   in Loop: Header=BB63_8 Depth=1
	s_or_b64 exec, exec, s[24:25]
	v_mov_b32_e32 v12, 0
	v_mov_b32_e32 v10, 0
	;; [unrolled: 1-line block ×4, first 2 shown]
.LBB63_35:                              ;   in Loop: Header=BB63_8 Depth=1
	s_or_b64 exec, exec, s[2:3]
	v_mul_f64 v[14:15], v[12:13], v[12:13]
	v_fma_f64 v[14:15], v[10:11], v[10:11], v[14:15]
	v_div_scale_f64 v[29:30], s[2:3], v[14:15], v[14:15], 1.0
	v_rcp_f64_e32 v[31:32], v[29:30]
	v_fma_f64 v[33:34], -v[29:30], v[31:32], 1.0
	v_fma_f64 v[31:32], v[31:32], v[33:34], v[31:32]
	v_div_scale_f64 v[33:34], vcc, 1.0, v[14:15], 1.0
	v_fma_f64 v[35:36], -v[29:30], v[31:32], 1.0
	v_fma_f64 v[35:36], v[31:32], v[35:36], v[31:32]
	v_mul_f64 v[37:38], v[33:34], v[35:36]
	v_fma_f64 v[33:34], -v[29:30], v[37:38], v[33:34]
	ds_read_b128 v[29:32], v25
	s_waitcnt lgkmcnt(0)
	v_add_f64 v[5:6], v[5:6], -v[31:32]
	v_add_f64 v[3:4], v[3:4], -v[29:30]
	v_div_fmas_f64 v[31:32], v[33:34], v[35:36], v[37:38]
	v_mul_f64 v[29:30], v[12:13], v[5:6]
	v_mul_f64 v[12:13], v[12:13], -v[3:4]
	v_fma_f64 v[3:4], v[3:4], v[10:11], v[29:30]
	v_fma_f64 v[5:6], v[5:6], v[10:11], v[12:13]
	v_div_fixup_f64 v[14:15], v[31:32], v[14:15], 1.0
	v_mul_f64 v[3:4], v[14:15], v[3:4]
	v_mul_f64 v[5:6], v[14:15], v[5:6]
	ds_write_b128 v22, v[3:6]
	s_waitcnt lgkmcnt(0)
	ds_read_b128 v[10:13], v27
	ds_read_b128 v[29:32], v18
	s_waitcnt lgkmcnt(0)
	v_fma_f64 v[14:15], v[3:4], v[10:11], v[29:30]
	v_fma_f64 v[29:30], v[5:6], v[10:11], v[31:32]
	v_fma_f64 v[10:11], v[5:6], v[12:13], v[14:15]
	v_fma_f64 v[12:13], v[3:4], -v[12:13], v[29:30]
	ds_write_b128 v18, v[10:13]
	s_waitcnt lgkmcnt(0)
	ds_read_b128 v[10:13], v2 offset:112
	ds_read_b128 v[3:6], v22 offset:16
	s_waitcnt lgkmcnt(1)
	v_cmp_neq_f64_e32 vcc, 0, v[10:11]
	v_cmp_neq_f64_e64 s[2:3], 0, v[12:13]
	s_or_b64 vcc, vcc, s[2:3]
	v_cndmask_b32_e32 v11, v28, v11, vcc
	s_nor_b64 s[24:25], vcc, s[0:1]
	v_cndmask_b32_e32 v10, 0, v10, vcc
	v_cndmask_b32_e32 v13, 0, v13, vcc
	;; [unrolled: 1-line block ×3, first 2 shown]
	s_and_saveexec_b64 s[2:3], s[24:25]
	s_cbranch_execz .LBB63_39
; %bb.36:                               ;   in Loop: Header=BB63_8 Depth=1
	v_mbcnt_lo_u32_b32 v10, exec_lo, 0
	v_mbcnt_hi_u32_b32 v10, exec_hi, v10
	v_cmp_eq_u32_e32 vcc, 0, v10
	s_and_saveexec_b64 s[24:25], vcc
	s_cbranch_execz .LBB63_38
; %bb.37:                               ;   in Loop: Header=BB63_8 Depth=1
	v_mov_b32_e32 v10, s23
	global_atomic_smin v2, v10, s[14:15]
.LBB63_38:                              ;   in Loop: Header=BB63_8 Depth=1
	s_or_b64 exec, exec, s[24:25]
	v_mov_b32_e32 v12, 0
	v_mov_b32_e32 v10, 0
	;; [unrolled: 1-line block ×4, first 2 shown]
.LBB63_39:                              ;   in Loop: Header=BB63_8 Depth=1
	s_or_b64 exec, exec, s[2:3]
	v_mul_f64 v[14:15], v[12:13], v[12:13]
	v_fma_f64 v[14:15], v[10:11], v[10:11], v[14:15]
	v_div_scale_f64 v[41:42], s[2:3], v[14:15], v[14:15], 1.0
	v_div_scale_f64 v[43:44], vcc, 1.0, v[14:15], 1.0
	v_rcp_f64_e32 v[29:30], v[41:42]
	v_fma_f64 v[31:32], -v[41:42], v[29:30], 1.0
	v_fma_f64 v[33:34], v[29:30], v[31:32], v[29:30]
	ds_read_b128 v[29:32], v2 offset:96
	v_fma_f64 v[35:36], -v[41:42], v[33:34], 1.0
	v_fma_f64 v[45:46], v[33:34], v[35:36], v[33:34]
	ds_read_b128 v[33:36], v22
	ds_read_b128 v[37:40], v25 offset:16
	s_waitcnt lgkmcnt(0)
	v_fma_f64 v[39:40], v[31:32], v[33:34], v[39:40]
	v_fma_f64 v[33:34], v[29:30], v[33:34], v[37:38]
	v_mul_f64 v[47:48], v[43:44], v[45:46]
	v_fma_f64 v[29:30], v[29:30], -v[35:36], v[39:40]
	v_fma_f64 v[31:32], v[31:32], v[35:36], v[33:34]
	v_fma_f64 v[37:38], -v[41:42], v[47:48], v[43:44]
	v_add_f64 v[5:6], v[5:6], -v[29:30]
	v_add_f64 v[3:4], v[3:4], -v[31:32]
	v_div_fmas_f64 v[29:30], v[37:38], v[45:46], v[47:48]
	v_mul_f64 v[31:32], v[12:13], v[5:6]
	v_mul_f64 v[12:13], v[12:13], -v[3:4]
	v_fma_f64 v[3:4], v[3:4], v[10:11], v[31:32]
	v_fma_f64 v[5:6], v[5:6], v[10:11], v[12:13]
	v_div_fixup_f64 v[14:15], v[29:30], v[14:15], 1.0
	v_mul_f64 v[3:4], v[14:15], v[3:4]
	v_mul_f64 v[5:6], v[14:15], v[5:6]
	ds_write_b128 v22, v[3:6] offset:16
	s_waitcnt lgkmcnt(0)
	ds_read_b128 v[10:13], v27 offset:16
	ds_read_b128 v[29:32], v18
	s_waitcnt lgkmcnt(0)
	v_fma_f64 v[14:15], v[3:4], v[10:11], v[29:30]
	v_fma_f64 v[29:30], v[5:6], v[10:11], v[31:32]
	;; [unrolled: 1-line block ×3, first 2 shown]
	v_fma_f64 v[12:13], v[3:4], -v[12:13], v[29:30]
	ds_write_b128 v18, v[10:13]
	s_waitcnt lgkmcnt(0)
	ds_read_b128 v[10:13], v2 offset:224
	ds_read_b128 v[3:6], v22 offset:32
	s_waitcnt lgkmcnt(1)
	v_cmp_neq_f64_e32 vcc, 0, v[10:11]
	v_cmp_neq_f64_e64 s[2:3], 0, v[12:13]
	s_or_b64 vcc, vcc, s[2:3]
	v_cndmask_b32_e32 v11, v28, v11, vcc
	s_nor_b64 s[24:25], vcc, s[0:1]
	v_cndmask_b32_e32 v10, 0, v10, vcc
	v_cndmask_b32_e32 v13, 0, v13, vcc
	;; [unrolled: 1-line block ×3, first 2 shown]
	s_and_saveexec_b64 s[2:3], s[24:25]
	s_cbranch_execz .LBB63_43
; %bb.40:                               ;   in Loop: Header=BB63_8 Depth=1
	v_mbcnt_lo_u32_b32 v10, exec_lo, 0
	v_mbcnt_hi_u32_b32 v10, exec_hi, v10
	v_cmp_eq_u32_e32 vcc, 0, v10
	s_and_saveexec_b64 s[24:25], vcc
	s_cbranch_execz .LBB63_42
; %bb.41:                               ;   in Loop: Header=BB63_8 Depth=1
	v_mov_b32_e32 v10, s23
	global_atomic_smin v2, v10, s[14:15]
.LBB63_42:                              ;   in Loop: Header=BB63_8 Depth=1
	s_or_b64 exec, exec, s[24:25]
	v_mov_b32_e32 v12, 0
	v_mov_b32_e32 v10, 0
	;; [unrolled: 1-line block ×4, first 2 shown]
.LBB63_43:                              ;   in Loop: Header=BB63_8 Depth=1
	s_or_b64 exec, exec, s[2:3]
	v_mul_f64 v[14:15], v[12:13], v[12:13]
	ds_read_b128 v[29:32], v2 offset:192
	ds_read_b128 v[33:36], v25 offset:32
	v_fma_f64 v[14:15], v[10:11], v[10:11], v[14:15]
	v_div_scale_f64 v[45:46], s[2:3], v[14:15], v[14:15], 1.0
	v_div_scale_f64 v[49:50], vcc, 1.0, v[14:15], 1.0
	v_rcp_f64_e32 v[37:38], v[45:46]
	v_fma_f64 v[39:40], -v[45:46], v[37:38], 1.0
	v_fma_f64 v[47:48], v[37:38], v[39:40], v[37:38]
	ds_read_b128 v[37:40], v22
	ds_read_b128 v[41:44], v22 offset:16
	s_waitcnt lgkmcnt(1)
	v_fma_f64 v[35:36], v[31:32], v[37:38], v[35:36]
	v_fma_f64 v[37:38], v[29:30], v[37:38], v[33:34]
	v_fma_f64 v[51:52], -v[45:46], v[47:48], 1.0
	v_fma_f64 v[29:30], v[29:30], -v[39:40], v[35:36]
	v_fma_f64 v[31:32], v[31:32], v[39:40], v[37:38]
	ds_read_b128 v[33:36], v2 offset:208
	v_fma_f64 v[47:48], v[47:48], v[51:52], v[47:48]
	s_waitcnt lgkmcnt(0)
	v_fma_f64 v[29:30], v[35:36], v[41:42], v[29:30]
	v_fma_f64 v[31:32], v[33:34], v[41:42], v[31:32]
	v_mul_f64 v[37:38], v[49:50], v[47:48]
	v_fma_f64 v[29:30], v[33:34], -v[43:44], v[29:30]
	v_fma_f64 v[31:32], v[35:36], v[43:44], v[31:32]
	v_fma_f64 v[33:34], -v[45:46], v[37:38], v[49:50]
	v_add_f64 v[5:6], v[5:6], -v[29:30]
	v_add_f64 v[3:4], v[3:4], -v[31:32]
	v_div_fmas_f64 v[29:30], v[33:34], v[47:48], v[37:38]
	v_mul_f64 v[31:32], v[12:13], v[5:6]
	v_mul_f64 v[12:13], v[12:13], -v[3:4]
	v_fma_f64 v[3:4], v[3:4], v[10:11], v[31:32]
	v_fma_f64 v[5:6], v[5:6], v[10:11], v[12:13]
	v_div_fixup_f64 v[14:15], v[29:30], v[14:15], 1.0
	v_mul_f64 v[3:4], v[14:15], v[3:4]
	v_mul_f64 v[5:6], v[14:15], v[5:6]
	ds_write_b128 v22, v[3:6] offset:32
	s_waitcnt lgkmcnt(0)
	ds_read_b128 v[10:13], v27 offset:32
	ds_read_b128 v[29:32], v18
	s_waitcnt lgkmcnt(0)
	v_fma_f64 v[14:15], v[3:4], v[10:11], v[29:30]
	v_fma_f64 v[29:30], v[5:6], v[10:11], v[31:32]
	;; [unrolled: 1-line block ×3, first 2 shown]
	v_fma_f64 v[12:13], v[3:4], -v[12:13], v[29:30]
	ds_write_b128 v18, v[10:13]
	s_waitcnt lgkmcnt(0)
	ds_read_b128 v[10:13], v2 offset:336
	ds_read_b128 v[3:6], v22 offset:48
	s_waitcnt lgkmcnt(1)
	v_cmp_neq_f64_e32 vcc, 0, v[10:11]
	v_cmp_neq_f64_e64 s[2:3], 0, v[12:13]
	s_or_b64 vcc, vcc, s[2:3]
	v_cndmask_b32_e32 v11, v28, v11, vcc
	s_nor_b64 s[24:25], vcc, s[0:1]
	v_cndmask_b32_e32 v10, 0, v10, vcc
	v_cndmask_b32_e32 v13, 0, v13, vcc
	;; [unrolled: 1-line block ×3, first 2 shown]
	s_and_saveexec_b64 s[2:3], s[24:25]
	s_cbranch_execz .LBB63_47
; %bb.44:                               ;   in Loop: Header=BB63_8 Depth=1
	v_mbcnt_lo_u32_b32 v10, exec_lo, 0
	v_mbcnt_hi_u32_b32 v10, exec_hi, v10
	v_cmp_eq_u32_e32 vcc, 0, v10
	s_and_saveexec_b64 s[24:25], vcc
	s_cbranch_execz .LBB63_46
; %bb.45:                               ;   in Loop: Header=BB63_8 Depth=1
	v_mov_b32_e32 v10, s23
	global_atomic_smin v2, v10, s[14:15]
.LBB63_46:                              ;   in Loop: Header=BB63_8 Depth=1
	s_or_b64 exec, exec, s[24:25]
	v_mov_b32_e32 v12, 0
	v_mov_b32_e32 v10, 0
	;; [unrolled: 1-line block ×4, first 2 shown]
.LBB63_47:                              ;   in Loop: Header=BB63_8 Depth=1
	s_or_b64 exec, exec, s[2:3]
	v_mul_f64 v[14:15], v[12:13], v[12:13]
	ds_read_b128 v[29:32], v22
	ds_read_b128 v[33:36], v25 offset:48
	ds_read_b128 v[37:40], v2 offset:288
	;; [unrolled: 1-line block ×4, first 2 shown]
	s_waitcnt lgkmcnt(2)
	v_fma_f64 v[35:36], v[39:40], v[29:30], v[35:36]
	v_fma_f64 v[29:30], v[37:38], v[29:30], v[33:34]
	;; [unrolled: 1-line block ×3, first 2 shown]
	v_fma_f64 v[33:34], v[37:38], -v[31:32], v[35:36]
	v_fma_f64 v[29:30], v[39:40], v[31:32], v[29:30]
	v_div_scale_f64 v[49:50], s[2:3], v[14:15], v[14:15], 1.0
	v_div_scale_f64 v[39:40], vcc, 1.0, v[14:15], 1.0
	s_waitcnt lgkmcnt(0)
	v_fma_f64 v[33:34], v[43:44], v[45:46], v[33:34]
	v_fma_f64 v[45:46], v[41:42], v[45:46], v[29:30]
	ds_read_b128 v[29:32], v22 offset:32
	v_fma_f64 v[41:42], v[41:42], -v[47:48], v[33:34]
	v_fma_f64 v[43:44], v[43:44], v[47:48], v[45:46]
	ds_read_b128 v[33:36], v2 offset:320
	v_rcp_f64_e32 v[51:52], v[49:50]
	s_waitcnt lgkmcnt(0)
	v_fma_f64 v[41:42], v[35:36], v[29:30], v[41:42]
	v_fma_f64 v[29:30], v[33:34], v[29:30], v[43:44]
	v_fma_f64 v[33:34], v[33:34], -v[31:32], v[41:42]
	v_fma_f64 v[29:30], v[35:36], v[31:32], v[29:30]
	v_fma_f64 v[53:54], -v[49:50], v[51:52], 1.0
	v_add_f64 v[5:6], v[5:6], -v[33:34]
	v_add_f64 v[3:4], v[3:4], -v[29:30]
	v_fma_f64 v[37:38], v[51:52], v[53:54], v[51:52]
	v_mul_f64 v[29:30], v[12:13], v[5:6]
	v_mul_f64 v[12:13], v[12:13], -v[3:4]
	v_fma_f64 v[51:52], -v[49:50], v[37:38], 1.0
	v_fma_f64 v[3:4], v[3:4], v[10:11], v[29:30]
	v_fma_f64 v[5:6], v[5:6], v[10:11], v[12:13]
	;; [unrolled: 1-line block ×3, first 2 shown]
	v_mul_f64 v[45:46], v[39:40], v[37:38]
	v_fma_f64 v[39:40], -v[49:50], v[45:46], v[39:40]
	v_div_fmas_f64 v[31:32], v[39:40], v[37:38], v[45:46]
	v_div_fixup_f64 v[14:15], v[31:32], v[14:15], 1.0
	v_mul_f64 v[3:4], v[14:15], v[3:4]
	v_mul_f64 v[5:6], v[14:15], v[5:6]
	ds_write_b128 v22, v[3:6] offset:48
	s_waitcnt lgkmcnt(0)
	ds_read_b128 v[10:13], v27 offset:48
	ds_read_b128 v[29:32], v18
	s_waitcnt lgkmcnt(0)
	v_fma_f64 v[14:15], v[3:4], v[10:11], v[29:30]
	v_fma_f64 v[29:30], v[5:6], v[10:11], v[31:32]
	;; [unrolled: 1-line block ×3, first 2 shown]
	v_fma_f64 v[12:13], v[3:4], -v[12:13], v[29:30]
	ds_write_b128 v18, v[10:13]
	s_waitcnt lgkmcnt(0)
	ds_read_b128 v[10:13], v2 offset:448
	ds_read_b128 v[3:6], v22 offset:64
	s_waitcnt lgkmcnt(1)
	v_cmp_neq_f64_e32 vcc, 0, v[10:11]
	v_cmp_neq_f64_e64 s[2:3], 0, v[12:13]
	s_or_b64 vcc, vcc, s[2:3]
	v_cndmask_b32_e32 v11, v28, v11, vcc
	s_nor_b64 s[24:25], vcc, s[0:1]
	v_cndmask_b32_e32 v10, 0, v10, vcc
	v_cndmask_b32_e32 v13, 0, v13, vcc
	;; [unrolled: 1-line block ×3, first 2 shown]
	s_and_saveexec_b64 s[2:3], s[24:25]
	s_cbranch_execz .LBB63_7
; %bb.48:                               ;   in Loop: Header=BB63_8 Depth=1
	v_mbcnt_lo_u32_b32 v10, exec_lo, 0
	v_mbcnt_hi_u32_b32 v10, exec_hi, v10
	v_cmp_eq_u32_e32 vcc, 0, v10
	s_and_saveexec_b64 s[24:25], vcc
	s_cbranch_execz .LBB63_6
; %bb.49:                               ;   in Loop: Header=BB63_8 Depth=1
	v_mov_b32_e32 v10, s23
	global_atomic_smin v2, v10, s[14:15]
	s_branch .LBB63_6
.LBB63_50:                              ;   in Loop: Header=BB63_8 Depth=1
                                        ; implicit-def: $sgpr22
	s_cbranch_execz .LBB63_8
.LBB63_51:
	s_cmp_lg_u32 s33, 0
	s_cselect_b64 s[8:9], -1, 0
	s_cmp_eq_u32 s33, 0
	v_mov_b32_e32 v2, v16
	s_cbranch_scc1 .LBB63_53
; %bb.52:
	v_mad_u32_u24 v2, v0, 5, v1
.LBB63_53:
	s_mul_i32 s18, s30, 25
	v_add_u32_e32 v2, s18, v2
	v_ashrrev_i32_e32 v3, 31, v2
	v_lshlrev_b64 v[2:3], 4, v[2:3]
	v_mov_b32_e32 v4, s21
	v_add_co_u32_e32 v2, vcc, s20, v2
	v_addc_co_u32_e32 v3, vcc, v4, v3, vcc
	global_load_dwordx4 v[2:5], v[2:3], off
	s_movk_i32 s0, 0x60
	v_mov_b32_e32 v6, 0x3c0
	v_mad_u32_u24 v9, v1, s0, v6
	v_cmp_ne_u32_e64 s[2:3], 0, v1
	v_lshl_add_u32 v8, v0, 4, v9
	v_cmp_eq_u32_e32 vcc, 0, v1
	s_waitcnt vmcnt(0)
	ds_write2_b64 v8, v[2:3], v[4:5] offset1:1
	s_waitcnt lgkmcnt(0)
	s_and_saveexec_b64 s[0:1], vcc
	s_cbranch_execz .LBB63_62
; %bb.54:
	v_mov_b32_e32 v6, 0
	ds_read_b128 v[2:5], v6 offset:1440
	ds_read_b128 v[10:13], v6 offset:960
	s_waitcnt lgkmcnt(0)
	v_add_f64 v[2:3], v[10:11], -v[2:3]
	v_add_f64 v[6:7], v[12:13], -v[4:5]
	v_cmp_gt_f64_e32 vcc, 0, v[2:3]
	v_xor_b32_e32 v4, 0x80000000, v3
	v_xor_b32_e32 v5, 0x80000000, v7
	v_cndmask_b32_e32 v3, v3, v4, vcc
	v_cmp_gt_f64_e32 vcc, 0, v[6:7]
	v_mov_b32_e32 v4, v6
	v_cndmask_b32_e32 v5, v7, v5, vcc
	v_cmp_ngt_f64_e32 vcc, v[2:3], v[4:5]
	s_cbranch_vccz .LBB63_59
; %bb.55:
	v_cmp_eq_f64_e32 vcc, 0, v[6:7]
	s_mov_b64 s[4:5], 0
	s_cbranch_vccnz .LBB63_129
; %bb.56:
	v_div_scale_f64 v[6:7], s[16:17], v[4:5], v[4:5], v[2:3]
	s_mov_b32 s16, 0
	s_brev_b32 s17, 8
	v_rcp_f64_e32 v[10:11], v[6:7]
	v_fma_f64 v[12:13], -v[6:7], v[10:11], 1.0
	v_fma_f64 v[10:11], v[10:11], v[12:13], v[10:11]
	v_div_scale_f64 v[12:13], vcc, v[2:3], v[4:5], v[2:3]
	v_fma_f64 v[14:15], -v[6:7], v[10:11], 1.0
	v_fma_f64 v[10:11], v[10:11], v[14:15], v[10:11]
	v_mul_f64 v[14:15], v[12:13], v[10:11]
	v_fma_f64 v[6:7], -v[6:7], v[14:15], v[12:13]
	v_div_fmas_f64 v[6:7], v[6:7], v[10:11], v[14:15]
	v_div_fixup_f64 v[6:7], v[6:7], v[4:5], v[2:3]
	v_fma_f64 v[6:7], v[6:7], v[6:7], 1.0
	v_cmp_gt_f64_e32 vcc, s[16:17], v[6:7]
	s_and_b64 s[16:17], vcc, exec
	s_cselect_b32 s16, 0x100, 0
	v_ldexp_f64 v[6:7], v[6:7], s16
	s_cselect_b32 s16, 0xffffff80, 0
	v_rsq_f64_e32 v[10:11], v[6:7]
	v_mul_f64 v[12:13], v[6:7], v[10:11]
	v_mul_f64 v[10:11], v[10:11], 0.5
	v_fma_f64 v[14:15], -v[10:11], v[12:13], 0.5
	v_fma_f64 v[12:13], v[12:13], v[14:15], v[12:13]
	v_fma_f64 v[10:11], v[10:11], v[14:15], v[10:11]
	v_fma_f64 v[14:15], -v[12:13], v[12:13], v[6:7]
	v_fma_f64 v[12:13], v[14:15], v[10:11], v[12:13]
	v_fma_f64 v[14:15], -v[12:13], v[12:13], v[6:7]
	v_fma_f64 v[10:11], v[14:15], v[10:11], v[12:13]
	v_mov_b32_e32 v12, 0x260
	v_cmp_class_f64_e32 vcc, v[6:7], v12
	v_ldexp_f64 v[10:11], v[10:11], s16
	v_cndmask_b32_e32 v7, v11, v7, vcc
	v_cndmask_b32_e32 v6, v10, v6, vcc
	v_mul_f64 v[6:7], v[4:5], v[6:7]
	s_andn2_b64 vcc, exec, s[4:5]
	s_cbranch_vccz .LBB63_60
	s_branch .LBB63_61
.LBB63_57:
	s_cbranch_execnz .LBB63_123
.LBB63_58:
	s_endpgm
.LBB63_59:
                                        ; implicit-def: $vgpr6_vgpr7
.LBB63_60:
	v_div_scale_f64 v[6:7], s[4:5], v[2:3], v[2:3], v[4:5]
	s_mov_b32 s4, 0
	s_brev_b32 s5, 8
	v_rcp_f64_e32 v[10:11], v[6:7]
	v_fma_f64 v[12:13], -v[6:7], v[10:11], 1.0
	v_fma_f64 v[10:11], v[10:11], v[12:13], v[10:11]
	v_div_scale_f64 v[12:13], vcc, v[4:5], v[2:3], v[4:5]
	v_fma_f64 v[14:15], -v[6:7], v[10:11], 1.0
	v_fma_f64 v[10:11], v[10:11], v[14:15], v[10:11]
	v_mul_f64 v[14:15], v[12:13], v[10:11]
	v_fma_f64 v[6:7], -v[6:7], v[14:15], v[12:13]
	v_div_fmas_f64 v[6:7], v[6:7], v[10:11], v[14:15]
	v_div_fixup_f64 v[4:5], v[6:7], v[2:3], v[4:5]
	v_fma_f64 v[4:5], v[4:5], v[4:5], 1.0
	v_cmp_gt_f64_e32 vcc, s[4:5], v[4:5]
	s_and_b64 s[4:5], vcc, exec
	s_cselect_b32 s4, 0x100, 0
	v_ldexp_f64 v[4:5], v[4:5], s4
	s_cselect_b32 s4, 0xffffff80, 0
	v_rsq_f64_e32 v[6:7], v[4:5]
	v_mul_f64 v[10:11], v[4:5], v[6:7]
	v_mul_f64 v[6:7], v[6:7], 0.5
	v_fma_f64 v[12:13], -v[6:7], v[10:11], 0.5
	v_fma_f64 v[10:11], v[10:11], v[12:13], v[10:11]
	v_fma_f64 v[6:7], v[6:7], v[12:13], v[6:7]
	v_fma_f64 v[12:13], -v[10:11], v[10:11], v[4:5]
	v_fma_f64 v[10:11], v[12:13], v[6:7], v[10:11]
	v_fma_f64 v[12:13], -v[10:11], v[10:11], v[4:5]
	v_fma_f64 v[6:7], v[12:13], v[6:7], v[10:11]
	v_mov_b32_e32 v10, 0x260
	v_cmp_class_f64_e32 vcc, v[4:5], v10
	v_ldexp_f64 v[6:7], v[6:7], s4
	v_cndmask_b32_e32 v5, v7, v5, vcc
	v_cndmask_b32_e32 v4, v6, v4, vcc
	v_mul_f64 v[6:7], v[2:3], v[4:5]
.LBB63_61:
	s_mov_b32 s4, 0
	s_brev_b32 s5, 8
	v_cmp_gt_f64_e32 vcc, s[4:5], v[6:7]
	s_and_b64 s[4:5], vcc, exec
	s_cselect_b32 s4, 0x100, 0
	v_ldexp_f64 v[2:3], v[6:7], s4
	s_cselect_b32 s4, 0xffffff80, 0
	v_rsq_f64_e32 v[4:5], v[2:3]
	v_mul_f64 v[6:7], v[2:3], v[4:5]
	v_mul_f64 v[4:5], v[4:5], 0.5
	v_fma_f64 v[10:11], -v[4:5], v[6:7], 0.5
	v_fma_f64 v[6:7], v[6:7], v[10:11], v[6:7]
	v_fma_f64 v[4:5], v[4:5], v[10:11], v[4:5]
	v_fma_f64 v[10:11], -v[6:7], v[6:7], v[2:3]
	v_fma_f64 v[6:7], v[10:11], v[4:5], v[6:7]
	v_fma_f64 v[10:11], -v[6:7], v[6:7], v[2:3]
	v_fma_f64 v[4:5], v[10:11], v[4:5], v[6:7]
	v_mov_b32_e32 v7, 0x260
	v_cmp_class_f64_e32 vcc, v[2:3], v7
	v_ldexp_f64 v[5:6], v[4:5], s4
	v_mov_b32_e32 v4, 0
	v_cndmask_b32_e32 v3, v6, v3, vcc
	v_cndmask_b32_e32 v2, v5, v2, vcc
	v_mov_b32_e32 v5, v4
	ds_write_b128 v4, v[2:5] offset:960
.LBB63_62:
	s_or_b64 exec, exec, s[0:1]
	v_mov_b32_e32 v2, 0
	s_waitcnt lgkmcnt(0)
	ds_read_b128 v[2:5], v2 offset:960
	v_or_b32_e32 v10, v0, v1
	v_mov_b32_e32 v6, 0x3ff00000
	v_cmp_ne_u32_e64 s[0:1], 0, v10
	s_add_i32 s19, s12, s13
	s_waitcnt lgkmcnt(0)
	v_cmp_neq_f64_e32 vcc, 0, v[2:3]
	v_cmp_neq_f64_e64 s[4:5], 0, v[4:5]
	s_or_b64 vcc, vcc, s[4:5]
	v_cndmask_b32_e32 v3, v6, v3, vcc
	s_nor_b64 s[16:17], vcc, s[0:1]
	v_cndmask_b32_e32 v2, 0, v2, vcc
	v_cndmask_b32_e32 v5, 0, v5, vcc
	;; [unrolled: 1-line block ×3, first 2 shown]
	s_and_saveexec_b64 s[4:5], s[16:17]
	s_cbranch_execz .LBB63_66
; %bb.63:
	v_mbcnt_lo_u32_b32 v2, exec_lo, 0
	v_mbcnt_hi_u32_b32 v2, exec_hi, v2
	v_cmp_eq_u32_e32 vcc, 0, v2
	s_and_saveexec_b64 s[16:17], vcc
	s_cbranch_execz .LBB63_65
; %bb.64:
	v_mov_b32_e32 v2, 0
	v_mov_b32_e32 v3, s19
	global_atomic_smin v2, v3, s[14:15]
.LBB63_65:
	s_or_b64 exec, exec, s[16:17]
	v_mov_b32_e32 v4, 0
	v_mov_b32_e32 v2, 0
	;; [unrolled: 1-line block ×4, first 2 shown]
.LBB63_66:
	s_or_b64 exec, exec, s[4:5]
	s_movk_i32 s4, 0x60
	v_mov_b32_e32 v6, 0x3c0
	v_mad_u32_u24 v11, v0, s4, v6
	s_and_saveexec_b64 s[4:5], s[2:3]
	s_cbranch_execz .LBB63_68
; %bb.67:
	v_mul_f64 v[6:7], v[4:5], v[4:5]
	v_fma_f64 v[6:7], v[2:3], v[2:3], v[6:7]
	v_div_scale_f64 v[12:13], s[2:3], v[6:7], v[6:7], 1.0
	v_rcp_f64_e32 v[14:15], v[12:13]
	v_fma_f64 v[20:21], -v[12:13], v[14:15], 1.0
	v_fma_f64 v[14:15], v[14:15], v[20:21], v[14:15]
	v_div_scale_f64 v[20:21], vcc, 1.0, v[6:7], 1.0
	v_fma_f64 v[22:23], -v[12:13], v[14:15], 1.0
	v_fma_f64 v[24:25], v[14:15], v[22:23], v[14:15]
	v_mul_f64 v[26:27], v[20:21], v[24:25]
	v_fma_f64 v[28:29], -v[12:13], v[26:27], v[20:21]
	ds_read_b128 v[12:15], v9
	ds_read_b128 v[20:23], v19
	s_waitcnt lgkmcnt(0)
	v_add_f64 v[14:15], v[14:15], -v[22:23]
	v_add_f64 v[12:13], v[12:13], -v[20:21]
	v_div_fmas_f64 v[22:23], v[28:29], v[24:25], v[26:27]
	v_mul_f64 v[20:21], v[4:5], v[14:15]
	v_mul_f64 v[4:5], v[4:5], -v[12:13]
	v_fma_f64 v[12:13], v[12:13], v[2:3], v[20:21]
	v_fma_f64 v[4:5], v[14:15], v[2:3], v[4:5]
	v_div_fixup_f64 v[6:7], v[22:23], v[6:7], 1.0
	v_mul_f64 v[2:3], v[6:7], v[12:13]
	v_mul_f64 v[4:5], v[6:7], v[4:5]
	ds_write_b128 v9, v[2:5]
	s_waitcnt lgkmcnt(0)
	ds_read_b128 v[12:15], v11
	ds_read_b128 v[20:23], v18
	s_waitcnt lgkmcnt(0)
	v_fma_f64 v[6:7], v[2:3], v[12:13], v[20:21]
	v_fma_f64 v[12:13], v[4:5], v[12:13], v[22:23]
	;; [unrolled: 1-line block ×3, first 2 shown]
	v_fma_f64 v[6:7], v[2:3], -v[14:15], v[12:13]
	ds_write_b128 v18, v[4:7]
.LBB63_68:
	s_or_b64 exec, exec, s[4:5]
	v_cmp_eq_u32_e32 vcc, 1, v1
	s_waitcnt lgkmcnt(0)
	s_and_saveexec_b64 s[2:3], vcc
	s_cbranch_execz .LBB63_75
; %bb.69:
	v_mov_b32_e32 v6, 0
	ds_read_b128 v[2:5], v6 offset:1552
	ds_read_b128 v[12:15], v6 offset:1072
	s_waitcnt lgkmcnt(0)
	v_add_f64 v[2:3], v[12:13], -v[2:3]
	v_add_f64 v[6:7], v[14:15], -v[4:5]
	v_cmp_gt_f64_e32 vcc, 0, v[2:3]
	v_xor_b32_e32 v4, 0x80000000, v3
	v_xor_b32_e32 v5, 0x80000000, v7
	v_cndmask_b32_e32 v3, v3, v4, vcc
	v_cmp_gt_f64_e32 vcc, 0, v[6:7]
	v_mov_b32_e32 v4, v6
	v_cndmask_b32_e32 v5, v7, v5, vcc
	v_cmp_gt_f64_e32 vcc, v[2:3], v[4:5]
	s_cbranch_vccnz .LBB63_72
; %bb.70:
	v_cmp_eq_f64_e32 vcc, 0, v[6:7]
	s_mov_b64 s[4:5], 0
	s_cbranch_vccnz .LBB63_130
; %bb.71:
	v_div_scale_f64 v[6:7], s[16:17], v[4:5], v[4:5], v[2:3]
	s_mov_b32 s16, 0
	s_brev_b32 s17, 8
	v_rcp_f64_e32 v[12:13], v[6:7]
	v_fma_f64 v[14:15], -v[6:7], v[12:13], 1.0
	v_fma_f64 v[12:13], v[12:13], v[14:15], v[12:13]
	v_div_scale_f64 v[14:15], vcc, v[2:3], v[4:5], v[2:3]
	v_fma_f64 v[20:21], -v[6:7], v[12:13], 1.0
	v_fma_f64 v[12:13], v[12:13], v[20:21], v[12:13]
	v_mul_f64 v[20:21], v[14:15], v[12:13]
	v_fma_f64 v[6:7], -v[6:7], v[20:21], v[14:15]
	v_div_fmas_f64 v[6:7], v[6:7], v[12:13], v[20:21]
	v_div_fixup_f64 v[6:7], v[6:7], v[4:5], v[2:3]
	v_fma_f64 v[6:7], v[6:7], v[6:7], 1.0
	v_cmp_gt_f64_e32 vcc, s[16:17], v[6:7]
	s_and_b64 s[16:17], vcc, exec
	s_cselect_b32 s16, 0x100, 0
	v_ldexp_f64 v[6:7], v[6:7], s16
	s_cselect_b32 s16, 0xffffff80, 0
	v_rsq_f64_e32 v[12:13], v[6:7]
	v_mul_f64 v[14:15], v[6:7], v[12:13]
	v_mul_f64 v[12:13], v[12:13], 0.5
	v_fma_f64 v[20:21], -v[12:13], v[14:15], 0.5
	v_fma_f64 v[14:15], v[14:15], v[20:21], v[14:15]
	v_fma_f64 v[12:13], v[12:13], v[20:21], v[12:13]
	v_fma_f64 v[20:21], -v[14:15], v[14:15], v[6:7]
	v_fma_f64 v[14:15], v[20:21], v[12:13], v[14:15]
	v_fma_f64 v[20:21], -v[14:15], v[14:15], v[6:7]
	v_fma_f64 v[12:13], v[20:21], v[12:13], v[14:15]
	v_mov_b32_e32 v14, 0x260
	v_cmp_class_f64_e32 vcc, v[6:7], v14
	v_ldexp_f64 v[12:13], v[12:13], s16
	v_cndmask_b32_e32 v7, v13, v7, vcc
	v_cndmask_b32_e32 v6, v12, v6, vcc
	v_mul_f64 v[6:7], v[4:5], v[6:7]
	s_andn2_b64 vcc, exec, s[4:5]
	s_cbranch_vccz .LBB63_73
	s_branch .LBB63_74
.LBB63_72:
                                        ; implicit-def: $vgpr6_vgpr7
.LBB63_73:
	v_div_scale_f64 v[6:7], s[4:5], v[2:3], v[2:3], v[4:5]
	s_mov_b32 s4, 0
	s_brev_b32 s5, 8
	v_rcp_f64_e32 v[12:13], v[6:7]
	v_fma_f64 v[14:15], -v[6:7], v[12:13], 1.0
	v_fma_f64 v[12:13], v[12:13], v[14:15], v[12:13]
	v_div_scale_f64 v[14:15], vcc, v[4:5], v[2:3], v[4:5]
	v_fma_f64 v[20:21], -v[6:7], v[12:13], 1.0
	v_fma_f64 v[12:13], v[12:13], v[20:21], v[12:13]
	v_mul_f64 v[20:21], v[14:15], v[12:13]
	v_fma_f64 v[6:7], -v[6:7], v[20:21], v[14:15]
	v_div_fmas_f64 v[6:7], v[6:7], v[12:13], v[20:21]
	v_div_fixup_f64 v[4:5], v[6:7], v[2:3], v[4:5]
	v_fma_f64 v[4:5], v[4:5], v[4:5], 1.0
	v_cmp_gt_f64_e32 vcc, s[4:5], v[4:5]
	s_and_b64 s[4:5], vcc, exec
	s_cselect_b32 s4, 0x100, 0
	v_ldexp_f64 v[4:5], v[4:5], s4
	s_cselect_b32 s4, 0xffffff80, 0
	v_rsq_f64_e32 v[6:7], v[4:5]
	v_mul_f64 v[12:13], v[4:5], v[6:7]
	v_mul_f64 v[6:7], v[6:7], 0.5
	v_fma_f64 v[14:15], -v[6:7], v[12:13], 0.5
	v_fma_f64 v[12:13], v[12:13], v[14:15], v[12:13]
	v_fma_f64 v[6:7], v[6:7], v[14:15], v[6:7]
	v_fma_f64 v[14:15], -v[12:13], v[12:13], v[4:5]
	v_fma_f64 v[12:13], v[14:15], v[6:7], v[12:13]
	v_fma_f64 v[14:15], -v[12:13], v[12:13], v[4:5]
	v_fma_f64 v[6:7], v[14:15], v[6:7], v[12:13]
	v_mov_b32_e32 v12, 0x260
	v_cmp_class_f64_e32 vcc, v[4:5], v12
	v_ldexp_f64 v[6:7], v[6:7], s4
	v_cndmask_b32_e32 v5, v7, v5, vcc
	v_cndmask_b32_e32 v4, v6, v4, vcc
	v_mul_f64 v[6:7], v[2:3], v[4:5]
.LBB63_74:
	s_mov_b32 s4, 0
	s_brev_b32 s5, 8
	v_cmp_gt_f64_e32 vcc, s[4:5], v[6:7]
	s_and_b64 s[4:5], vcc, exec
	s_cselect_b32 s4, 0x100, 0
	v_ldexp_f64 v[2:3], v[6:7], s4
	s_cselect_b32 s4, 0xffffff80, 0
	v_rsq_f64_e32 v[4:5], v[2:3]
	v_mul_f64 v[6:7], v[2:3], v[4:5]
	v_mul_f64 v[4:5], v[4:5], 0.5
	v_fma_f64 v[12:13], -v[4:5], v[6:7], 0.5
	v_fma_f64 v[6:7], v[6:7], v[12:13], v[6:7]
	v_fma_f64 v[4:5], v[4:5], v[12:13], v[4:5]
	v_fma_f64 v[12:13], -v[6:7], v[6:7], v[2:3]
	v_fma_f64 v[6:7], v[12:13], v[4:5], v[6:7]
	v_fma_f64 v[12:13], -v[6:7], v[6:7], v[2:3]
	v_fma_f64 v[4:5], v[12:13], v[4:5], v[6:7]
	v_mov_b32_e32 v7, 0x260
	v_cmp_class_f64_e32 vcc, v[2:3], v7
	v_ldexp_f64 v[5:6], v[4:5], s4
	v_mov_b32_e32 v4, 0
	v_cndmask_b32_e32 v3, v6, v3, vcc
	v_cndmask_b32_e32 v2, v5, v2, vcc
	v_mov_b32_e32 v5, v4
	ds_write_b128 v4, v[2:5] offset:1072
.LBB63_75:
	s_or_b64 exec, exec, s[2:3]
	v_mov_b32_e32 v2, 0
	s_waitcnt lgkmcnt(0)
	ds_read_b128 v[2:5], v2 offset:1072
	v_mov_b32_e32 v6, 0x3ff00000
	s_waitcnt lgkmcnt(0)
	v_cmp_neq_f64_e32 vcc, 0, v[2:3]
	v_cmp_neq_f64_e64 s[2:3], 0, v[4:5]
	s_or_b64 vcc, vcc, s[2:3]
	v_cndmask_b32_e32 v3, v6, v3, vcc
	s_nor_b64 s[4:5], vcc, s[0:1]
	v_cndmask_b32_e32 v2, 0, v2, vcc
	v_cndmask_b32_e32 v5, 0, v5, vcc
	;; [unrolled: 1-line block ×3, first 2 shown]
	s_and_saveexec_b64 s[2:3], s[4:5]
	s_cbranch_execz .LBB63_79
; %bb.76:
	v_mbcnt_lo_u32_b32 v2, exec_lo, 0
	v_mbcnt_hi_u32_b32 v2, exec_hi, v2
	v_cmp_eq_u32_e32 vcc, 0, v2
	s_and_saveexec_b64 s[4:5], vcc
	s_cbranch_execz .LBB63_78
; %bb.77:
	v_mov_b32_e32 v2, 0
	v_mov_b32_e32 v3, s19
	global_atomic_smin v2, v3, s[14:15]
.LBB63_78:
	s_or_b64 exec, exec, s[4:5]
	v_mov_b32_e32 v4, 0
	v_mov_b32_e32 v2, 0
	;; [unrolled: 1-line block ×4, first 2 shown]
.LBB63_79:
	s_or_b64 exec, exec, s[2:3]
	v_cmp_lt_u32_e32 vcc, 1, v1
	s_and_saveexec_b64 s[2:3], vcc
	s_cbranch_execz .LBB63_81
; %bb.80:
	v_mul_f64 v[6:7], v[4:5], v[4:5]
	v_fma_f64 v[6:7], v[2:3], v[2:3], v[6:7]
	v_div_scale_f64 v[12:13], s[4:5], v[6:7], v[6:7], 1.0
	v_rcp_f64_e32 v[14:15], v[12:13]
	v_fma_f64 v[20:21], -v[12:13], v[14:15], 1.0
	v_fma_f64 v[14:15], v[14:15], v[20:21], v[14:15]
	v_div_scale_f64 v[20:21], vcc, 1.0, v[6:7], 1.0
	v_fma_f64 v[22:23], -v[12:13], v[14:15], 1.0
	v_fma_f64 v[24:25], v[14:15], v[22:23], v[14:15]
	v_mul_f64 v[26:27], v[20:21], v[24:25]
	v_fma_f64 v[28:29], -v[12:13], v[26:27], v[20:21]
	ds_read_b128 v[12:15], v9 offset:16
	ds_read_b128 v[20:23], v19 offset:16
	s_waitcnt lgkmcnt(0)
	v_add_f64 v[14:15], v[14:15], -v[22:23]
	v_add_f64 v[12:13], v[12:13], -v[20:21]
	v_div_fmas_f64 v[22:23], v[28:29], v[24:25], v[26:27]
	v_mul_f64 v[20:21], v[4:5], v[14:15]
	v_mul_f64 v[4:5], v[4:5], -v[12:13]
	v_fma_f64 v[12:13], v[12:13], v[2:3], v[20:21]
	v_fma_f64 v[4:5], v[14:15], v[2:3], v[4:5]
	v_div_fixup_f64 v[6:7], v[22:23], v[6:7], 1.0
	v_mul_f64 v[2:3], v[6:7], v[12:13]
	v_mul_f64 v[4:5], v[6:7], v[4:5]
	ds_write_b128 v9, v[2:5] offset:16
	s_waitcnt lgkmcnt(0)
	ds_read_b128 v[12:15], v11 offset:16
	ds_read_b128 v[20:23], v18
	s_waitcnt lgkmcnt(0)
	v_fma_f64 v[6:7], v[2:3], v[12:13], v[20:21]
	v_fma_f64 v[12:13], v[4:5], v[12:13], v[22:23]
	;; [unrolled: 1-line block ×3, first 2 shown]
	v_fma_f64 v[6:7], v[2:3], -v[14:15], v[12:13]
	ds_write_b128 v18, v[4:7]
.LBB63_81:
	s_or_b64 exec, exec, s[2:3]
	v_cmp_eq_u32_e32 vcc, 2, v1
	s_waitcnt lgkmcnt(0)
	s_and_saveexec_b64 s[2:3], vcc
	s_cbranch_execz .LBB63_88
; %bb.82:
	v_mov_b32_e32 v6, 0
	ds_read_b128 v[2:5], v6 offset:1664
	ds_read_b128 v[12:15], v6 offset:1184
	s_waitcnt lgkmcnt(0)
	v_add_f64 v[2:3], v[12:13], -v[2:3]
	v_add_f64 v[6:7], v[14:15], -v[4:5]
	v_cmp_gt_f64_e32 vcc, 0, v[2:3]
	v_xor_b32_e32 v4, 0x80000000, v3
	v_xor_b32_e32 v5, 0x80000000, v7
	v_cndmask_b32_e32 v3, v3, v4, vcc
	v_cmp_gt_f64_e32 vcc, 0, v[6:7]
	v_mov_b32_e32 v4, v6
	v_cndmask_b32_e32 v5, v7, v5, vcc
	v_cmp_gt_f64_e32 vcc, v[2:3], v[4:5]
	s_cbranch_vccnz .LBB63_85
; %bb.83:
	v_cmp_eq_f64_e32 vcc, 0, v[6:7]
	s_mov_b64 s[4:5], 0
	s_cbranch_vccnz .LBB63_131
; %bb.84:
	v_div_scale_f64 v[6:7], s[16:17], v[4:5], v[4:5], v[2:3]
	s_mov_b32 s16, 0
	s_brev_b32 s17, 8
	v_rcp_f64_e32 v[12:13], v[6:7]
	v_fma_f64 v[14:15], -v[6:7], v[12:13], 1.0
	v_fma_f64 v[12:13], v[12:13], v[14:15], v[12:13]
	v_div_scale_f64 v[14:15], vcc, v[2:3], v[4:5], v[2:3]
	v_fma_f64 v[20:21], -v[6:7], v[12:13], 1.0
	v_fma_f64 v[12:13], v[12:13], v[20:21], v[12:13]
	v_mul_f64 v[20:21], v[14:15], v[12:13]
	v_fma_f64 v[6:7], -v[6:7], v[20:21], v[14:15]
	v_div_fmas_f64 v[6:7], v[6:7], v[12:13], v[20:21]
	v_div_fixup_f64 v[6:7], v[6:7], v[4:5], v[2:3]
	v_fma_f64 v[6:7], v[6:7], v[6:7], 1.0
	v_cmp_gt_f64_e32 vcc, s[16:17], v[6:7]
	s_and_b64 s[16:17], vcc, exec
	s_cselect_b32 s16, 0x100, 0
	v_ldexp_f64 v[6:7], v[6:7], s16
	s_cselect_b32 s16, 0xffffff80, 0
	v_rsq_f64_e32 v[12:13], v[6:7]
	v_mul_f64 v[14:15], v[6:7], v[12:13]
	v_mul_f64 v[12:13], v[12:13], 0.5
	v_fma_f64 v[20:21], -v[12:13], v[14:15], 0.5
	v_fma_f64 v[14:15], v[14:15], v[20:21], v[14:15]
	v_fma_f64 v[12:13], v[12:13], v[20:21], v[12:13]
	v_fma_f64 v[20:21], -v[14:15], v[14:15], v[6:7]
	v_fma_f64 v[14:15], v[20:21], v[12:13], v[14:15]
	v_fma_f64 v[20:21], -v[14:15], v[14:15], v[6:7]
	v_fma_f64 v[12:13], v[20:21], v[12:13], v[14:15]
	v_mov_b32_e32 v14, 0x260
	v_cmp_class_f64_e32 vcc, v[6:7], v14
	v_ldexp_f64 v[12:13], v[12:13], s16
	v_cndmask_b32_e32 v7, v13, v7, vcc
	v_cndmask_b32_e32 v6, v12, v6, vcc
	v_mul_f64 v[6:7], v[4:5], v[6:7]
	s_andn2_b64 vcc, exec, s[4:5]
	s_cbranch_vccz .LBB63_86
	s_branch .LBB63_87
.LBB63_85:
                                        ; implicit-def: $vgpr6_vgpr7
.LBB63_86:
	v_div_scale_f64 v[6:7], s[4:5], v[2:3], v[2:3], v[4:5]
	s_mov_b32 s4, 0
	s_brev_b32 s5, 8
	v_rcp_f64_e32 v[12:13], v[6:7]
	v_fma_f64 v[14:15], -v[6:7], v[12:13], 1.0
	v_fma_f64 v[12:13], v[12:13], v[14:15], v[12:13]
	v_div_scale_f64 v[14:15], vcc, v[4:5], v[2:3], v[4:5]
	v_fma_f64 v[20:21], -v[6:7], v[12:13], 1.0
	v_fma_f64 v[12:13], v[12:13], v[20:21], v[12:13]
	v_mul_f64 v[20:21], v[14:15], v[12:13]
	v_fma_f64 v[6:7], -v[6:7], v[20:21], v[14:15]
	v_div_fmas_f64 v[6:7], v[6:7], v[12:13], v[20:21]
	v_div_fixup_f64 v[4:5], v[6:7], v[2:3], v[4:5]
	v_fma_f64 v[4:5], v[4:5], v[4:5], 1.0
	v_cmp_gt_f64_e32 vcc, s[4:5], v[4:5]
	s_and_b64 s[4:5], vcc, exec
	s_cselect_b32 s4, 0x100, 0
	v_ldexp_f64 v[4:5], v[4:5], s4
	s_cselect_b32 s4, 0xffffff80, 0
	v_rsq_f64_e32 v[6:7], v[4:5]
	v_mul_f64 v[12:13], v[4:5], v[6:7]
	v_mul_f64 v[6:7], v[6:7], 0.5
	v_fma_f64 v[14:15], -v[6:7], v[12:13], 0.5
	v_fma_f64 v[12:13], v[12:13], v[14:15], v[12:13]
	v_fma_f64 v[6:7], v[6:7], v[14:15], v[6:7]
	v_fma_f64 v[14:15], -v[12:13], v[12:13], v[4:5]
	v_fma_f64 v[12:13], v[14:15], v[6:7], v[12:13]
	v_fma_f64 v[14:15], -v[12:13], v[12:13], v[4:5]
	v_fma_f64 v[6:7], v[14:15], v[6:7], v[12:13]
	v_mov_b32_e32 v12, 0x260
	v_cmp_class_f64_e32 vcc, v[4:5], v12
	v_ldexp_f64 v[6:7], v[6:7], s4
	v_cndmask_b32_e32 v5, v7, v5, vcc
	v_cndmask_b32_e32 v4, v6, v4, vcc
	v_mul_f64 v[6:7], v[2:3], v[4:5]
.LBB63_87:
	s_mov_b32 s4, 0
	s_brev_b32 s5, 8
	v_cmp_gt_f64_e32 vcc, s[4:5], v[6:7]
	s_and_b64 s[4:5], vcc, exec
	s_cselect_b32 s4, 0x100, 0
	v_ldexp_f64 v[2:3], v[6:7], s4
	s_cselect_b32 s4, 0xffffff80, 0
	v_rsq_f64_e32 v[4:5], v[2:3]
	v_mul_f64 v[6:7], v[2:3], v[4:5]
	v_mul_f64 v[4:5], v[4:5], 0.5
	v_fma_f64 v[12:13], -v[4:5], v[6:7], 0.5
	v_fma_f64 v[6:7], v[6:7], v[12:13], v[6:7]
	v_fma_f64 v[4:5], v[4:5], v[12:13], v[4:5]
	v_fma_f64 v[12:13], -v[6:7], v[6:7], v[2:3]
	v_fma_f64 v[6:7], v[12:13], v[4:5], v[6:7]
	v_fma_f64 v[12:13], -v[6:7], v[6:7], v[2:3]
	v_fma_f64 v[4:5], v[12:13], v[4:5], v[6:7]
	v_mov_b32_e32 v7, 0x260
	v_cmp_class_f64_e32 vcc, v[2:3], v7
	v_ldexp_f64 v[5:6], v[4:5], s4
	v_mov_b32_e32 v4, 0
	v_cndmask_b32_e32 v3, v6, v3, vcc
	v_cndmask_b32_e32 v2, v5, v2, vcc
	v_mov_b32_e32 v5, v4
	ds_write_b128 v4, v[2:5] offset:1184
.LBB63_88:
	s_or_b64 exec, exec, s[2:3]
	v_mov_b32_e32 v2, 0
	s_waitcnt lgkmcnt(0)
	ds_read_b128 v[2:5], v2 offset:1184
	v_mov_b32_e32 v6, 0x3ff00000
	s_waitcnt lgkmcnt(0)
	v_cmp_neq_f64_e32 vcc, 0, v[2:3]
	v_cmp_neq_f64_e64 s[2:3], 0, v[4:5]
	s_or_b64 vcc, vcc, s[2:3]
	v_cndmask_b32_e32 v3, v6, v3, vcc
	s_nor_b64 s[4:5], vcc, s[0:1]
	v_cndmask_b32_e32 v2, 0, v2, vcc
	v_cndmask_b32_e32 v5, 0, v5, vcc
	v_cndmask_b32_e32 v4, 0, v4, vcc
	s_and_saveexec_b64 s[2:3], s[4:5]
	s_cbranch_execz .LBB63_92
; %bb.89:
	v_mbcnt_lo_u32_b32 v2, exec_lo, 0
	v_mbcnt_hi_u32_b32 v2, exec_hi, v2
	v_cmp_eq_u32_e32 vcc, 0, v2
	s_and_saveexec_b64 s[4:5], vcc
	s_cbranch_execz .LBB63_91
; %bb.90:
	v_mov_b32_e32 v2, 0
	v_mov_b32_e32 v3, s19
	global_atomic_smin v2, v3, s[14:15]
.LBB63_91:
	s_or_b64 exec, exec, s[4:5]
	v_mov_b32_e32 v4, 0
	v_mov_b32_e32 v2, 0
	;; [unrolled: 1-line block ×4, first 2 shown]
.LBB63_92:
	s_or_b64 exec, exec, s[2:3]
	v_cmp_lt_u32_e32 vcc, 2, v1
	s_and_saveexec_b64 s[2:3], vcc
	s_cbranch_execz .LBB63_94
; %bb.93:
	v_mul_f64 v[6:7], v[4:5], v[4:5]
	v_fma_f64 v[6:7], v[2:3], v[2:3], v[6:7]
	v_div_scale_f64 v[12:13], s[4:5], v[6:7], v[6:7], 1.0
	v_rcp_f64_e32 v[14:15], v[12:13]
	v_fma_f64 v[20:21], -v[12:13], v[14:15], 1.0
	v_fma_f64 v[14:15], v[14:15], v[20:21], v[14:15]
	v_div_scale_f64 v[20:21], vcc, 1.0, v[6:7], 1.0
	v_fma_f64 v[22:23], -v[12:13], v[14:15], 1.0
	v_fma_f64 v[24:25], v[14:15], v[22:23], v[14:15]
	v_mul_f64 v[26:27], v[20:21], v[24:25]
	v_fma_f64 v[28:29], -v[12:13], v[26:27], v[20:21]
	ds_read_b128 v[12:15], v9 offset:32
	ds_read_b128 v[20:23], v19 offset:32
	s_waitcnt lgkmcnt(0)
	v_add_f64 v[14:15], v[14:15], -v[22:23]
	v_add_f64 v[12:13], v[12:13], -v[20:21]
	v_div_fmas_f64 v[22:23], v[28:29], v[24:25], v[26:27]
	v_mul_f64 v[20:21], v[4:5], v[14:15]
	v_mul_f64 v[4:5], v[4:5], -v[12:13]
	v_fma_f64 v[12:13], v[12:13], v[2:3], v[20:21]
	v_fma_f64 v[4:5], v[14:15], v[2:3], v[4:5]
	v_div_fixup_f64 v[6:7], v[22:23], v[6:7], 1.0
	v_mul_f64 v[2:3], v[6:7], v[12:13]
	v_mul_f64 v[4:5], v[6:7], v[4:5]
	ds_write_b128 v9, v[2:5] offset:32
	s_waitcnt lgkmcnt(0)
	ds_read_b128 v[12:15], v11 offset:32
	ds_read_b128 v[20:23], v18
	s_waitcnt lgkmcnt(0)
	v_fma_f64 v[6:7], v[2:3], v[12:13], v[20:21]
	v_fma_f64 v[12:13], v[4:5], v[12:13], v[22:23]
	;; [unrolled: 1-line block ×3, first 2 shown]
	v_fma_f64 v[6:7], v[2:3], -v[14:15], v[12:13]
	ds_write_b128 v18, v[4:7]
.LBB63_94:
	s_or_b64 exec, exec, s[2:3]
	v_cmp_eq_u32_e32 vcc, 3, v1
	s_waitcnt lgkmcnt(0)
	s_and_saveexec_b64 s[2:3], vcc
	s_cbranch_execz .LBB63_101
; %bb.95:
	v_mov_b32_e32 v6, 0
	ds_read_b128 v[2:5], v6 offset:1776
	ds_read_b128 v[12:15], v6 offset:1296
	s_waitcnt lgkmcnt(0)
	v_add_f64 v[2:3], v[12:13], -v[2:3]
	v_add_f64 v[6:7], v[14:15], -v[4:5]
	v_cmp_gt_f64_e32 vcc, 0, v[2:3]
	v_xor_b32_e32 v4, 0x80000000, v3
	v_xor_b32_e32 v5, 0x80000000, v7
	v_cndmask_b32_e32 v3, v3, v4, vcc
	v_cmp_gt_f64_e32 vcc, 0, v[6:7]
	v_mov_b32_e32 v4, v6
	v_cndmask_b32_e32 v5, v7, v5, vcc
	v_cmp_gt_f64_e32 vcc, v[2:3], v[4:5]
	s_cbranch_vccnz .LBB63_98
; %bb.96:
	v_cmp_eq_f64_e32 vcc, 0, v[6:7]
	s_mov_b64 s[4:5], 0
	s_cbranch_vccnz .LBB63_132
; %bb.97:
	v_div_scale_f64 v[6:7], s[16:17], v[4:5], v[4:5], v[2:3]
	s_mov_b32 s16, 0
	s_brev_b32 s17, 8
	v_rcp_f64_e32 v[12:13], v[6:7]
	v_fma_f64 v[14:15], -v[6:7], v[12:13], 1.0
	v_fma_f64 v[12:13], v[12:13], v[14:15], v[12:13]
	v_div_scale_f64 v[14:15], vcc, v[2:3], v[4:5], v[2:3]
	v_fma_f64 v[20:21], -v[6:7], v[12:13], 1.0
	v_fma_f64 v[12:13], v[12:13], v[20:21], v[12:13]
	v_mul_f64 v[20:21], v[14:15], v[12:13]
	v_fma_f64 v[6:7], -v[6:7], v[20:21], v[14:15]
	v_div_fmas_f64 v[6:7], v[6:7], v[12:13], v[20:21]
	v_div_fixup_f64 v[6:7], v[6:7], v[4:5], v[2:3]
	v_fma_f64 v[6:7], v[6:7], v[6:7], 1.0
	v_cmp_gt_f64_e32 vcc, s[16:17], v[6:7]
	s_and_b64 s[16:17], vcc, exec
	s_cselect_b32 s16, 0x100, 0
	v_ldexp_f64 v[6:7], v[6:7], s16
	s_cselect_b32 s16, 0xffffff80, 0
	v_rsq_f64_e32 v[12:13], v[6:7]
	v_mul_f64 v[14:15], v[6:7], v[12:13]
	v_mul_f64 v[12:13], v[12:13], 0.5
	v_fma_f64 v[20:21], -v[12:13], v[14:15], 0.5
	v_fma_f64 v[14:15], v[14:15], v[20:21], v[14:15]
	v_fma_f64 v[12:13], v[12:13], v[20:21], v[12:13]
	v_fma_f64 v[20:21], -v[14:15], v[14:15], v[6:7]
	v_fma_f64 v[14:15], v[20:21], v[12:13], v[14:15]
	v_fma_f64 v[20:21], -v[14:15], v[14:15], v[6:7]
	v_fma_f64 v[12:13], v[20:21], v[12:13], v[14:15]
	v_mov_b32_e32 v14, 0x260
	v_cmp_class_f64_e32 vcc, v[6:7], v14
	v_ldexp_f64 v[12:13], v[12:13], s16
	v_cndmask_b32_e32 v7, v13, v7, vcc
	v_cndmask_b32_e32 v6, v12, v6, vcc
	v_mul_f64 v[6:7], v[4:5], v[6:7]
	s_andn2_b64 vcc, exec, s[4:5]
	s_cbranch_vccz .LBB63_99
	s_branch .LBB63_100
.LBB63_98:
                                        ; implicit-def: $vgpr6_vgpr7
.LBB63_99:
	v_div_scale_f64 v[6:7], s[4:5], v[2:3], v[2:3], v[4:5]
	s_mov_b32 s4, 0
	s_brev_b32 s5, 8
	v_rcp_f64_e32 v[12:13], v[6:7]
	v_fma_f64 v[14:15], -v[6:7], v[12:13], 1.0
	v_fma_f64 v[12:13], v[12:13], v[14:15], v[12:13]
	v_div_scale_f64 v[14:15], vcc, v[4:5], v[2:3], v[4:5]
	v_fma_f64 v[20:21], -v[6:7], v[12:13], 1.0
	v_fma_f64 v[12:13], v[12:13], v[20:21], v[12:13]
	v_mul_f64 v[20:21], v[14:15], v[12:13]
	v_fma_f64 v[6:7], -v[6:7], v[20:21], v[14:15]
	v_div_fmas_f64 v[6:7], v[6:7], v[12:13], v[20:21]
	v_div_fixup_f64 v[4:5], v[6:7], v[2:3], v[4:5]
	v_fma_f64 v[4:5], v[4:5], v[4:5], 1.0
	v_cmp_gt_f64_e32 vcc, s[4:5], v[4:5]
	s_and_b64 s[4:5], vcc, exec
	s_cselect_b32 s4, 0x100, 0
	v_ldexp_f64 v[4:5], v[4:5], s4
	s_cselect_b32 s4, 0xffffff80, 0
	v_rsq_f64_e32 v[6:7], v[4:5]
	v_mul_f64 v[12:13], v[4:5], v[6:7]
	v_mul_f64 v[6:7], v[6:7], 0.5
	v_fma_f64 v[14:15], -v[6:7], v[12:13], 0.5
	v_fma_f64 v[12:13], v[12:13], v[14:15], v[12:13]
	v_fma_f64 v[6:7], v[6:7], v[14:15], v[6:7]
	v_fma_f64 v[14:15], -v[12:13], v[12:13], v[4:5]
	v_fma_f64 v[12:13], v[14:15], v[6:7], v[12:13]
	v_fma_f64 v[14:15], -v[12:13], v[12:13], v[4:5]
	v_fma_f64 v[6:7], v[14:15], v[6:7], v[12:13]
	v_mov_b32_e32 v12, 0x260
	v_cmp_class_f64_e32 vcc, v[4:5], v12
	v_ldexp_f64 v[6:7], v[6:7], s4
	v_cndmask_b32_e32 v5, v7, v5, vcc
	v_cndmask_b32_e32 v4, v6, v4, vcc
	v_mul_f64 v[6:7], v[2:3], v[4:5]
.LBB63_100:
	s_mov_b32 s4, 0
	s_brev_b32 s5, 8
	v_cmp_gt_f64_e32 vcc, s[4:5], v[6:7]
	s_and_b64 s[4:5], vcc, exec
	s_cselect_b32 s4, 0x100, 0
	v_ldexp_f64 v[2:3], v[6:7], s4
	s_cselect_b32 s4, 0xffffff80, 0
	v_rsq_f64_e32 v[4:5], v[2:3]
	v_mul_f64 v[6:7], v[2:3], v[4:5]
	v_mul_f64 v[4:5], v[4:5], 0.5
	v_fma_f64 v[12:13], -v[4:5], v[6:7], 0.5
	v_fma_f64 v[6:7], v[6:7], v[12:13], v[6:7]
	v_fma_f64 v[4:5], v[4:5], v[12:13], v[4:5]
	v_fma_f64 v[12:13], -v[6:7], v[6:7], v[2:3]
	v_fma_f64 v[6:7], v[12:13], v[4:5], v[6:7]
	v_fma_f64 v[12:13], -v[6:7], v[6:7], v[2:3]
	v_fma_f64 v[4:5], v[12:13], v[4:5], v[6:7]
	v_mov_b32_e32 v7, 0x260
	v_cmp_class_f64_e32 vcc, v[2:3], v7
	v_ldexp_f64 v[5:6], v[4:5], s4
	v_mov_b32_e32 v4, 0
	v_cndmask_b32_e32 v3, v6, v3, vcc
	v_cndmask_b32_e32 v2, v5, v2, vcc
	v_mov_b32_e32 v5, v4
	ds_write_b128 v4, v[2:5] offset:1296
.LBB63_101:
	s_or_b64 exec, exec, s[2:3]
	v_mov_b32_e32 v2, 0
	s_waitcnt lgkmcnt(0)
	ds_read_b128 v[2:5], v2 offset:1296
	v_mov_b32_e32 v6, 0x3ff00000
	s_waitcnt lgkmcnt(0)
	v_cmp_neq_f64_e32 vcc, 0, v[2:3]
	v_cmp_neq_f64_e64 s[2:3], 0, v[4:5]
	s_or_b64 vcc, vcc, s[2:3]
	v_cndmask_b32_e32 v3, v6, v3, vcc
	s_nor_b64 s[4:5], vcc, s[0:1]
	v_cndmask_b32_e32 v2, 0, v2, vcc
	v_cndmask_b32_e32 v5, 0, v5, vcc
	;; [unrolled: 1-line block ×3, first 2 shown]
	s_and_saveexec_b64 s[2:3], s[4:5]
	s_cbranch_execz .LBB63_105
; %bb.102:
	v_mbcnt_lo_u32_b32 v2, exec_lo, 0
	v_mbcnt_hi_u32_b32 v2, exec_hi, v2
	v_cmp_eq_u32_e32 vcc, 0, v2
	s_and_saveexec_b64 s[4:5], vcc
	s_cbranch_execz .LBB63_104
; %bb.103:
	v_mov_b32_e32 v2, 0
	v_mov_b32_e32 v3, s19
	global_atomic_smin v2, v3, s[14:15]
.LBB63_104:
	s_or_b64 exec, exec, s[4:5]
	v_mov_b32_e32 v4, 0
	v_mov_b32_e32 v2, 0
	v_mov_b32_e32 v5, 0
	v_mov_b32_e32 v3, 0x3ff00000
.LBB63_105:
	s_or_b64 exec, exec, s[2:3]
	v_cmp_lt_u32_e32 vcc, 3, v1
	s_and_saveexec_b64 s[2:3], vcc
	s_cbranch_execz .LBB63_107
; %bb.106:
	v_mul_f64 v[6:7], v[4:5], v[4:5]
	v_fma_f64 v[6:7], v[2:3], v[2:3], v[6:7]
	v_div_scale_f64 v[12:13], s[4:5], v[6:7], v[6:7], 1.0
	v_rcp_f64_e32 v[14:15], v[12:13]
	v_fma_f64 v[20:21], -v[12:13], v[14:15], 1.0
	v_fma_f64 v[14:15], v[14:15], v[20:21], v[14:15]
	v_div_scale_f64 v[20:21], vcc, 1.0, v[6:7], 1.0
	v_fma_f64 v[22:23], -v[12:13], v[14:15], 1.0
	v_fma_f64 v[24:25], v[14:15], v[22:23], v[14:15]
	v_mul_f64 v[26:27], v[20:21], v[24:25]
	v_fma_f64 v[28:29], -v[12:13], v[26:27], v[20:21]
	ds_read_b128 v[12:15], v9 offset:48
	ds_read_b128 v[20:23], v19 offset:48
	s_waitcnt lgkmcnt(0)
	v_add_f64 v[14:15], v[14:15], -v[22:23]
	v_add_f64 v[12:13], v[12:13], -v[20:21]
	v_div_fmas_f64 v[22:23], v[28:29], v[24:25], v[26:27]
	v_mul_f64 v[20:21], v[4:5], v[14:15]
	v_mul_f64 v[4:5], v[4:5], -v[12:13]
	v_fma_f64 v[12:13], v[12:13], v[2:3], v[20:21]
	v_fma_f64 v[4:5], v[14:15], v[2:3], v[4:5]
	v_div_fixup_f64 v[6:7], v[22:23], v[6:7], 1.0
	v_mul_f64 v[2:3], v[6:7], v[12:13]
	v_mul_f64 v[4:5], v[6:7], v[4:5]
	ds_write_b128 v9, v[2:5] offset:48
	s_waitcnt lgkmcnt(0)
	ds_read_b128 v[12:15], v11 offset:48
	ds_read_b128 v[20:23], v18
	s_waitcnt lgkmcnt(0)
	v_fma_f64 v[6:7], v[2:3], v[12:13], v[20:21]
	v_fma_f64 v[12:13], v[4:5], v[12:13], v[22:23]
	;; [unrolled: 1-line block ×3, first 2 shown]
	v_fma_f64 v[6:7], v[2:3], -v[14:15], v[12:13]
	ds_write_b128 v18, v[4:7]
.LBB63_107:
	s_or_b64 exec, exec, s[2:3]
	v_cmp_eq_u32_e32 vcc, 4, v1
	s_waitcnt lgkmcnt(0)
	s_and_saveexec_b64 s[2:3], vcc
	s_cbranch_execz .LBB63_114
; %bb.108:
	v_mov_b32_e32 v6, 0
	ds_read_b128 v[2:5], v6 offset:1888
	ds_read_b128 v[12:15], v6 offset:1408
	s_waitcnt lgkmcnt(0)
	v_add_f64 v[2:3], v[12:13], -v[2:3]
	v_add_f64 v[6:7], v[14:15], -v[4:5]
	v_cmp_gt_f64_e32 vcc, 0, v[2:3]
	v_xor_b32_e32 v4, 0x80000000, v3
	v_xor_b32_e32 v5, 0x80000000, v7
	v_cndmask_b32_e32 v3, v3, v4, vcc
	v_cmp_gt_f64_e32 vcc, 0, v[6:7]
	v_mov_b32_e32 v4, v6
	v_cndmask_b32_e32 v5, v7, v5, vcc
	v_cmp_gt_f64_e32 vcc, v[2:3], v[4:5]
	s_cbranch_vccnz .LBB63_111
; %bb.109:
	v_cmp_eq_f64_e32 vcc, 0, v[6:7]
	s_mov_b64 s[4:5], 0
	s_cbranch_vccnz .LBB63_133
; %bb.110:
	v_div_scale_f64 v[6:7], s[16:17], v[4:5], v[4:5], v[2:3]
	s_mov_b32 s16, 0
	s_brev_b32 s17, 8
	v_rcp_f64_e32 v[12:13], v[6:7]
	v_fma_f64 v[14:15], -v[6:7], v[12:13], 1.0
	v_fma_f64 v[12:13], v[12:13], v[14:15], v[12:13]
	v_div_scale_f64 v[14:15], vcc, v[2:3], v[4:5], v[2:3]
	v_fma_f64 v[20:21], -v[6:7], v[12:13], 1.0
	v_fma_f64 v[12:13], v[12:13], v[20:21], v[12:13]
	v_mul_f64 v[20:21], v[14:15], v[12:13]
	v_fma_f64 v[6:7], -v[6:7], v[20:21], v[14:15]
	v_div_fmas_f64 v[6:7], v[6:7], v[12:13], v[20:21]
	v_div_fixup_f64 v[6:7], v[6:7], v[4:5], v[2:3]
	v_fma_f64 v[6:7], v[6:7], v[6:7], 1.0
	v_cmp_gt_f64_e32 vcc, s[16:17], v[6:7]
	s_and_b64 s[16:17], vcc, exec
	s_cselect_b32 s16, 0x100, 0
	v_ldexp_f64 v[6:7], v[6:7], s16
	s_cselect_b32 s16, 0xffffff80, 0
	v_rsq_f64_e32 v[12:13], v[6:7]
	v_mul_f64 v[14:15], v[6:7], v[12:13]
	v_mul_f64 v[12:13], v[12:13], 0.5
	v_fma_f64 v[20:21], -v[12:13], v[14:15], 0.5
	v_fma_f64 v[14:15], v[14:15], v[20:21], v[14:15]
	v_fma_f64 v[12:13], v[12:13], v[20:21], v[12:13]
	v_fma_f64 v[20:21], -v[14:15], v[14:15], v[6:7]
	v_fma_f64 v[14:15], v[20:21], v[12:13], v[14:15]
	v_fma_f64 v[20:21], -v[14:15], v[14:15], v[6:7]
	v_fma_f64 v[12:13], v[20:21], v[12:13], v[14:15]
	v_mov_b32_e32 v14, 0x260
	v_cmp_class_f64_e32 vcc, v[6:7], v14
	v_ldexp_f64 v[12:13], v[12:13], s16
	v_cndmask_b32_e32 v7, v13, v7, vcc
	v_cndmask_b32_e32 v6, v12, v6, vcc
	v_mul_f64 v[6:7], v[4:5], v[6:7]
	s_andn2_b64 vcc, exec, s[4:5]
	s_cbranch_vccz .LBB63_112
	s_branch .LBB63_113
.LBB63_111:
                                        ; implicit-def: $vgpr6_vgpr7
.LBB63_112:
	v_div_scale_f64 v[6:7], s[4:5], v[2:3], v[2:3], v[4:5]
	s_mov_b32 s4, 0
	s_brev_b32 s5, 8
	v_rcp_f64_e32 v[12:13], v[6:7]
	v_fma_f64 v[14:15], -v[6:7], v[12:13], 1.0
	v_fma_f64 v[12:13], v[12:13], v[14:15], v[12:13]
	v_div_scale_f64 v[14:15], vcc, v[4:5], v[2:3], v[4:5]
	v_fma_f64 v[20:21], -v[6:7], v[12:13], 1.0
	v_fma_f64 v[12:13], v[12:13], v[20:21], v[12:13]
	v_mul_f64 v[20:21], v[14:15], v[12:13]
	v_fma_f64 v[6:7], -v[6:7], v[20:21], v[14:15]
	v_div_fmas_f64 v[6:7], v[6:7], v[12:13], v[20:21]
	v_div_fixup_f64 v[4:5], v[6:7], v[2:3], v[4:5]
	v_fma_f64 v[4:5], v[4:5], v[4:5], 1.0
	v_cmp_gt_f64_e32 vcc, s[4:5], v[4:5]
	s_and_b64 s[4:5], vcc, exec
	s_cselect_b32 s4, 0x100, 0
	v_ldexp_f64 v[4:5], v[4:5], s4
	s_cselect_b32 s4, 0xffffff80, 0
	v_rsq_f64_e32 v[6:7], v[4:5]
	v_mul_f64 v[12:13], v[4:5], v[6:7]
	v_mul_f64 v[6:7], v[6:7], 0.5
	v_fma_f64 v[14:15], -v[6:7], v[12:13], 0.5
	v_fma_f64 v[12:13], v[12:13], v[14:15], v[12:13]
	v_fma_f64 v[6:7], v[6:7], v[14:15], v[6:7]
	v_fma_f64 v[14:15], -v[12:13], v[12:13], v[4:5]
	v_fma_f64 v[12:13], v[14:15], v[6:7], v[12:13]
	v_fma_f64 v[14:15], -v[12:13], v[12:13], v[4:5]
	v_fma_f64 v[6:7], v[14:15], v[6:7], v[12:13]
	v_mov_b32_e32 v12, 0x260
	v_cmp_class_f64_e32 vcc, v[4:5], v12
	v_ldexp_f64 v[6:7], v[6:7], s4
	v_cndmask_b32_e32 v5, v7, v5, vcc
	v_cndmask_b32_e32 v4, v6, v4, vcc
	v_mul_f64 v[6:7], v[2:3], v[4:5]
.LBB63_113:
	s_mov_b32 s4, 0
	s_brev_b32 s5, 8
	v_cmp_gt_f64_e32 vcc, s[4:5], v[6:7]
	s_and_b64 s[4:5], vcc, exec
	s_cselect_b32 s4, 0x100, 0
	v_ldexp_f64 v[2:3], v[6:7], s4
	s_cselect_b32 s4, 0xffffff80, 0
	v_rsq_f64_e32 v[4:5], v[2:3]
	v_mul_f64 v[6:7], v[2:3], v[4:5]
	v_mul_f64 v[4:5], v[4:5], 0.5
	v_fma_f64 v[12:13], -v[4:5], v[6:7], 0.5
	v_fma_f64 v[6:7], v[6:7], v[12:13], v[6:7]
	v_fma_f64 v[4:5], v[4:5], v[12:13], v[4:5]
	v_fma_f64 v[12:13], -v[6:7], v[6:7], v[2:3]
	v_fma_f64 v[6:7], v[12:13], v[4:5], v[6:7]
	v_fma_f64 v[12:13], -v[6:7], v[6:7], v[2:3]
	v_fma_f64 v[4:5], v[12:13], v[4:5], v[6:7]
	v_mov_b32_e32 v7, 0x260
	v_cmp_class_f64_e32 vcc, v[2:3], v7
	v_ldexp_f64 v[5:6], v[4:5], s4
	v_mov_b32_e32 v4, 0
	v_cndmask_b32_e32 v3, v6, v3, vcc
	v_cndmask_b32_e32 v2, v5, v2, vcc
	v_mov_b32_e32 v5, v4
	ds_write_b128 v4, v[2:5] offset:1408
.LBB63_114:
	s_or_b64 exec, exec, s[2:3]
	v_mov_b32_e32 v2, 0
	s_waitcnt lgkmcnt(0)
	ds_read_b128 v[2:5], v2 offset:1408
	v_mov_b32_e32 v6, 0x3ff00000
	s_waitcnt lgkmcnt(0)
	v_cmp_neq_f64_e32 vcc, 0, v[2:3]
	v_cmp_neq_f64_e64 s[2:3], 0, v[4:5]
	s_or_b64 vcc, vcc, s[2:3]
	v_cndmask_b32_e32 v3, v6, v3, vcc
	s_nor_b64 s[2:3], vcc, s[0:1]
	v_cndmask_b32_e32 v2, 0, v2, vcc
	v_cndmask_b32_e32 v5, 0, v5, vcc
	;; [unrolled: 1-line block ×3, first 2 shown]
	s_and_saveexec_b64 s[0:1], s[2:3]
	s_cbranch_execz .LBB63_127
; %bb.115:
	v_mbcnt_lo_u32_b32 v2, exec_lo, 0
	v_mbcnt_hi_u32_b32 v2, exec_hi, v2
	v_cmp_eq_u32_e32 vcc, 0, v2
	s_and_saveexec_b64 s[2:3], vcc
	s_cbranch_execz .LBB63_117
; %bb.116:
	v_mov_b32_e32 v2, 0
	v_mov_b32_e32 v3, s19
	global_atomic_smin v2, v3, s[14:15]
.LBB63_117:
	s_or_b64 exec, exec, s[2:3]
	v_mov_b32_e32 v4, 0
	v_mov_b32_e32 v2, 0
	;; [unrolled: 1-line block ×4, first 2 shown]
	s_or_b64 exec, exec, s[0:1]
	v_cmp_lt_u32_e32 vcc, 4, v1
	s_and_saveexec_b64 s[0:1], vcc
	s_cbranch_execnz .LBB63_128
.LBB63_118:
	s_or_b64 exec, exec, s[0:1]
	s_andn2_b64 vcc, exec, s[8:9]
	s_cbranch_vccnz .LBB63_120
.LBB63_119:
	v_mov_b32_e32 v16, v17
.LBB63_120:
	v_add_u32_e32 v2, s18, v16
	v_ashrrev_i32_e32 v3, 31, v2
	v_lshlrev_b64 v[6:7], 4, v[2:3]
	ds_read2_b64 v[2:5], v8 offset1:1
	v_mov_b32_e32 v9, s21
	v_add_co_u32_e32 v6, vcc, s20, v6
	v_addc_co_u32_e32 v7, vcc, v9, v7, vcc
	v_cmp_eq_u32_e32 vcc, 0, v10
	s_waitcnt lgkmcnt(0)
	global_store_dwordx4 v[6:7], v[2:5], off
	s_and_saveexec_b64 s[0:1], vcc
	s_cbranch_execz .LBB63_122
; %bb.121:
	s_add_u32 s2, s10, s6
	s_addc_u32 s3, s11, s7
	v_mov_b32_e32 v2, 0
	v_mov_b32_e32 v3, 1
	s_waitcnt vmcnt(0)
	global_store_dword v2, v3, s[2:3]
.LBB63_122:
	s_or_b64 exec, exec, s[0:1]
	s_branch .LBB63_58
.LBB63_123:
	v_or_b32_e32 v0, v0, v1
	v_cmp_eq_u32_e32 vcc, 0, v0
	s_and_saveexec_b64 s[0:1], vcc
	s_cbranch_execz .LBB63_58
; %bb.124:
	v_mbcnt_lo_u32_b32 v0, exec_lo, 0
	v_mbcnt_hi_u32_b32 v0, exec_hi, v0
	v_cmp_eq_u32_e32 vcc, 0, v0
	s_and_saveexec_b64 s[0:1], vcc
	s_cbranch_execz .LBB63_126
; %bb.125:
	s_add_i32 s2, s12, s13
	v_mov_b32_e32 v0, 0
	v_mov_b32_e32 v1, s2
	global_atomic_smin v0, v1, s[14:15]
.LBB63_126:
	s_or_b64 exec, exec, s[0:1]
	s_add_u32 s0, s10, s6
	s_addc_u32 s1, s11, s7
	v_mov_b32_e32 v0, 0
	v_mov_b32_e32 v1, 1
	s_waitcnt vmcnt(0)
	global_store_dword v0, v1, s[0:1]
	s_endpgm
.LBB63_127:
	s_or_b64 exec, exec, s[0:1]
	v_cmp_lt_u32_e32 vcc, 4, v1
	s_and_saveexec_b64 s[0:1], vcc
	s_cbranch_execz .LBB63_118
.LBB63_128:
	v_mul_f64 v[6:7], v[4:5], v[4:5]
	v_fma_f64 v[6:7], v[2:3], v[2:3], v[6:7]
	v_div_scale_f64 v[12:13], s[2:3], v[6:7], v[6:7], 1.0
	v_rcp_f64_e32 v[14:15], v[12:13]
	v_fma_f64 v[20:21], -v[12:13], v[14:15], 1.0
	v_fma_f64 v[14:15], v[14:15], v[20:21], v[14:15]
	v_div_scale_f64 v[20:21], vcc, 1.0, v[6:7], 1.0
	v_fma_f64 v[22:23], -v[12:13], v[14:15], 1.0
	v_fma_f64 v[23:24], v[14:15], v[22:23], v[14:15]
	v_mul_f64 v[25:26], v[20:21], v[23:24]
	v_fma_f64 v[27:28], -v[12:13], v[25:26], v[20:21]
	ds_read_b128 v[12:15], v9 offset:64
	ds_read_b128 v[19:22], v19 offset:64
	s_waitcnt lgkmcnt(0)
	v_add_f64 v[14:15], v[14:15], -v[21:22]
	v_add_f64 v[12:13], v[12:13], -v[19:20]
	v_div_fmas_f64 v[21:22], v[27:28], v[23:24], v[25:26]
	v_mul_f64 v[19:20], v[4:5], v[14:15]
	v_mul_f64 v[4:5], v[4:5], -v[12:13]
	v_fma_f64 v[12:13], v[12:13], v[2:3], v[19:20]
	v_fma_f64 v[4:5], v[14:15], v[2:3], v[4:5]
	v_div_fixup_f64 v[6:7], v[21:22], v[6:7], 1.0
	v_mul_f64 v[2:3], v[6:7], v[12:13]
	v_mul_f64 v[4:5], v[6:7], v[4:5]
	ds_write_b128 v9, v[2:5] offset:64
	s_waitcnt lgkmcnt(0)
	ds_read_b128 v[11:14], v11 offset:64
	ds_read_b128 v[19:22], v18
	s_waitcnt lgkmcnt(0)
	v_fma_f64 v[6:7], v[2:3], v[11:12], v[19:20]
	v_fma_f64 v[11:12], v[4:5], v[11:12], v[21:22]
	;; [unrolled: 1-line block ×3, first 2 shown]
	v_fma_f64 v[6:7], v[2:3], -v[13:14], v[11:12]
	ds_write_b128 v18, v[4:7]
	s_or_b64 exec, exec, s[0:1]
	s_andn2_b64 vcc, exec, s[8:9]
	s_waitcnt lgkmcnt(0)
	s_cbranch_vccz .LBB63_119
	s_branch .LBB63_120
.LBB63_129:
	v_mov_b32_e32 v6, 0
	v_mov_b32_e32 v7, 0
	s_andn2_b64 vcc, exec, s[4:5]
	s_cbranch_vccz .LBB63_60
	s_branch .LBB63_61
.LBB63_130:
	v_mov_b32_e32 v6, 0
	v_mov_b32_e32 v7, 0
	s_andn2_b64 vcc, exec, s[4:5]
	s_cbranch_vccz .LBB63_73
	s_branch .LBB63_74
.LBB63_131:
	v_mov_b32_e32 v6, 0
	v_mov_b32_e32 v7, 0
	s_andn2_b64 vcc, exec, s[4:5]
	s_cbranch_vccz .LBB63_86
	s_branch .LBB63_87
.LBB63_132:
	v_mov_b32_e32 v6, 0
	v_mov_b32_e32 v7, 0
	s_andn2_b64 vcc, exec, s[4:5]
	s_cbranch_vccz .LBB63_99
	s_branch .LBB63_100
.LBB63_133:
	v_mov_b32_e32 v6, 0
	v_mov_b32_e32 v7, 0
	s_andn2_b64 vcc, exec, s[4:5]
	s_cbranch_vccz .LBB63_112
	s_branch .LBB63_113
	.section	.rodata,"a",@progbits
	.p2align	6, 0x0
	.amdhsa_kernel _ZN9rocsparseL26bsric0_2_8_unrolled_kernelILi25ELi32ELi5E21rocsparse_complex_numIdEEEv20rocsparse_direction_iiPKiS5_PT2_S5_PiS5_S8_21rocsparse_index_base_
		.amdhsa_group_segment_fixed_size 2304
		.amdhsa_private_segment_fixed_size 0
		.amdhsa_kernarg_size 76
		.amdhsa_user_sgpr_count 6
		.amdhsa_user_sgpr_private_segment_buffer 1
		.amdhsa_user_sgpr_dispatch_ptr 0
		.amdhsa_user_sgpr_queue_ptr 0
		.amdhsa_user_sgpr_kernarg_segment_ptr 1
		.amdhsa_user_sgpr_dispatch_id 0
		.amdhsa_user_sgpr_flat_scratch_init 0
		.amdhsa_user_sgpr_private_segment_size 0
		.amdhsa_uses_dynamic_stack 0
		.amdhsa_system_sgpr_private_segment_wavefront_offset 0
		.amdhsa_system_sgpr_workgroup_id_x 1
		.amdhsa_system_sgpr_workgroup_id_y 0
		.amdhsa_system_sgpr_workgroup_id_z 0
		.amdhsa_system_sgpr_workgroup_info 0
		.amdhsa_system_vgpr_workitem_id 1
		.amdhsa_next_free_vgpr 55
		.amdhsa_next_free_sgpr 77
		.amdhsa_reserve_vcc 1
		.amdhsa_reserve_flat_scratch 0
		.amdhsa_float_round_mode_32 0
		.amdhsa_float_round_mode_16_64 0
		.amdhsa_float_denorm_mode_32 3
		.amdhsa_float_denorm_mode_16_64 3
		.amdhsa_dx10_clamp 1
		.amdhsa_ieee_mode 1
		.amdhsa_fp16_overflow 0
		.amdhsa_exception_fp_ieee_invalid_op 0
		.amdhsa_exception_fp_denorm_src 0
		.amdhsa_exception_fp_ieee_div_zero 0
		.amdhsa_exception_fp_ieee_overflow 0
		.amdhsa_exception_fp_ieee_underflow 0
		.amdhsa_exception_fp_ieee_inexact 0
		.amdhsa_exception_int_div_zero 0
	.end_amdhsa_kernel
	.section	.text._ZN9rocsparseL26bsric0_2_8_unrolled_kernelILi25ELi32ELi5E21rocsparse_complex_numIdEEEv20rocsparse_direction_iiPKiS5_PT2_S5_PiS5_S8_21rocsparse_index_base_,"axG",@progbits,_ZN9rocsparseL26bsric0_2_8_unrolled_kernelILi25ELi32ELi5E21rocsparse_complex_numIdEEEv20rocsparse_direction_iiPKiS5_PT2_S5_PiS5_S8_21rocsparse_index_base_,comdat
.Lfunc_end63:
	.size	_ZN9rocsparseL26bsric0_2_8_unrolled_kernelILi25ELi32ELi5E21rocsparse_complex_numIdEEEv20rocsparse_direction_iiPKiS5_PT2_S5_PiS5_S8_21rocsparse_index_base_, .Lfunc_end63-_ZN9rocsparseL26bsric0_2_8_unrolled_kernelILi25ELi32ELi5E21rocsparse_complex_numIdEEEv20rocsparse_direction_iiPKiS5_PT2_S5_PiS5_S8_21rocsparse_index_base_
                                        ; -- End function
	.set _ZN9rocsparseL26bsric0_2_8_unrolled_kernelILi25ELi32ELi5E21rocsparse_complex_numIdEEEv20rocsparse_direction_iiPKiS5_PT2_S5_PiS5_S8_21rocsparse_index_base_.num_vgpr, 55
	.set _ZN9rocsparseL26bsric0_2_8_unrolled_kernelILi25ELi32ELi5E21rocsparse_complex_numIdEEEv20rocsparse_direction_iiPKiS5_PT2_S5_PiS5_S8_21rocsparse_index_base_.num_agpr, 0
	.set _ZN9rocsparseL26bsric0_2_8_unrolled_kernelILi25ELi32ELi5E21rocsparse_complex_numIdEEEv20rocsparse_direction_iiPKiS5_PT2_S5_PiS5_S8_21rocsparse_index_base_.numbered_sgpr, 40
	.set _ZN9rocsparseL26bsric0_2_8_unrolled_kernelILi25ELi32ELi5E21rocsparse_complex_numIdEEEv20rocsparse_direction_iiPKiS5_PT2_S5_PiS5_S8_21rocsparse_index_base_.num_named_barrier, 0
	.set _ZN9rocsparseL26bsric0_2_8_unrolled_kernelILi25ELi32ELi5E21rocsparse_complex_numIdEEEv20rocsparse_direction_iiPKiS5_PT2_S5_PiS5_S8_21rocsparse_index_base_.private_seg_size, 0
	.set _ZN9rocsparseL26bsric0_2_8_unrolled_kernelILi25ELi32ELi5E21rocsparse_complex_numIdEEEv20rocsparse_direction_iiPKiS5_PT2_S5_PiS5_S8_21rocsparse_index_base_.uses_vcc, 1
	.set _ZN9rocsparseL26bsric0_2_8_unrolled_kernelILi25ELi32ELi5E21rocsparse_complex_numIdEEEv20rocsparse_direction_iiPKiS5_PT2_S5_PiS5_S8_21rocsparse_index_base_.uses_flat_scratch, 0
	.set _ZN9rocsparseL26bsric0_2_8_unrolled_kernelILi25ELi32ELi5E21rocsparse_complex_numIdEEEv20rocsparse_direction_iiPKiS5_PT2_S5_PiS5_S8_21rocsparse_index_base_.has_dyn_sized_stack, 0
	.set _ZN9rocsparseL26bsric0_2_8_unrolled_kernelILi25ELi32ELi5E21rocsparse_complex_numIdEEEv20rocsparse_direction_iiPKiS5_PT2_S5_PiS5_S8_21rocsparse_index_base_.has_recursion, 0
	.set _ZN9rocsparseL26bsric0_2_8_unrolled_kernelILi25ELi32ELi5E21rocsparse_complex_numIdEEEv20rocsparse_direction_iiPKiS5_PT2_S5_PiS5_S8_21rocsparse_index_base_.has_indirect_call, 0
	.section	.AMDGPU.csdata,"",@progbits
; Kernel info:
; codeLenInByte = 10948
; TotalNumSgprs: 44
; NumVgprs: 55
; ScratchSize: 0
; MemoryBound: 1
; FloatMode: 240
; IeeeMode: 1
; LDSByteSize: 2304 bytes/workgroup (compile time only)
; SGPRBlocks: 10
; VGPRBlocks: 13
; NumSGPRsForWavesPerEU: 81
; NumVGPRsForWavesPerEU: 55
; Occupancy: 4
; WaveLimiterHint : 1
; COMPUTE_PGM_RSRC2:SCRATCH_EN: 0
; COMPUTE_PGM_RSRC2:USER_SGPR: 6
; COMPUTE_PGM_RSRC2:TRAP_HANDLER: 0
; COMPUTE_PGM_RSRC2:TGID_X_EN: 1
; COMPUTE_PGM_RSRC2:TGID_Y_EN: 0
; COMPUTE_PGM_RSRC2:TGID_Z_EN: 0
; COMPUTE_PGM_RSRC2:TIDIG_COMP_CNT: 1
	.section	.text._ZN9rocsparseL26bsric0_2_8_unrolled_kernelILi36ELi32ELi6E21rocsparse_complex_numIdEEEv20rocsparse_direction_iiPKiS5_PT2_S5_PiS5_S8_21rocsparse_index_base_,"axG",@progbits,_ZN9rocsparseL26bsric0_2_8_unrolled_kernelILi36ELi32ELi6E21rocsparse_complex_numIdEEEv20rocsparse_direction_iiPKiS5_PT2_S5_PiS5_S8_21rocsparse_index_base_,comdat
	.globl	_ZN9rocsparseL26bsric0_2_8_unrolled_kernelILi36ELi32ELi6E21rocsparse_complex_numIdEEEv20rocsparse_direction_iiPKiS5_PT2_S5_PiS5_S8_21rocsparse_index_base_ ; -- Begin function _ZN9rocsparseL26bsric0_2_8_unrolled_kernelILi36ELi32ELi6E21rocsparse_complex_numIdEEEv20rocsparse_direction_iiPKiS5_PT2_S5_PiS5_S8_21rocsparse_index_base_
	.p2align	8
	.type	_ZN9rocsparseL26bsric0_2_8_unrolled_kernelILi36ELi32ELi6E21rocsparse_complex_numIdEEEv20rocsparse_direction_iiPKiS5_PT2_S5_PiS5_S8_21rocsparse_index_base_,@function
_ZN9rocsparseL26bsric0_2_8_unrolled_kernelILi36ELi32ELi6E21rocsparse_complex_numIdEEEv20rocsparse_direction_iiPKiS5_PT2_S5_PiS5_S8_21rocsparse_index_base_: ; @_ZN9rocsparseL26bsric0_2_8_unrolled_kernelILi36ELi32ELi6E21rocsparse_complex_numIdEEEv20rocsparse_direction_iiPKiS5_PT2_S5_PiS5_S8_21rocsparse_index_base_
; %bb.0:
	s_load_dwordx8 s[8:15], s[4:5], 0x28
	s_mov_b32 s7, 0
	s_lshl_b64 s[0:1], s[6:7], 2
	s_waitcnt lgkmcnt(0)
	s_add_u32 s0, s12, s0
	s_addc_u32 s1, s13, s1
	s_load_dword s12, s[0:1], 0x0
	s_waitcnt lgkmcnt(0)
	s_ashr_i32 s13, s12, 31
	s_lshl_b64 s[6:7], s[12:13], 2
	s_add_u32 s0, s8, s6
	s_addc_u32 s1, s9, s7
	s_load_dword s30, s[0:1], 0x0
	s_load_dword s13, s[4:5], 0x48
	s_waitcnt lgkmcnt(0)
	s_cmp_lg_u32 s30, -1
	s_cbranch_scc0 .LBB64_61
; %bb.1:
	s_load_dwordx4 s[16:19], s[4:5], 0x10
	s_load_dwordx2 s[20:21], s[4:5], 0x20
	v_mad_u32_u24 v16, v1, 6, v0
	s_waitcnt lgkmcnt(0)
	s_add_u32 s0, s16, s6
	s_addc_u32 s1, s17, s7
	s_load_dword s0, s[0:1], 0x0
	s_waitcnt lgkmcnt(0)
	s_sub_i32 s31, s0, s13
	v_add_u32_e32 v2, s31, v16
	v_cmp_ge_i32_e32 vcc, s30, v2
	s_and_saveexec_b64 s[0:1], vcc
	s_cbranch_execz .LBB64_4
; %bb.2:
	v_mov_b32_e32 v3, 0xb80
	v_lshl_add_u32 v5, v16, 2, v3
	v_ashrrev_i32_e32 v3, 31, v2
	v_lshlrev_b64 v[3:4], 2, v[2:3]
	v_mov_b32_e32 v6, s19
	v_add_co_u32_e32 v3, vcc, s18, v3
	v_addc_co_u32_e32 v4, vcc, v6, v4, vcc
	s_mov_b64 s[2:3], 0
.LBB64_3:                               ; =>This Inner Loop Header: Depth=1
	global_load_dword v6, v[3:4], off
	v_add_co_u32_e32 v3, vcc, 0x90, v3
	v_add_u32_e32 v2, 36, v2
	v_addc_co_u32_e32 v4, vcc, 0, v4, vcc
	v_cmp_lt_i32_e32 vcc, s30, v2
	s_or_b64 s[2:3], vcc, s[2:3]
	s_waitcnt vmcnt(0)
	v_subrev_u32_e32 v6, s13, v6
	ds_write_b32 v5, v6
	v_add_u32_e32 v5, 0x90, v5
	s_andn2_b64 exec, exec, s[2:3]
	s_cbranch_execnz .LBB64_3
.LBB64_4:
	s_or_b64 exec, exec, s[0:1]
	s_load_dword s33, s[4:5], 0x0
	s_movk_i32 s0, 0x70
	v_mov_b32_e32 v2, 0x7e0
	v_mad_u32_u24 v19, v1, s0, v2
	v_mov_b32_e32 v2, 0
	v_mul_u32_u24_e32 v20, 6, v1
	v_lshl_add_u32 v18, v0, 4, v19
	v_mov_b32_e32 v3, v2
	v_mov_b32_e32 v4, v2
	;; [unrolled: 1-line block ×3, first 2 shown]
	s_cmp_ge_i32 s31, s30
	v_mad_u32_u24 v17, v0, 6, v1
	ds_write_b128 v18, v[2:5]
	s_waitcnt lgkmcnt(0)
	s_cbranch_scc1 .LBB64_55
; %bb.5:
	s_cmp_lg_u32 s33, 0
	s_cselect_b64 s[4:5], -1, 0
	s_cmp_eq_u32 s33, 0
	v_mov_b32_e32 v4, 0x540
	v_mov_b32_e32 v6, 0x2a0
	v_mad_u32_u24 v3, v0, 6, v1
	v_mad_u32_u24 v22, v1, s0, v4
	v_lshlrev_b32_e32 v5, 4, v0
	v_mad_u32_u24 v25, v1, s0, v6
	v_mad_u32_u24 v27, v0, s0, v4
	v_or_b32_e32 v4, v0, v1
	s_cselect_b64 vcc, -1, 0
	v_mul_u32_u24_e32 v21, 6, v0
	v_add_u32_e32 v23, v22, v5
	v_mad_u32_u24 v24, v1, s0, v5
	v_add_u32_e32 v26, v25, v5
	v_cmp_ne_u32_e64 s[0:1], 0, v4
	v_cndmask_b32_e32 v7, v3, v16, vcc
	v_mov_b32_e32 v28, 0x3ff00000
	s_mov_b32 s22, s31
	s_branch .LBB64_8
.LBB64_6:                               ;   in Loop: Header=BB64_8 Depth=1
	s_or_b64 exec, exec, s[24:25]
	v_mov_b32_e32 v12, 0
	v_mov_b32_e32 v10, 0
	;; [unrolled: 1-line block ×4, first 2 shown]
.LBB64_7:                               ;   in Loop: Header=BB64_8 Depth=1
	s_or_b64 exec, exec, s[2:3]
	v_mul_f64 v[14:15], v[12:13], v[12:13]
	ds_read_b128 v[29:32], v22
	ds_read_b128 v[33:36], v25 offset:80
	ds_read_b128 v[37:40], v2 offset:560
	ds_read_b128 v[41:44], v2 offset:576
	ds_read_b128 v[45:48], v22 offset:16
	s_add_i32 s22, s22, 1
	s_cmp_ge_i32 s22, s30
	s_waitcnt lgkmcnt(2)
	v_fma_f64 v[35:36], v[39:40], v[29:30], v[35:36]
	v_fma_f64 v[29:30], v[37:38], v[29:30], v[33:34]
	v_fma_f64 v[14:15], v[10:11], v[10:11], v[14:15]
	v_fma_f64 v[33:34], v[37:38], -v[31:32], v[35:36]
	v_fma_f64 v[29:30], v[39:40], v[31:32], v[29:30]
	v_div_scale_f64 v[49:50], s[2:3], v[14:15], v[14:15], 1.0
	s_cselect_b64 s[2:3], -1, 0
	s_waitcnt lgkmcnt(0)
	v_fma_f64 v[31:32], v[43:44], v[45:46], v[33:34]
	v_fma_f64 v[37:38], v[41:42], v[45:46], v[29:30]
	v_fma_f64 v[45:46], v[41:42], -v[47:48], v[31:32]
	v_fma_f64 v[47:48], v[43:44], v[47:48], v[37:38]
	v_rcp_f64_e32 v[51:52], v[49:50]
	ds_read_b128 v[29:32], v2 offset:592
	ds_read_b128 v[33:36], v22 offset:32
	;; [unrolled: 1-line block ×4, first 2 shown]
	s_waitcnt lgkmcnt(2)
	v_fma_f64 v[45:46], v[31:32], v[33:34], v[45:46]
	v_fma_f64 v[33:34], v[29:30], v[33:34], v[47:48]
	v_div_scale_f64 v[47:48], vcc, 1.0, v[14:15], 1.0
	v_fma_f64 v[29:30], v[29:30], -v[35:36], v[45:46]
	v_fma_f64 v[31:32], v[31:32], v[35:36], v[33:34]
	v_fma_f64 v[53:54], -v[49:50], v[51:52], 1.0
	s_waitcnt lgkmcnt(0)
	v_fma_f64 v[33:34], v[39:40], v[41:42], v[29:30]
	v_fma_f64 v[41:42], v[37:38], v[41:42], v[31:32]
	;; [unrolled: 1-line block ×3, first 2 shown]
	ds_read_b128 v[29:32], v22 offset:64
	v_fma_f64 v[37:38], v[37:38], -v[43:44], v[33:34]
	v_fma_f64 v[39:40], v[39:40], v[43:44], v[41:42]
	v_fma_f64 v[51:52], -v[49:50], v[45:46], 1.0
	ds_read_b128 v[33:36], v2 offset:624
	s_waitcnt lgkmcnt(0)
	v_fma_f64 v[37:38], v[35:36], v[29:30], v[37:38]
	v_fma_f64 v[29:30], v[33:34], v[29:30], v[39:40]
	;; [unrolled: 1-line block ×3, first 2 shown]
	v_fma_f64 v[33:34], v[33:34], -v[31:32], v[37:38]
	v_fma_f64 v[29:30], v[35:36], v[31:32], v[29:30]
	v_mul_f64 v[41:42], v[47:48], v[45:46]
	v_add_f64 v[5:6], v[5:6], -v[33:34]
	v_add_f64 v[3:4], v[3:4], -v[29:30]
	v_fma_f64 v[37:38], -v[49:50], v[41:42], v[47:48]
	v_mul_f64 v[29:30], v[12:13], v[5:6]
	v_mul_f64 v[12:13], v[12:13], -v[3:4]
	v_div_fmas_f64 v[31:32], v[37:38], v[45:46], v[41:42]
	v_fma_f64 v[3:4], v[3:4], v[10:11], v[29:30]
	v_fma_f64 v[5:6], v[5:6], v[10:11], v[12:13]
	v_div_fixup_f64 v[14:15], v[31:32], v[14:15], 1.0
	v_mul_f64 v[3:4], v[14:15], v[3:4]
	v_mul_f64 v[5:6], v[14:15], v[5:6]
	ds_write_b128 v22, v[3:6] offset:80
	s_waitcnt lgkmcnt(0)
	ds_read_b128 v[10:13], v27 offset:80
	ds_read_b128 v[29:32], v18
	s_waitcnt lgkmcnt(0)
	v_fma_f64 v[14:15], v[3:4], v[10:11], v[29:30]
	v_fma_f64 v[29:30], v[5:6], v[10:11], v[31:32]
	;; [unrolled: 1-line block ×3, first 2 shown]
	v_fma_f64 v[12:13], v[3:4], -v[12:13], v[29:30]
	ds_write_b128 v18, v[10:13]
	s_waitcnt lgkmcnt(0)
	ds_read2_b64 v[3:6], v23 offset1:1
	s_waitcnt lgkmcnt(0)
	global_store_dwordx4 v[8:9], v[3:6], off
	s_waitcnt vmcnt(0)
	buffer_wbinvl1_vol
	s_and_b64 vcc, exec, s[2:3]
	s_cbranch_vccnz .LBB64_55
.LBB64_8:                               ; =>This Loop Header: Depth=1
                                        ;     Child Loop BB64_11 Depth 2
                                        ;     Child Loop BB64_22 Depth 2
	;; [unrolled: 1-line block ×3, first 2 shown]
	s_ashr_i32 s23, s22, 31
	s_lshl_b64 s[2:3], s[22:23], 2
	s_add_u32 s2, s18, s2
	s_addc_u32 s3, s19, s3
	s_load_dword s23, s[2:3], 0x0
	s_waitcnt lgkmcnt(0)
	s_sub_i32 s24, s23, s13
	s_ashr_i32 s25, s24, 31
	s_lshl_b64 s[2:3], s[24:25], 2
	s_add_u32 s26, s8, s2
	s_addc_u32 s27, s9, s3
	s_load_dword s25, s[26:27], 0x0
	s_waitcnt lgkmcnt(0)
	s_cmp_eq_u32 s25, -1
	s_cbranch_scc1 .LBB64_54
; %bb.9:                                ;   in Loop: Header=BB64_8 Depth=1
	v_mad_u64_u32 v[3:4], s[26:27], s22, 36, v[7:8]
	v_mov_b32_e32 v5, s21
	s_add_u32 s26, s16, s2
	v_ashrrev_i32_e32 v4, 31, v3
	v_lshlrev_b64 v[3:4], 4, v[3:4]
	s_addc_u32 s27, s17, s3
	v_add_co_u32_e32 v8, vcc, s20, v3
	v_addc_co_u32_e32 v9, vcc, v5, v4, vcc
	global_load_dwordx4 v[3:6], v[8:9], off
	s_load_dword s26, s[26:27], 0x0
	ds_read_b32 v10, v2 offset:2944
	s_mov_b32 s27, 0
	s_waitcnt lgkmcnt(0)
	s_sub_i32 s26, s26, s13
	s_cmp_le_i32 s26, s25
	v_cmp_ge_i32_e32 vcc, s24, v10
	s_cselect_b64 s[28:29], -1, 0
	s_and_b64 s[28:29], s[28:29], vcc
	s_andn2_b64 vcc, exec, s[28:29]
	s_waitcnt vmcnt(0)
	ds_write2_b64 v23, v[3:4], v[5:6] offset1:1
	s_cbranch_vccnz .LBB64_21
; %bb.10:                               ;   in Loop: Header=BB64_8 Depth=1
	s_mov_b32 s34, 0
	s_mov_b32 s35, 0
.LBB64_11:                              ;   Parent Loop BB64_8 Depth=1
                                        ; =>  This Inner Loop Header: Depth=2
	s_ashr_i32 s27, s26, 31
	s_lshl_b64 s[28:29], s[26:27], 2
	s_add_u32 s28, s18, s28
	s_addc_u32 s29, s19, s29
	s_load_dword s27, s[28:29], 0x0
	s_lshl_b32 s28, s35, 2
	v_mov_b32_e32 v3, s28
	ds_read_b32 v3, v3 offset:2944
	s_mov_b64 s[28:29], -1
	s_waitcnt lgkmcnt(0)
	s_sub_i32 s39, s27, s13
                                        ; implicit-def: $sgpr27
                                        ; implicit-def: $sgpr38
                                        ; implicit-def: $sgpr37
	v_cmp_ge_i32_e32 vcc, s39, v3
	v_readfirstlane_b32 s36, v3
	s_cbranch_vccz .LBB64_17
; %bb.12:                               ;   in Loop: Header=BB64_11 Depth=2
	s_cmp_le_i32 s39, s36
                                        ; implicit-def: $sgpr27
                                        ; implicit-def: $sgpr38
                                        ; implicit-def: $sgpr37
	s_cbranch_scc0 .LBB64_14
; %bb.13:                               ;   in Loop: Header=BB64_11 Depth=2
	s_add_i32 s27, s35, s31
	s_mul_i32 s27, s27, 36
	s_lshl_b32 s28, s34, 2
	v_mov_b32_e32 v3, s28
	v_mov_b32_e32 v4, s27
	s_mul_i32 s27, s26, 36
	v_mov_b32_e32 v5, s27
	v_add_u32_e32 v3, 0x800, v3
	ds_write2_b32 v3, v5, v4 offset0:160 offset1:192
	s_add_i32 s37, s35, 1
	s_add_i32 s38, s26, 1
	;; [unrolled: 1-line block ×3, first 2 shown]
	s_mov_b64 s[28:29], 0
.LBB64_14:                              ;   in Loop: Header=BB64_11 Depth=2
	s_andn2_b64 vcc, exec, s[28:29]
	s_cbranch_vccnz .LBB64_16
; %bb.15:                               ;   in Loop: Header=BB64_11 Depth=2
	s_add_i32 s37, s35, 1
	s_mov_b32 s27, s34
	s_mov_b32 s38, s26
.LBB64_16:                              ;   in Loop: Header=BB64_11 Depth=2
	s_mov_b64 s[28:29], 0
.LBB64_17:                              ;   in Loop: Header=BB64_11 Depth=2
	s_andn2_b64 vcc, exec, s[28:29]
	s_cbranch_vccnz .LBB64_19
; %bb.18:                               ;   in Loop: Header=BB64_11 Depth=2
	s_add_i32 s38, s26, 1
	s_mov_b32 s37, s35
	s_mov_b32 s27, s34
.LBB64_19:                              ;   in Loop: Header=BB64_11 Depth=2
	s_cmp_le_i32 s38, s25
	s_cselect_b64 s[28:29], -1, 0
	s_cmp_le_i32 s36, s24
	s_cselect_b64 s[34:35], -1, 0
	s_and_b64 s[28:29], s[28:29], s[34:35]
	s_and_b64 vcc, exec, s[28:29]
	s_cbranch_vccz .LBB64_21
; %bb.20:                               ;   in Loop: Header=BB64_11 Depth=2
	s_mov_b32 s34, s27
	s_mov_b32 s26, s38
	;; [unrolled: 1-line block ×3, first 2 shown]
	s_branch .LBB64_11
.LBB64_21:                              ;   in Loop: Header=BB64_8 Depth=1
	s_add_u32 s2, s10, s2
	s_addc_u32 s3, s11, s3
	s_waitcnt lgkmcnt(0)
.LBB64_22:                              ;   Parent Loop BB64_8 Depth=1
                                        ; =>  This Inner Loop Header: Depth=2
	global_load_dword v3, v2, s[2:3] glc
	s_waitcnt vmcnt(0)
	v_cmp_eq_u32_e32 vcc, 0, v3
	s_cbranch_vccnz .LBB64_22
; %bb.23:                               ;   in Loop: Header=BB64_8 Depth=1
	v_mad_u64_u32 v[3:4], s[2:3], s25, 36, v[7:8]
	v_mov_b32_e32 v5, s21
	buffer_wbinvl1_vol
	v_ashrrev_i32_e32 v4, 31, v3
	v_lshlrev_b64 v[3:4], 4, v[3:4]
	s_cmp_lt_i32 s27, 2
	v_add_co_u32_e32 v3, vcc, s20, v3
	v_addc_co_u32_e32 v4, vcc, v5, v4, vcc
	global_load_dwordx4 v[10:13], v[3:4], off
	v_mov_b32_e32 v5, 0
	v_mov_b32_e32 v3, 0
	;; [unrolled: 1-line block ×4, first 2 shown]
	s_waitcnt vmcnt(0)
	ds_write2_b64 v24, v[10:11], v[12:13] offset1:1
	s_waitcnt lgkmcnt(0)
	s_cbranch_scc1 .LBB64_31
; %bb.24:                               ;   in Loop: Header=BB64_8 Depth=1
	v_mov_b32_e32 v10, 0
	v_mov_b32_e32 v12, 0
	s_add_i32 s24, s27, -1
	v_mov_b32_e32 v11, 0
	v_mov_b32_e32 v13, 0
	s_movk_i32 s25, 0xa80
.LBB64_25:                              ;   Parent Loop BB64_8 Depth=1
                                        ; =>  This Inner Loop Header: Depth=2
	v_mov_b32_e32 v3, s25
	s_waitcnt lgkmcnt(0)
	ds_read2_b32 v[14:15], v3 offset1:32
	s_mov_b64 s[2:3], -1
	s_and_b64 vcc, exec, s[4:5]
                                        ; implicit-def: $vgpr5_vgpr6
	s_cbranch_vccz .LBB64_28
; %bb.26:                               ;   in Loop: Header=BB64_25 Depth=2
	s_waitcnt lgkmcnt(0)
	v_add_u32_e32 v33, v14, v0
	v_ashrrev_i32_e32 v34, 31, v33
	v_lshlrev_b64 v[3:4], 4, v[33:34]
	v_add_u32_e32 v34, v15, v1
	v_ashrrev_i32_e32 v35, 31, v34
	v_add_co_u32_e32 v3, vcc, s20, v3
	v_mov_b32_e32 v5, s21
	v_lshlrev_b64 v[29:30], 4, v[34:35]
	v_addc_co_u32_e32 v4, vcc, v5, v4, vcc
	v_add_co_u32_e32 v29, vcc, s20, v29
	v_mov_b32_e32 v31, s21
	v_addc_co_u32_e32 v30, vcc, v31, v30, vcc
	global_load_dwordx4 v[3:6], v[3:4], off
	s_nop 0
	global_load_dwordx4 v[29:32], v[29:30], off
	s_waitcnt vmcnt(0)
	v_fma_f64 v[35:36], v[3:4], v[29:30], v[12:13]
	v_fma_f64 v[35:36], v[5:6], v[31:32], v[35:36]
	v_fma_f64 v[5:6], v[5:6], v[29:30], v[10:11]
	v_add_u32_e32 v29, 6, v34
	v_ashrrev_i32_e32 v30, 31, v29
	v_lshlrev_b64 v[29:30], 4, v[29:30]
	v_fma_f64 v[37:38], v[3:4], -v[31:32], v[5:6]
	v_add_u32_e32 v3, 6, v33
	v_ashrrev_i32_e32 v4, 31, v3
	v_lshlrev_b64 v[3:4], 4, v[3:4]
	v_mov_b32_e32 v5, s21
	v_add_co_u32_e32 v3, vcc, s20, v3
	v_addc_co_u32_e32 v4, vcc, v5, v4, vcc
	v_add_co_u32_e32 v29, vcc, s20, v29
	v_mov_b32_e32 v31, s21
	v_addc_co_u32_e32 v30, vcc, v31, v30, vcc
	global_load_dwordx4 v[3:6], v[3:4], off
	s_nop 0
	global_load_dwordx4 v[29:32], v[29:30], off
	s_waitcnt vmcnt(0)
	v_fma_f64 v[35:36], v[3:4], v[29:30], v[35:36]
	v_fma_f64 v[35:36], v[5:6], v[31:32], v[35:36]
	v_fma_f64 v[5:6], v[5:6], v[29:30], v[37:38]
	v_add_u32_e32 v29, 12, v34
	v_ashrrev_i32_e32 v30, 31, v29
	v_lshlrev_b64 v[29:30], 4, v[29:30]
	v_fma_f64 v[37:38], v[3:4], -v[31:32], v[5:6]
	v_add_u32_e32 v3, 12, v33
	v_ashrrev_i32_e32 v4, 31, v3
	v_lshlrev_b64 v[3:4], 4, v[3:4]
	v_mov_b32_e32 v5, s21
	v_add_co_u32_e32 v3, vcc, s20, v3
	;; [unrolled: 20-line block ×4, first 2 shown]
	v_addc_co_u32_e32 v4, vcc, v5, v4, vcc
	v_add_co_u32_e32 v29, vcc, s20, v29
	v_mov_b32_e32 v31, s21
	v_addc_co_u32_e32 v30, vcc, v31, v30, vcc
	global_load_dwordx4 v[3:6], v[3:4], off
	s_nop 0
	global_load_dwordx4 v[29:32], v[29:30], off
	s_waitcnt vmcnt(0)
	v_fma_f64 v[35:36], v[3:4], v[29:30], v[35:36]
	v_fma_f64 v[39:40], v[5:6], v[31:32], v[35:36]
	;; [unrolled: 1-line block ×3, first 2 shown]
	v_mov_b32_e32 v29, s21
	v_fma_f64 v[5:6], v[3:4], -v[31:32], v[5:6]
	v_add_u32_e32 v3, 30, v33
	v_ashrrev_i32_e32 v4, 31, v3
	v_lshlrev_b64 v[3:4], 4, v[3:4]
	v_mov_b32_e32 v33, s21
	v_add_co_u32_e32 v3, vcc, s20, v3
	v_addc_co_u32_e32 v4, vcc, v29, v4, vcc
	global_load_dwordx4 v[29:32], v[3:4], off
	v_add_u32_e32 v3, 30, v34
	v_ashrrev_i32_e32 v4, 31, v3
	v_lshlrev_b64 v[3:4], 4, v[3:4]
	v_add_co_u32_e32 v3, vcc, s20, v3
	v_addc_co_u32_e32 v4, vcc, v33, v4, vcc
	global_load_dwordx4 v[33:36], v[3:4], off
	s_waitcnt vmcnt(0)
	v_fma_f64 v[3:4], v[29:30], v[33:34], v[39:40]
	v_fma_f64 v[5:6], v[31:32], v[33:34], v[5:6]
	;; [unrolled: 1-line block ×3, first 2 shown]
	v_fma_f64 v[5:6], v[29:30], -v[35:36], v[5:6]
	s_cbranch_execz .LBB64_29
.LBB64_27:                              ;   in Loop: Header=BB64_25 Depth=2
	s_add_i32 s24, s24, -1
	s_add_i32 s25, s25, 4
	s_cmp_eq_u32 s24, 0
	s_cbranch_scc0 .LBB64_30
	s_branch .LBB64_31
.LBB64_28:                              ;   in Loop: Header=BB64_25 Depth=2
	s_andn2_b64 vcc, exec, s[2:3]
	s_cbranch_vccnz .LBB64_27
.LBB64_29:                              ;   in Loop: Header=BB64_25 Depth=2
	s_waitcnt lgkmcnt(0)
	v_add_u32_e32 v3, v14, v21
	v_ashrrev_i32_e32 v4, 31, v3
	v_lshlrev_b64 v[3:4], 4, v[3:4]
	v_mov_b32_e32 v5, s21
	v_add_co_u32_e32 v49, vcc, s20, v3
	v_add_u32_e32 v3, v15, v20
	v_addc_co_u32_e32 v50, vcc, v5, v4, vcc
	v_ashrrev_i32_e32 v4, 31, v3
	v_lshlrev_b64 v[3:4], 4, v[3:4]
	v_add_co_u32_e32 v14, vcc, s20, v3
	v_addc_co_u32_e32 v15, vcc, v5, v4, vcc
	global_load_dwordx4 v[3:6], v[14:15], off
	global_load_dwordx4 v[29:32], v[49:50], off
	global_load_dwordx4 v[33:36], v[49:50], off offset:16
	global_load_dwordx4 v[37:40], v[14:15], off offset:16
	;; [unrolled: 1-line block ×4, first 2 shown]
	s_waitcnt vmcnt(4)
	v_fma_f64 v[12:13], v[29:30], v[3:4], v[12:13]
	v_fma_f64 v[3:4], v[31:32], v[3:4], v[10:11]
	;; [unrolled: 1-line block ×3, first 2 shown]
	v_fma_f64 v[29:30], v[29:30], -v[5:6], v[3:4]
	global_load_dwordx4 v[3:6], v[49:50], off offset:48
	global_load_dwordx4 v[10:13], v[14:15], off offset:48
	s_waitcnt vmcnt(4)
	v_fma_f64 v[31:32], v[33:34], v[37:38], v[31:32]
	v_fma_f64 v[29:30], v[35:36], v[37:38], v[29:30]
	v_fma_f64 v[37:38], v[35:36], v[39:40], v[31:32]
	v_fma_f64 v[39:40], v[33:34], -v[39:40], v[29:30]
	global_load_dwordx4 v[29:32], v[49:50], off offset:64
	global_load_dwordx4 v[33:36], v[14:15], off offset:64
	s_waitcnt vmcnt(4)
	v_fma_f64 v[51:52], v[41:42], v[45:46], v[37:38]
	v_fma_f64 v[45:46], v[43:44], v[45:46], v[39:40]
	global_load_dwordx4 v[37:40], v[49:50], off offset:80
	v_fma_f64 v[49:50], v[43:44], v[47:48], v[51:52]
	v_fma_f64 v[45:46], v[41:42], -v[47:48], v[45:46]
	global_load_dwordx4 v[41:44], v[14:15], off offset:80
	s_waitcnt vmcnt(4)
	v_fma_f64 v[14:15], v[3:4], v[10:11], v[49:50]
	v_fma_f64 v[10:11], v[5:6], v[10:11], v[45:46]
	v_fma_f64 v[5:6], v[5:6], v[12:13], v[14:15]
	v_fma_f64 v[3:4], v[3:4], -v[12:13], v[10:11]
	s_waitcnt vmcnt(2)
	v_fma_f64 v[5:6], v[29:30], v[33:34], v[5:6]
	v_fma_f64 v[3:4], v[31:32], v[33:34], v[3:4]
	v_fma_f64 v[5:6], v[31:32], v[35:36], v[5:6]
	v_fma_f64 v[3:4], v[29:30], -v[35:36], v[3:4]
	;; [unrolled: 5-line block ×3, first 2 shown]
	s_add_i32 s24, s24, -1
	s_add_i32 s25, s25, 4
	s_cmp_eq_u32 s24, 0
	s_cbranch_scc1 .LBB64_31
.LBB64_30:                              ;   in Loop: Header=BB64_25 Depth=2
	v_mov_b32_e32 v11, v6
	v_mov_b32_e32 v13, v4
	v_mov_b32_e32 v10, v5
	v_mov_b32_e32 v12, v3
	s_branch .LBB64_25
.LBB64_31:                              ;   in Loop: Header=BB64_8 Depth=1
	ds_write_b128 v26, v[3:6]
	s_waitcnt lgkmcnt(0)
	ds_read_b128 v[10:13], v2
	ds_read_b128 v[3:6], v22
	s_waitcnt lgkmcnt(1)
	v_cmp_neq_f64_e32 vcc, 0, v[10:11]
	v_cmp_neq_f64_e64 s[2:3], 0, v[12:13]
	s_or_b64 vcc, vcc, s[2:3]
	v_cndmask_b32_e32 v11, v28, v11, vcc
	s_nor_b64 s[24:25], vcc, s[0:1]
	v_cndmask_b32_e32 v10, 0, v10, vcc
	v_cndmask_b32_e32 v13, 0, v13, vcc
	;; [unrolled: 1-line block ×3, first 2 shown]
	s_and_saveexec_b64 s[2:3], s[24:25]
	s_cbranch_execz .LBB64_35
; %bb.32:                               ;   in Loop: Header=BB64_8 Depth=1
	v_mbcnt_lo_u32_b32 v10, exec_lo, 0
	v_mbcnt_hi_u32_b32 v10, exec_hi, v10
	v_cmp_eq_u32_e32 vcc, 0, v10
	s_and_saveexec_b64 s[24:25], vcc
	s_cbranch_execz .LBB64_34
; %bb.33:                               ;   in Loop: Header=BB64_8 Depth=1
	v_mov_b32_e32 v10, s23
	global_atomic_smin v2, v10, s[14:15]
.LBB64_34:                              ;   in Loop: Header=BB64_8 Depth=1
	s_or_b64 exec, exec, s[24:25]
	v_mov_b32_e32 v12, 0
	v_mov_b32_e32 v10, 0
	;; [unrolled: 1-line block ×4, first 2 shown]
.LBB64_35:                              ;   in Loop: Header=BB64_8 Depth=1
	s_or_b64 exec, exec, s[2:3]
	v_mul_f64 v[14:15], v[12:13], v[12:13]
	v_fma_f64 v[14:15], v[10:11], v[10:11], v[14:15]
	v_div_scale_f64 v[29:30], s[2:3], v[14:15], v[14:15], 1.0
	v_rcp_f64_e32 v[31:32], v[29:30]
	v_fma_f64 v[33:34], -v[29:30], v[31:32], 1.0
	v_fma_f64 v[31:32], v[31:32], v[33:34], v[31:32]
	v_div_scale_f64 v[33:34], vcc, 1.0, v[14:15], 1.0
	v_fma_f64 v[35:36], -v[29:30], v[31:32], 1.0
	v_fma_f64 v[35:36], v[31:32], v[35:36], v[31:32]
	v_mul_f64 v[37:38], v[33:34], v[35:36]
	v_fma_f64 v[33:34], -v[29:30], v[37:38], v[33:34]
	ds_read_b128 v[29:32], v25
	s_waitcnt lgkmcnt(0)
	v_add_f64 v[5:6], v[5:6], -v[31:32]
	v_add_f64 v[3:4], v[3:4], -v[29:30]
	v_div_fmas_f64 v[31:32], v[33:34], v[35:36], v[37:38]
	v_mul_f64 v[29:30], v[12:13], v[5:6]
	v_mul_f64 v[12:13], v[12:13], -v[3:4]
	v_fma_f64 v[3:4], v[3:4], v[10:11], v[29:30]
	v_fma_f64 v[5:6], v[5:6], v[10:11], v[12:13]
	v_div_fixup_f64 v[14:15], v[31:32], v[14:15], 1.0
	v_mul_f64 v[3:4], v[14:15], v[3:4]
	v_mul_f64 v[5:6], v[14:15], v[5:6]
	ds_write_b128 v22, v[3:6]
	s_waitcnt lgkmcnt(0)
	ds_read_b128 v[10:13], v27
	ds_read_b128 v[29:32], v18
	s_waitcnt lgkmcnt(0)
	v_fma_f64 v[14:15], v[3:4], v[10:11], v[29:30]
	v_fma_f64 v[29:30], v[5:6], v[10:11], v[31:32]
	v_fma_f64 v[10:11], v[5:6], v[12:13], v[14:15]
	v_fma_f64 v[12:13], v[3:4], -v[12:13], v[29:30]
	ds_write_b128 v18, v[10:13]
	s_waitcnt lgkmcnt(0)
	ds_read_b128 v[10:13], v2 offset:128
	ds_read_b128 v[3:6], v22 offset:16
	s_waitcnt lgkmcnt(1)
	v_cmp_neq_f64_e32 vcc, 0, v[10:11]
	v_cmp_neq_f64_e64 s[2:3], 0, v[12:13]
	s_or_b64 vcc, vcc, s[2:3]
	v_cndmask_b32_e32 v11, v28, v11, vcc
	s_nor_b64 s[24:25], vcc, s[0:1]
	v_cndmask_b32_e32 v10, 0, v10, vcc
	v_cndmask_b32_e32 v13, 0, v13, vcc
	;; [unrolled: 1-line block ×3, first 2 shown]
	s_and_saveexec_b64 s[2:3], s[24:25]
	s_cbranch_execz .LBB64_39
; %bb.36:                               ;   in Loop: Header=BB64_8 Depth=1
	v_mbcnt_lo_u32_b32 v10, exec_lo, 0
	v_mbcnt_hi_u32_b32 v10, exec_hi, v10
	v_cmp_eq_u32_e32 vcc, 0, v10
	s_and_saveexec_b64 s[24:25], vcc
	s_cbranch_execz .LBB64_38
; %bb.37:                               ;   in Loop: Header=BB64_8 Depth=1
	v_mov_b32_e32 v10, s23
	global_atomic_smin v2, v10, s[14:15]
.LBB64_38:                              ;   in Loop: Header=BB64_8 Depth=1
	s_or_b64 exec, exec, s[24:25]
	v_mov_b32_e32 v12, 0
	v_mov_b32_e32 v10, 0
	;; [unrolled: 1-line block ×4, first 2 shown]
.LBB64_39:                              ;   in Loop: Header=BB64_8 Depth=1
	s_or_b64 exec, exec, s[2:3]
	v_mul_f64 v[14:15], v[12:13], v[12:13]
	v_fma_f64 v[14:15], v[10:11], v[10:11], v[14:15]
	v_div_scale_f64 v[41:42], s[2:3], v[14:15], v[14:15], 1.0
	v_div_scale_f64 v[43:44], vcc, 1.0, v[14:15], 1.0
	v_rcp_f64_e32 v[29:30], v[41:42]
	v_fma_f64 v[31:32], -v[41:42], v[29:30], 1.0
	v_fma_f64 v[33:34], v[29:30], v[31:32], v[29:30]
	ds_read_b128 v[29:32], v2 offset:112
	v_fma_f64 v[35:36], -v[41:42], v[33:34], 1.0
	v_fma_f64 v[45:46], v[33:34], v[35:36], v[33:34]
	ds_read_b128 v[33:36], v22
	ds_read_b128 v[37:40], v25 offset:16
	s_waitcnt lgkmcnt(0)
	v_fma_f64 v[39:40], v[31:32], v[33:34], v[39:40]
	v_fma_f64 v[33:34], v[29:30], v[33:34], v[37:38]
	v_mul_f64 v[47:48], v[43:44], v[45:46]
	v_fma_f64 v[29:30], v[29:30], -v[35:36], v[39:40]
	v_fma_f64 v[31:32], v[31:32], v[35:36], v[33:34]
	v_fma_f64 v[37:38], -v[41:42], v[47:48], v[43:44]
	v_add_f64 v[5:6], v[5:6], -v[29:30]
	v_add_f64 v[3:4], v[3:4], -v[31:32]
	v_div_fmas_f64 v[29:30], v[37:38], v[45:46], v[47:48]
	v_mul_f64 v[31:32], v[12:13], v[5:6]
	v_mul_f64 v[12:13], v[12:13], -v[3:4]
	v_fma_f64 v[3:4], v[3:4], v[10:11], v[31:32]
	v_fma_f64 v[5:6], v[5:6], v[10:11], v[12:13]
	v_div_fixup_f64 v[14:15], v[29:30], v[14:15], 1.0
	v_mul_f64 v[3:4], v[14:15], v[3:4]
	v_mul_f64 v[5:6], v[14:15], v[5:6]
	ds_write_b128 v22, v[3:6] offset:16
	s_waitcnt lgkmcnt(0)
	ds_read_b128 v[10:13], v27 offset:16
	ds_read_b128 v[29:32], v18
	s_waitcnt lgkmcnt(0)
	v_fma_f64 v[14:15], v[3:4], v[10:11], v[29:30]
	v_fma_f64 v[29:30], v[5:6], v[10:11], v[31:32]
	;; [unrolled: 1-line block ×3, first 2 shown]
	v_fma_f64 v[12:13], v[3:4], -v[12:13], v[29:30]
	ds_write_b128 v18, v[10:13]
	s_waitcnt lgkmcnt(0)
	ds_read_b128 v[10:13], v2 offset:256
	ds_read_b128 v[3:6], v22 offset:32
	s_waitcnt lgkmcnt(1)
	v_cmp_neq_f64_e32 vcc, 0, v[10:11]
	v_cmp_neq_f64_e64 s[2:3], 0, v[12:13]
	s_or_b64 vcc, vcc, s[2:3]
	v_cndmask_b32_e32 v11, v28, v11, vcc
	s_nor_b64 s[24:25], vcc, s[0:1]
	v_cndmask_b32_e32 v10, 0, v10, vcc
	v_cndmask_b32_e32 v13, 0, v13, vcc
	;; [unrolled: 1-line block ×3, first 2 shown]
	s_and_saveexec_b64 s[2:3], s[24:25]
	s_cbranch_execz .LBB64_43
; %bb.40:                               ;   in Loop: Header=BB64_8 Depth=1
	v_mbcnt_lo_u32_b32 v10, exec_lo, 0
	v_mbcnt_hi_u32_b32 v10, exec_hi, v10
	v_cmp_eq_u32_e32 vcc, 0, v10
	s_and_saveexec_b64 s[24:25], vcc
	s_cbranch_execz .LBB64_42
; %bb.41:                               ;   in Loop: Header=BB64_8 Depth=1
	v_mov_b32_e32 v10, s23
	global_atomic_smin v2, v10, s[14:15]
.LBB64_42:                              ;   in Loop: Header=BB64_8 Depth=1
	s_or_b64 exec, exec, s[24:25]
	v_mov_b32_e32 v12, 0
	v_mov_b32_e32 v10, 0
	;; [unrolled: 1-line block ×4, first 2 shown]
.LBB64_43:                              ;   in Loop: Header=BB64_8 Depth=1
	s_or_b64 exec, exec, s[2:3]
	v_mul_f64 v[14:15], v[12:13], v[12:13]
	ds_read_b128 v[29:32], v2 offset:224
	ds_read_b128 v[33:36], v25 offset:32
	v_fma_f64 v[14:15], v[10:11], v[10:11], v[14:15]
	v_div_scale_f64 v[45:46], s[2:3], v[14:15], v[14:15], 1.0
	v_div_scale_f64 v[49:50], vcc, 1.0, v[14:15], 1.0
	v_rcp_f64_e32 v[37:38], v[45:46]
	v_fma_f64 v[39:40], -v[45:46], v[37:38], 1.0
	v_fma_f64 v[47:48], v[37:38], v[39:40], v[37:38]
	ds_read_b128 v[37:40], v22
	ds_read_b128 v[41:44], v22 offset:16
	s_waitcnt lgkmcnt(1)
	v_fma_f64 v[35:36], v[31:32], v[37:38], v[35:36]
	v_fma_f64 v[37:38], v[29:30], v[37:38], v[33:34]
	v_fma_f64 v[51:52], -v[45:46], v[47:48], 1.0
	v_fma_f64 v[29:30], v[29:30], -v[39:40], v[35:36]
	v_fma_f64 v[31:32], v[31:32], v[39:40], v[37:38]
	ds_read_b128 v[33:36], v2 offset:240
	v_fma_f64 v[47:48], v[47:48], v[51:52], v[47:48]
	s_waitcnt lgkmcnt(0)
	v_fma_f64 v[29:30], v[35:36], v[41:42], v[29:30]
	v_fma_f64 v[31:32], v[33:34], v[41:42], v[31:32]
	v_mul_f64 v[37:38], v[49:50], v[47:48]
	v_fma_f64 v[29:30], v[33:34], -v[43:44], v[29:30]
	v_fma_f64 v[31:32], v[35:36], v[43:44], v[31:32]
	v_fma_f64 v[33:34], -v[45:46], v[37:38], v[49:50]
	v_add_f64 v[5:6], v[5:6], -v[29:30]
	v_add_f64 v[3:4], v[3:4], -v[31:32]
	v_div_fmas_f64 v[29:30], v[33:34], v[47:48], v[37:38]
	v_mul_f64 v[31:32], v[12:13], v[5:6]
	v_mul_f64 v[12:13], v[12:13], -v[3:4]
	v_fma_f64 v[3:4], v[3:4], v[10:11], v[31:32]
	v_fma_f64 v[5:6], v[5:6], v[10:11], v[12:13]
	v_div_fixup_f64 v[14:15], v[29:30], v[14:15], 1.0
	v_mul_f64 v[3:4], v[14:15], v[3:4]
	v_mul_f64 v[5:6], v[14:15], v[5:6]
	ds_write_b128 v22, v[3:6] offset:32
	s_waitcnt lgkmcnt(0)
	ds_read_b128 v[10:13], v27 offset:32
	ds_read_b128 v[29:32], v18
	s_waitcnt lgkmcnt(0)
	v_fma_f64 v[14:15], v[3:4], v[10:11], v[29:30]
	v_fma_f64 v[29:30], v[5:6], v[10:11], v[31:32]
	;; [unrolled: 1-line block ×3, first 2 shown]
	v_fma_f64 v[12:13], v[3:4], -v[12:13], v[29:30]
	ds_write_b128 v18, v[10:13]
	s_waitcnt lgkmcnt(0)
	ds_read_b128 v[10:13], v2 offset:384
	ds_read_b128 v[3:6], v22 offset:48
	s_waitcnt lgkmcnt(1)
	v_cmp_neq_f64_e32 vcc, 0, v[10:11]
	v_cmp_neq_f64_e64 s[2:3], 0, v[12:13]
	s_or_b64 vcc, vcc, s[2:3]
	v_cndmask_b32_e32 v11, v28, v11, vcc
	s_nor_b64 s[24:25], vcc, s[0:1]
	v_cndmask_b32_e32 v10, 0, v10, vcc
	v_cndmask_b32_e32 v13, 0, v13, vcc
	v_cndmask_b32_e32 v12, 0, v12, vcc
	s_and_saveexec_b64 s[2:3], s[24:25]
	s_cbranch_execz .LBB64_47
; %bb.44:                               ;   in Loop: Header=BB64_8 Depth=1
	v_mbcnt_lo_u32_b32 v10, exec_lo, 0
	v_mbcnt_hi_u32_b32 v10, exec_hi, v10
	v_cmp_eq_u32_e32 vcc, 0, v10
	s_and_saveexec_b64 s[24:25], vcc
	s_cbranch_execz .LBB64_46
; %bb.45:                               ;   in Loop: Header=BB64_8 Depth=1
	v_mov_b32_e32 v10, s23
	global_atomic_smin v2, v10, s[14:15]
.LBB64_46:                              ;   in Loop: Header=BB64_8 Depth=1
	s_or_b64 exec, exec, s[24:25]
	v_mov_b32_e32 v12, 0
	v_mov_b32_e32 v10, 0
	;; [unrolled: 1-line block ×4, first 2 shown]
.LBB64_47:                              ;   in Loop: Header=BB64_8 Depth=1
	s_or_b64 exec, exec, s[2:3]
	v_mul_f64 v[14:15], v[12:13], v[12:13]
	ds_read_b128 v[29:32], v22
	ds_read_b128 v[33:36], v25 offset:48
	ds_read_b128 v[37:40], v2 offset:336
	;; [unrolled: 1-line block ×4, first 2 shown]
	s_waitcnt lgkmcnt(2)
	v_fma_f64 v[35:36], v[39:40], v[29:30], v[35:36]
	v_fma_f64 v[29:30], v[37:38], v[29:30], v[33:34]
	;; [unrolled: 1-line block ×3, first 2 shown]
	v_fma_f64 v[33:34], v[37:38], -v[31:32], v[35:36]
	v_fma_f64 v[29:30], v[39:40], v[31:32], v[29:30]
	v_div_scale_f64 v[49:50], s[2:3], v[14:15], v[14:15], 1.0
	v_div_scale_f64 v[39:40], vcc, 1.0, v[14:15], 1.0
	s_waitcnt lgkmcnt(0)
	v_fma_f64 v[33:34], v[43:44], v[45:46], v[33:34]
	v_fma_f64 v[45:46], v[41:42], v[45:46], v[29:30]
	ds_read_b128 v[29:32], v22 offset:32
	v_fma_f64 v[41:42], v[41:42], -v[47:48], v[33:34]
	v_fma_f64 v[43:44], v[43:44], v[47:48], v[45:46]
	ds_read_b128 v[33:36], v2 offset:368
	v_rcp_f64_e32 v[51:52], v[49:50]
	s_waitcnt lgkmcnt(0)
	v_fma_f64 v[41:42], v[35:36], v[29:30], v[41:42]
	v_fma_f64 v[29:30], v[33:34], v[29:30], v[43:44]
	v_fma_f64 v[33:34], v[33:34], -v[31:32], v[41:42]
	v_fma_f64 v[29:30], v[35:36], v[31:32], v[29:30]
	v_fma_f64 v[53:54], -v[49:50], v[51:52], 1.0
	v_add_f64 v[5:6], v[5:6], -v[33:34]
	v_add_f64 v[3:4], v[3:4], -v[29:30]
	v_fma_f64 v[37:38], v[51:52], v[53:54], v[51:52]
	v_mul_f64 v[29:30], v[12:13], v[5:6]
	v_mul_f64 v[12:13], v[12:13], -v[3:4]
	v_fma_f64 v[51:52], -v[49:50], v[37:38], 1.0
	v_fma_f64 v[3:4], v[3:4], v[10:11], v[29:30]
	v_fma_f64 v[5:6], v[5:6], v[10:11], v[12:13]
	;; [unrolled: 1-line block ×3, first 2 shown]
	v_mul_f64 v[45:46], v[39:40], v[37:38]
	v_fma_f64 v[39:40], -v[49:50], v[45:46], v[39:40]
	v_div_fmas_f64 v[31:32], v[39:40], v[37:38], v[45:46]
	v_div_fixup_f64 v[14:15], v[31:32], v[14:15], 1.0
	v_mul_f64 v[3:4], v[14:15], v[3:4]
	v_mul_f64 v[5:6], v[14:15], v[5:6]
	ds_write_b128 v22, v[3:6] offset:48
	s_waitcnt lgkmcnt(0)
	ds_read_b128 v[10:13], v27 offset:48
	ds_read_b128 v[29:32], v18
	s_waitcnt lgkmcnt(0)
	v_fma_f64 v[14:15], v[3:4], v[10:11], v[29:30]
	v_fma_f64 v[29:30], v[5:6], v[10:11], v[31:32]
	;; [unrolled: 1-line block ×3, first 2 shown]
	v_fma_f64 v[12:13], v[3:4], -v[12:13], v[29:30]
	ds_write_b128 v18, v[10:13]
	s_waitcnt lgkmcnt(0)
	ds_read_b128 v[10:13], v2 offset:512
	ds_read_b128 v[3:6], v22 offset:64
	s_waitcnt lgkmcnt(1)
	v_cmp_neq_f64_e32 vcc, 0, v[10:11]
	v_cmp_neq_f64_e64 s[2:3], 0, v[12:13]
	s_or_b64 vcc, vcc, s[2:3]
	v_cndmask_b32_e32 v11, v28, v11, vcc
	s_nor_b64 s[24:25], vcc, s[0:1]
	v_cndmask_b32_e32 v10, 0, v10, vcc
	v_cndmask_b32_e32 v13, 0, v13, vcc
	;; [unrolled: 1-line block ×3, first 2 shown]
	s_and_saveexec_b64 s[2:3], s[24:25]
	s_cbranch_execz .LBB64_51
; %bb.48:                               ;   in Loop: Header=BB64_8 Depth=1
	v_mbcnt_lo_u32_b32 v10, exec_lo, 0
	v_mbcnt_hi_u32_b32 v10, exec_hi, v10
	v_cmp_eq_u32_e32 vcc, 0, v10
	s_and_saveexec_b64 s[24:25], vcc
	s_cbranch_execz .LBB64_50
; %bb.49:                               ;   in Loop: Header=BB64_8 Depth=1
	v_mov_b32_e32 v10, s23
	global_atomic_smin v2, v10, s[14:15]
.LBB64_50:                              ;   in Loop: Header=BB64_8 Depth=1
	s_or_b64 exec, exec, s[24:25]
	v_mov_b32_e32 v12, 0
	v_mov_b32_e32 v10, 0
	;; [unrolled: 1-line block ×4, first 2 shown]
.LBB64_51:                              ;   in Loop: Header=BB64_8 Depth=1
	s_or_b64 exec, exec, s[2:3]
	v_mul_f64 v[14:15], v[12:13], v[12:13]
	ds_read_b128 v[29:32], v2 offset:448
	ds_read_b128 v[33:36], v25 offset:64
	ds_read_b128 v[37:40], v22
	ds_read_b128 v[41:44], v22 offset:16
	s_waitcnt lgkmcnt(1)
	v_fma_f64 v[35:36], v[31:32], v[37:38], v[35:36]
	v_fma_f64 v[37:38], v[29:30], v[37:38], v[33:34]
	;; [unrolled: 1-line block ×3, first 2 shown]
	v_fma_f64 v[49:50], v[29:30], -v[39:40], v[35:36]
	v_fma_f64 v[37:38], v[31:32], v[39:40], v[37:38]
	ds_read_b128 v[33:36], v2 offset:464
	ds_read_b128 v[29:32], v2 offset:480
	v_div_scale_f64 v[45:46], s[2:3], v[14:15], v[14:15], 1.0
	s_waitcnt lgkmcnt(1)
	v_fma_f64 v[39:40], v[35:36], v[41:42], v[49:50]
	v_fma_f64 v[41:42], v[33:34], v[41:42], v[37:38]
	v_fma_f64 v[51:52], v[33:34], -v[43:44], v[39:40]
	v_fma_f64 v[41:42], v[35:36], v[43:44], v[41:42]
	ds_read_b128 v[37:40], v22 offset:32
	ds_read_b128 v[33:36], v22 offset:48
	v_rcp_f64_e32 v[47:48], v[45:46]
	s_waitcnt lgkmcnt(1)
	v_fma_f64 v[43:44], v[31:32], v[37:38], v[51:52]
	v_fma_f64 v[37:38], v[29:30], v[37:38], v[41:42]
	v_fma_f64 v[29:30], v[29:30], -v[39:40], v[43:44]
	v_fma_f64 v[31:32], v[31:32], v[39:40], v[37:38]
	ds_read_b128 v[41:44], v2 offset:496
	v_fma_f64 v[49:50], -v[45:46], v[47:48], 1.0
	s_waitcnt lgkmcnt(0)
	v_fma_f64 v[29:30], v[43:44], v[33:34], v[29:30]
	v_fma_f64 v[31:32], v[41:42], v[33:34], v[31:32]
	;; [unrolled: 1-line block ×3, first 2 shown]
	v_div_scale_f64 v[49:50], vcc, 1.0, v[14:15], 1.0
	v_fma_f64 v[29:30], v[41:42], -v[35:36], v[29:30]
	v_fma_f64 v[31:32], v[43:44], v[35:36], v[31:32]
	v_fma_f64 v[51:52], -v[45:46], v[47:48], 1.0
	v_add_f64 v[5:6], v[5:6], -v[29:30]
	v_add_f64 v[3:4], v[3:4], -v[31:32]
	v_fma_f64 v[47:48], v[47:48], v[51:52], v[47:48]
	v_mul_f64 v[31:32], v[12:13], v[5:6]
	v_mul_f64 v[12:13], v[12:13], -v[3:4]
	v_mul_f64 v[37:38], v[49:50], v[47:48]
	v_fma_f64 v[3:4], v[3:4], v[10:11], v[31:32]
	v_fma_f64 v[5:6], v[5:6], v[10:11], v[12:13]
	v_fma_f64 v[33:34], -v[45:46], v[37:38], v[49:50]
	v_div_fmas_f64 v[29:30], v[33:34], v[47:48], v[37:38]
	v_div_fixup_f64 v[14:15], v[29:30], v[14:15], 1.0
	v_mul_f64 v[3:4], v[14:15], v[3:4]
	v_mul_f64 v[5:6], v[14:15], v[5:6]
	ds_write_b128 v22, v[3:6] offset:64
	s_waitcnt lgkmcnt(0)
	ds_read_b128 v[10:13], v27 offset:64
	ds_read_b128 v[29:32], v18
	s_waitcnt lgkmcnt(0)
	v_fma_f64 v[14:15], v[3:4], v[10:11], v[29:30]
	v_fma_f64 v[29:30], v[5:6], v[10:11], v[31:32]
	;; [unrolled: 1-line block ×3, first 2 shown]
	v_fma_f64 v[12:13], v[3:4], -v[12:13], v[29:30]
	ds_write_b128 v18, v[10:13]
	s_waitcnt lgkmcnt(0)
	ds_read_b128 v[10:13], v2 offset:640
	ds_read_b128 v[3:6], v22 offset:80
	s_waitcnt lgkmcnt(1)
	v_cmp_neq_f64_e32 vcc, 0, v[10:11]
	v_cmp_neq_f64_e64 s[2:3], 0, v[12:13]
	s_or_b64 vcc, vcc, s[2:3]
	v_cndmask_b32_e32 v11, v28, v11, vcc
	s_nor_b64 s[24:25], vcc, s[0:1]
	v_cndmask_b32_e32 v10, 0, v10, vcc
	v_cndmask_b32_e32 v13, 0, v13, vcc
	;; [unrolled: 1-line block ×3, first 2 shown]
	s_and_saveexec_b64 s[2:3], s[24:25]
	s_cbranch_execz .LBB64_7
; %bb.52:                               ;   in Loop: Header=BB64_8 Depth=1
	v_mbcnt_lo_u32_b32 v10, exec_lo, 0
	v_mbcnt_hi_u32_b32 v10, exec_hi, v10
	v_cmp_eq_u32_e32 vcc, 0, v10
	s_and_saveexec_b64 s[24:25], vcc
	s_cbranch_execz .LBB64_6
; %bb.53:                               ;   in Loop: Header=BB64_8 Depth=1
	v_mov_b32_e32 v10, s23
	global_atomic_smin v2, v10, s[14:15]
	s_branch .LBB64_6
.LBB64_54:                              ;   in Loop: Header=BB64_8 Depth=1
                                        ; implicit-def: $sgpr22
	s_cbranch_execz .LBB64_8
.LBB64_55:
	s_cmp_lg_u32 s33, 0
	s_cselect_b64 s[8:9], -1, 0
	s_cmp_eq_u32 s33, 0
	v_mov_b32_e32 v2, v16
	s_cbranch_scc1 .LBB64_57
; %bb.56:
	v_mad_u32_u24 v2, v0, 6, v1
.LBB64_57:
	s_mul_i32 s18, s30, 36
	v_add_u32_e32 v2, s18, v2
	v_ashrrev_i32_e32 v3, 31, v2
	v_lshlrev_b64 v[2:3], 4, v[2:3]
	v_mov_b32_e32 v4, s21
	v_add_co_u32_e32 v2, vcc, s20, v2
	v_addc_co_u32_e32 v3, vcc, v4, v3, vcc
	global_load_dwordx4 v[2:5], v[2:3], off
	s_movk_i32 s0, 0x70
	v_mov_b32_e32 v6, 0x540
	v_mad_u32_u24 v9, v1, s0, v6
	v_cmp_ne_u32_e64 s[2:3], 0, v1
	v_lshl_add_u32 v8, v0, 4, v9
	v_cmp_eq_u32_e32 vcc, 0, v1
	s_waitcnt vmcnt(0)
	ds_write2_b64 v8, v[2:3], v[4:5] offset1:1
	s_waitcnt lgkmcnt(0)
	s_and_saveexec_b64 s[0:1], vcc
	s_cbranch_execz .LBB64_66
; %bb.58:
	v_mov_b32_e32 v6, 0
	ds_read_b128 v[2:5], v6 offset:2016
	ds_read_b128 v[10:13], v6 offset:1344
	s_waitcnt lgkmcnt(0)
	v_add_f64 v[2:3], v[10:11], -v[2:3]
	v_add_f64 v[6:7], v[12:13], -v[4:5]
	v_cmp_gt_f64_e32 vcc, 0, v[2:3]
	v_xor_b32_e32 v4, 0x80000000, v3
	v_xor_b32_e32 v5, 0x80000000, v7
	v_cndmask_b32_e32 v3, v3, v4, vcc
	v_cmp_gt_f64_e32 vcc, 0, v[6:7]
	v_mov_b32_e32 v4, v6
	v_cndmask_b32_e32 v5, v7, v5, vcc
	v_cmp_ngt_f64_e32 vcc, v[2:3], v[4:5]
	s_cbranch_vccz .LBB64_63
; %bb.59:
	v_cmp_eq_f64_e32 vcc, 0, v[6:7]
	s_mov_b64 s[4:5], 0
	s_cbranch_vccnz .LBB64_146
; %bb.60:
	v_div_scale_f64 v[6:7], s[16:17], v[4:5], v[4:5], v[2:3]
	s_mov_b32 s16, 0
	s_brev_b32 s17, 8
	v_rcp_f64_e32 v[10:11], v[6:7]
	v_fma_f64 v[12:13], -v[6:7], v[10:11], 1.0
	v_fma_f64 v[10:11], v[10:11], v[12:13], v[10:11]
	v_div_scale_f64 v[12:13], vcc, v[2:3], v[4:5], v[2:3]
	v_fma_f64 v[14:15], -v[6:7], v[10:11], 1.0
	v_fma_f64 v[10:11], v[10:11], v[14:15], v[10:11]
	v_mul_f64 v[14:15], v[12:13], v[10:11]
	v_fma_f64 v[6:7], -v[6:7], v[14:15], v[12:13]
	v_div_fmas_f64 v[6:7], v[6:7], v[10:11], v[14:15]
	v_div_fixup_f64 v[6:7], v[6:7], v[4:5], v[2:3]
	v_fma_f64 v[6:7], v[6:7], v[6:7], 1.0
	v_cmp_gt_f64_e32 vcc, s[16:17], v[6:7]
	s_and_b64 s[16:17], vcc, exec
	s_cselect_b32 s16, 0x100, 0
	v_ldexp_f64 v[6:7], v[6:7], s16
	s_cselect_b32 s16, 0xffffff80, 0
	v_rsq_f64_e32 v[10:11], v[6:7]
	v_mul_f64 v[12:13], v[6:7], v[10:11]
	v_mul_f64 v[10:11], v[10:11], 0.5
	v_fma_f64 v[14:15], -v[10:11], v[12:13], 0.5
	v_fma_f64 v[12:13], v[12:13], v[14:15], v[12:13]
	v_fma_f64 v[10:11], v[10:11], v[14:15], v[10:11]
	v_fma_f64 v[14:15], -v[12:13], v[12:13], v[6:7]
	v_fma_f64 v[12:13], v[14:15], v[10:11], v[12:13]
	v_fma_f64 v[14:15], -v[12:13], v[12:13], v[6:7]
	v_fma_f64 v[10:11], v[14:15], v[10:11], v[12:13]
	v_mov_b32_e32 v12, 0x260
	v_cmp_class_f64_e32 vcc, v[6:7], v12
	v_ldexp_f64 v[10:11], v[10:11], s16
	v_cndmask_b32_e32 v7, v11, v7, vcc
	v_cndmask_b32_e32 v6, v10, v6, vcc
	v_mul_f64 v[6:7], v[4:5], v[6:7]
	s_andn2_b64 vcc, exec, s[4:5]
	s_cbranch_vccz .LBB64_64
	s_branch .LBB64_65
.LBB64_61:
	s_cbranch_execnz .LBB64_140
.LBB64_62:
	s_endpgm
.LBB64_63:
                                        ; implicit-def: $vgpr6_vgpr7
.LBB64_64:
	v_div_scale_f64 v[6:7], s[4:5], v[2:3], v[2:3], v[4:5]
	s_mov_b32 s4, 0
	s_brev_b32 s5, 8
	v_rcp_f64_e32 v[10:11], v[6:7]
	v_fma_f64 v[12:13], -v[6:7], v[10:11], 1.0
	v_fma_f64 v[10:11], v[10:11], v[12:13], v[10:11]
	v_div_scale_f64 v[12:13], vcc, v[4:5], v[2:3], v[4:5]
	v_fma_f64 v[14:15], -v[6:7], v[10:11], 1.0
	v_fma_f64 v[10:11], v[10:11], v[14:15], v[10:11]
	v_mul_f64 v[14:15], v[12:13], v[10:11]
	v_fma_f64 v[6:7], -v[6:7], v[14:15], v[12:13]
	v_div_fmas_f64 v[6:7], v[6:7], v[10:11], v[14:15]
	v_div_fixup_f64 v[4:5], v[6:7], v[2:3], v[4:5]
	v_fma_f64 v[4:5], v[4:5], v[4:5], 1.0
	v_cmp_gt_f64_e32 vcc, s[4:5], v[4:5]
	s_and_b64 s[4:5], vcc, exec
	s_cselect_b32 s4, 0x100, 0
	v_ldexp_f64 v[4:5], v[4:5], s4
	s_cselect_b32 s4, 0xffffff80, 0
	v_rsq_f64_e32 v[6:7], v[4:5]
	v_mul_f64 v[10:11], v[4:5], v[6:7]
	v_mul_f64 v[6:7], v[6:7], 0.5
	v_fma_f64 v[12:13], -v[6:7], v[10:11], 0.5
	v_fma_f64 v[10:11], v[10:11], v[12:13], v[10:11]
	v_fma_f64 v[6:7], v[6:7], v[12:13], v[6:7]
	v_fma_f64 v[12:13], -v[10:11], v[10:11], v[4:5]
	v_fma_f64 v[10:11], v[12:13], v[6:7], v[10:11]
	v_fma_f64 v[12:13], -v[10:11], v[10:11], v[4:5]
	v_fma_f64 v[6:7], v[12:13], v[6:7], v[10:11]
	v_mov_b32_e32 v10, 0x260
	v_cmp_class_f64_e32 vcc, v[4:5], v10
	v_ldexp_f64 v[6:7], v[6:7], s4
	v_cndmask_b32_e32 v5, v7, v5, vcc
	v_cndmask_b32_e32 v4, v6, v4, vcc
	v_mul_f64 v[6:7], v[2:3], v[4:5]
.LBB64_65:
	s_mov_b32 s4, 0
	s_brev_b32 s5, 8
	v_cmp_gt_f64_e32 vcc, s[4:5], v[6:7]
	s_and_b64 s[4:5], vcc, exec
	s_cselect_b32 s4, 0x100, 0
	v_ldexp_f64 v[2:3], v[6:7], s4
	s_cselect_b32 s4, 0xffffff80, 0
	v_rsq_f64_e32 v[4:5], v[2:3]
	v_mul_f64 v[6:7], v[2:3], v[4:5]
	v_mul_f64 v[4:5], v[4:5], 0.5
	v_fma_f64 v[10:11], -v[4:5], v[6:7], 0.5
	v_fma_f64 v[6:7], v[6:7], v[10:11], v[6:7]
	v_fma_f64 v[4:5], v[4:5], v[10:11], v[4:5]
	v_fma_f64 v[10:11], -v[6:7], v[6:7], v[2:3]
	v_fma_f64 v[6:7], v[10:11], v[4:5], v[6:7]
	v_fma_f64 v[10:11], -v[6:7], v[6:7], v[2:3]
	v_fma_f64 v[4:5], v[10:11], v[4:5], v[6:7]
	v_mov_b32_e32 v7, 0x260
	v_cmp_class_f64_e32 vcc, v[2:3], v7
	v_ldexp_f64 v[5:6], v[4:5], s4
	v_mov_b32_e32 v4, 0
	v_cndmask_b32_e32 v3, v6, v3, vcc
	v_cndmask_b32_e32 v2, v5, v2, vcc
	v_mov_b32_e32 v5, v4
	ds_write_b128 v4, v[2:5] offset:1344
.LBB64_66:
	s_or_b64 exec, exec, s[0:1]
	v_mov_b32_e32 v2, 0
	s_waitcnt lgkmcnt(0)
	ds_read_b128 v[2:5], v2 offset:1344
	v_or_b32_e32 v10, v0, v1
	v_mov_b32_e32 v6, 0x3ff00000
	v_cmp_ne_u32_e64 s[0:1], 0, v10
	s_add_i32 s19, s12, s13
	s_waitcnt lgkmcnt(0)
	v_cmp_neq_f64_e32 vcc, 0, v[2:3]
	v_cmp_neq_f64_e64 s[4:5], 0, v[4:5]
	s_or_b64 vcc, vcc, s[4:5]
	v_cndmask_b32_e32 v3, v6, v3, vcc
	s_nor_b64 s[16:17], vcc, s[0:1]
	v_cndmask_b32_e32 v2, 0, v2, vcc
	v_cndmask_b32_e32 v5, 0, v5, vcc
	;; [unrolled: 1-line block ×3, first 2 shown]
	s_and_saveexec_b64 s[4:5], s[16:17]
	s_cbranch_execz .LBB64_70
; %bb.67:
	v_mbcnt_lo_u32_b32 v2, exec_lo, 0
	v_mbcnt_hi_u32_b32 v2, exec_hi, v2
	v_cmp_eq_u32_e32 vcc, 0, v2
	s_and_saveexec_b64 s[16:17], vcc
	s_cbranch_execz .LBB64_69
; %bb.68:
	v_mov_b32_e32 v2, 0
	v_mov_b32_e32 v3, s19
	global_atomic_smin v2, v3, s[14:15]
.LBB64_69:
	s_or_b64 exec, exec, s[16:17]
	v_mov_b32_e32 v4, 0
	v_mov_b32_e32 v2, 0
	;; [unrolled: 1-line block ×4, first 2 shown]
.LBB64_70:
	s_or_b64 exec, exec, s[4:5]
	s_movk_i32 s4, 0x70
	v_mov_b32_e32 v6, 0x540
	v_mad_u32_u24 v11, v0, s4, v6
	s_and_saveexec_b64 s[4:5], s[2:3]
	s_cbranch_execz .LBB64_72
; %bb.71:
	v_mul_f64 v[6:7], v[4:5], v[4:5]
	v_fma_f64 v[6:7], v[2:3], v[2:3], v[6:7]
	v_div_scale_f64 v[12:13], s[2:3], v[6:7], v[6:7], 1.0
	v_rcp_f64_e32 v[14:15], v[12:13]
	v_fma_f64 v[20:21], -v[12:13], v[14:15], 1.0
	v_fma_f64 v[14:15], v[14:15], v[20:21], v[14:15]
	v_div_scale_f64 v[20:21], vcc, 1.0, v[6:7], 1.0
	v_fma_f64 v[22:23], -v[12:13], v[14:15], 1.0
	v_fma_f64 v[24:25], v[14:15], v[22:23], v[14:15]
	v_mul_f64 v[26:27], v[20:21], v[24:25]
	v_fma_f64 v[28:29], -v[12:13], v[26:27], v[20:21]
	ds_read_b128 v[12:15], v9
	ds_read_b128 v[20:23], v19
	s_waitcnt lgkmcnt(0)
	v_add_f64 v[14:15], v[14:15], -v[22:23]
	v_add_f64 v[12:13], v[12:13], -v[20:21]
	v_div_fmas_f64 v[22:23], v[28:29], v[24:25], v[26:27]
	v_mul_f64 v[20:21], v[4:5], v[14:15]
	v_mul_f64 v[4:5], v[4:5], -v[12:13]
	v_fma_f64 v[12:13], v[12:13], v[2:3], v[20:21]
	v_fma_f64 v[4:5], v[14:15], v[2:3], v[4:5]
	v_div_fixup_f64 v[6:7], v[22:23], v[6:7], 1.0
	v_mul_f64 v[2:3], v[6:7], v[12:13]
	v_mul_f64 v[4:5], v[6:7], v[4:5]
	ds_write_b128 v9, v[2:5]
	s_waitcnt lgkmcnt(0)
	ds_read_b128 v[12:15], v11
	ds_read_b128 v[20:23], v18
	s_waitcnt lgkmcnt(0)
	v_fma_f64 v[6:7], v[2:3], v[12:13], v[20:21]
	v_fma_f64 v[12:13], v[4:5], v[12:13], v[22:23]
	;; [unrolled: 1-line block ×3, first 2 shown]
	v_fma_f64 v[6:7], v[2:3], -v[14:15], v[12:13]
	ds_write_b128 v18, v[4:7]
.LBB64_72:
	s_or_b64 exec, exec, s[4:5]
	v_cmp_eq_u32_e32 vcc, 1, v1
	s_waitcnt lgkmcnt(0)
	s_and_saveexec_b64 s[2:3], vcc
	s_cbranch_execz .LBB64_79
; %bb.73:
	v_mov_b32_e32 v6, 0
	ds_read_b128 v[2:5], v6 offset:2144
	ds_read_b128 v[12:15], v6 offset:1472
	s_waitcnt lgkmcnt(0)
	v_add_f64 v[2:3], v[12:13], -v[2:3]
	v_add_f64 v[6:7], v[14:15], -v[4:5]
	v_cmp_gt_f64_e32 vcc, 0, v[2:3]
	v_xor_b32_e32 v4, 0x80000000, v3
	v_xor_b32_e32 v5, 0x80000000, v7
	v_cndmask_b32_e32 v3, v3, v4, vcc
	v_cmp_gt_f64_e32 vcc, 0, v[6:7]
	v_mov_b32_e32 v4, v6
	v_cndmask_b32_e32 v5, v7, v5, vcc
	v_cmp_gt_f64_e32 vcc, v[2:3], v[4:5]
	s_cbranch_vccnz .LBB64_76
; %bb.74:
	v_cmp_eq_f64_e32 vcc, 0, v[6:7]
	s_mov_b64 s[4:5], 0
	s_cbranch_vccnz .LBB64_147
; %bb.75:
	v_div_scale_f64 v[6:7], s[16:17], v[4:5], v[4:5], v[2:3]
	s_mov_b32 s16, 0
	s_brev_b32 s17, 8
	v_rcp_f64_e32 v[12:13], v[6:7]
	v_fma_f64 v[14:15], -v[6:7], v[12:13], 1.0
	v_fma_f64 v[12:13], v[12:13], v[14:15], v[12:13]
	v_div_scale_f64 v[14:15], vcc, v[2:3], v[4:5], v[2:3]
	v_fma_f64 v[20:21], -v[6:7], v[12:13], 1.0
	v_fma_f64 v[12:13], v[12:13], v[20:21], v[12:13]
	v_mul_f64 v[20:21], v[14:15], v[12:13]
	v_fma_f64 v[6:7], -v[6:7], v[20:21], v[14:15]
	v_div_fmas_f64 v[6:7], v[6:7], v[12:13], v[20:21]
	v_div_fixup_f64 v[6:7], v[6:7], v[4:5], v[2:3]
	v_fma_f64 v[6:7], v[6:7], v[6:7], 1.0
	v_cmp_gt_f64_e32 vcc, s[16:17], v[6:7]
	s_and_b64 s[16:17], vcc, exec
	s_cselect_b32 s16, 0x100, 0
	v_ldexp_f64 v[6:7], v[6:7], s16
	s_cselect_b32 s16, 0xffffff80, 0
	v_rsq_f64_e32 v[12:13], v[6:7]
	v_mul_f64 v[14:15], v[6:7], v[12:13]
	v_mul_f64 v[12:13], v[12:13], 0.5
	v_fma_f64 v[20:21], -v[12:13], v[14:15], 0.5
	v_fma_f64 v[14:15], v[14:15], v[20:21], v[14:15]
	v_fma_f64 v[12:13], v[12:13], v[20:21], v[12:13]
	v_fma_f64 v[20:21], -v[14:15], v[14:15], v[6:7]
	v_fma_f64 v[14:15], v[20:21], v[12:13], v[14:15]
	v_fma_f64 v[20:21], -v[14:15], v[14:15], v[6:7]
	v_fma_f64 v[12:13], v[20:21], v[12:13], v[14:15]
	v_mov_b32_e32 v14, 0x260
	v_cmp_class_f64_e32 vcc, v[6:7], v14
	v_ldexp_f64 v[12:13], v[12:13], s16
	v_cndmask_b32_e32 v7, v13, v7, vcc
	v_cndmask_b32_e32 v6, v12, v6, vcc
	v_mul_f64 v[6:7], v[4:5], v[6:7]
	s_andn2_b64 vcc, exec, s[4:5]
	s_cbranch_vccz .LBB64_77
	s_branch .LBB64_78
.LBB64_76:
                                        ; implicit-def: $vgpr6_vgpr7
.LBB64_77:
	v_div_scale_f64 v[6:7], s[4:5], v[2:3], v[2:3], v[4:5]
	s_mov_b32 s4, 0
	s_brev_b32 s5, 8
	v_rcp_f64_e32 v[12:13], v[6:7]
	v_fma_f64 v[14:15], -v[6:7], v[12:13], 1.0
	v_fma_f64 v[12:13], v[12:13], v[14:15], v[12:13]
	v_div_scale_f64 v[14:15], vcc, v[4:5], v[2:3], v[4:5]
	v_fma_f64 v[20:21], -v[6:7], v[12:13], 1.0
	v_fma_f64 v[12:13], v[12:13], v[20:21], v[12:13]
	v_mul_f64 v[20:21], v[14:15], v[12:13]
	v_fma_f64 v[6:7], -v[6:7], v[20:21], v[14:15]
	v_div_fmas_f64 v[6:7], v[6:7], v[12:13], v[20:21]
	v_div_fixup_f64 v[4:5], v[6:7], v[2:3], v[4:5]
	v_fma_f64 v[4:5], v[4:5], v[4:5], 1.0
	v_cmp_gt_f64_e32 vcc, s[4:5], v[4:5]
	s_and_b64 s[4:5], vcc, exec
	s_cselect_b32 s4, 0x100, 0
	v_ldexp_f64 v[4:5], v[4:5], s4
	s_cselect_b32 s4, 0xffffff80, 0
	v_rsq_f64_e32 v[6:7], v[4:5]
	v_mul_f64 v[12:13], v[4:5], v[6:7]
	v_mul_f64 v[6:7], v[6:7], 0.5
	v_fma_f64 v[14:15], -v[6:7], v[12:13], 0.5
	v_fma_f64 v[12:13], v[12:13], v[14:15], v[12:13]
	v_fma_f64 v[6:7], v[6:7], v[14:15], v[6:7]
	v_fma_f64 v[14:15], -v[12:13], v[12:13], v[4:5]
	v_fma_f64 v[12:13], v[14:15], v[6:7], v[12:13]
	v_fma_f64 v[14:15], -v[12:13], v[12:13], v[4:5]
	v_fma_f64 v[6:7], v[14:15], v[6:7], v[12:13]
	v_mov_b32_e32 v12, 0x260
	v_cmp_class_f64_e32 vcc, v[4:5], v12
	v_ldexp_f64 v[6:7], v[6:7], s4
	v_cndmask_b32_e32 v5, v7, v5, vcc
	v_cndmask_b32_e32 v4, v6, v4, vcc
	v_mul_f64 v[6:7], v[2:3], v[4:5]
.LBB64_78:
	s_mov_b32 s4, 0
	s_brev_b32 s5, 8
	v_cmp_gt_f64_e32 vcc, s[4:5], v[6:7]
	s_and_b64 s[4:5], vcc, exec
	s_cselect_b32 s4, 0x100, 0
	v_ldexp_f64 v[2:3], v[6:7], s4
	s_cselect_b32 s4, 0xffffff80, 0
	v_rsq_f64_e32 v[4:5], v[2:3]
	v_mul_f64 v[6:7], v[2:3], v[4:5]
	v_mul_f64 v[4:5], v[4:5], 0.5
	v_fma_f64 v[12:13], -v[4:5], v[6:7], 0.5
	v_fma_f64 v[6:7], v[6:7], v[12:13], v[6:7]
	v_fma_f64 v[4:5], v[4:5], v[12:13], v[4:5]
	v_fma_f64 v[12:13], -v[6:7], v[6:7], v[2:3]
	v_fma_f64 v[6:7], v[12:13], v[4:5], v[6:7]
	v_fma_f64 v[12:13], -v[6:7], v[6:7], v[2:3]
	v_fma_f64 v[4:5], v[12:13], v[4:5], v[6:7]
	v_mov_b32_e32 v7, 0x260
	v_cmp_class_f64_e32 vcc, v[2:3], v7
	v_ldexp_f64 v[5:6], v[4:5], s4
	v_mov_b32_e32 v4, 0
	v_cndmask_b32_e32 v3, v6, v3, vcc
	v_cndmask_b32_e32 v2, v5, v2, vcc
	v_mov_b32_e32 v5, v4
	ds_write_b128 v4, v[2:5] offset:1472
.LBB64_79:
	s_or_b64 exec, exec, s[2:3]
	v_mov_b32_e32 v2, 0
	s_waitcnt lgkmcnt(0)
	ds_read_b128 v[2:5], v2 offset:1472
	v_mov_b32_e32 v6, 0x3ff00000
	s_waitcnt lgkmcnt(0)
	v_cmp_neq_f64_e32 vcc, 0, v[2:3]
	v_cmp_neq_f64_e64 s[2:3], 0, v[4:5]
	s_or_b64 vcc, vcc, s[2:3]
	v_cndmask_b32_e32 v3, v6, v3, vcc
	s_nor_b64 s[4:5], vcc, s[0:1]
	v_cndmask_b32_e32 v2, 0, v2, vcc
	v_cndmask_b32_e32 v5, 0, v5, vcc
	;; [unrolled: 1-line block ×3, first 2 shown]
	s_and_saveexec_b64 s[2:3], s[4:5]
	s_cbranch_execz .LBB64_83
; %bb.80:
	v_mbcnt_lo_u32_b32 v2, exec_lo, 0
	v_mbcnt_hi_u32_b32 v2, exec_hi, v2
	v_cmp_eq_u32_e32 vcc, 0, v2
	s_and_saveexec_b64 s[4:5], vcc
	s_cbranch_execz .LBB64_82
; %bb.81:
	v_mov_b32_e32 v2, 0
	v_mov_b32_e32 v3, s19
	global_atomic_smin v2, v3, s[14:15]
.LBB64_82:
	s_or_b64 exec, exec, s[4:5]
	v_mov_b32_e32 v4, 0
	v_mov_b32_e32 v2, 0
	;; [unrolled: 1-line block ×4, first 2 shown]
.LBB64_83:
	s_or_b64 exec, exec, s[2:3]
	v_cmp_lt_u32_e32 vcc, 1, v1
	s_and_saveexec_b64 s[2:3], vcc
	s_cbranch_execz .LBB64_85
; %bb.84:
	v_mul_f64 v[6:7], v[4:5], v[4:5]
	v_fma_f64 v[6:7], v[2:3], v[2:3], v[6:7]
	v_div_scale_f64 v[12:13], s[4:5], v[6:7], v[6:7], 1.0
	v_rcp_f64_e32 v[14:15], v[12:13]
	v_fma_f64 v[20:21], -v[12:13], v[14:15], 1.0
	v_fma_f64 v[14:15], v[14:15], v[20:21], v[14:15]
	v_div_scale_f64 v[20:21], vcc, 1.0, v[6:7], 1.0
	v_fma_f64 v[22:23], -v[12:13], v[14:15], 1.0
	v_fma_f64 v[24:25], v[14:15], v[22:23], v[14:15]
	v_mul_f64 v[26:27], v[20:21], v[24:25]
	v_fma_f64 v[28:29], -v[12:13], v[26:27], v[20:21]
	ds_read_b128 v[12:15], v9 offset:16
	ds_read_b128 v[20:23], v19 offset:16
	s_waitcnt lgkmcnt(0)
	v_add_f64 v[14:15], v[14:15], -v[22:23]
	v_add_f64 v[12:13], v[12:13], -v[20:21]
	v_div_fmas_f64 v[22:23], v[28:29], v[24:25], v[26:27]
	v_mul_f64 v[20:21], v[4:5], v[14:15]
	v_mul_f64 v[4:5], v[4:5], -v[12:13]
	v_fma_f64 v[12:13], v[12:13], v[2:3], v[20:21]
	v_fma_f64 v[4:5], v[14:15], v[2:3], v[4:5]
	v_div_fixup_f64 v[6:7], v[22:23], v[6:7], 1.0
	v_mul_f64 v[2:3], v[6:7], v[12:13]
	v_mul_f64 v[4:5], v[6:7], v[4:5]
	ds_write_b128 v9, v[2:5] offset:16
	s_waitcnt lgkmcnt(0)
	ds_read_b128 v[12:15], v11 offset:16
	ds_read_b128 v[20:23], v18
	s_waitcnt lgkmcnt(0)
	v_fma_f64 v[6:7], v[2:3], v[12:13], v[20:21]
	v_fma_f64 v[12:13], v[4:5], v[12:13], v[22:23]
	;; [unrolled: 1-line block ×3, first 2 shown]
	v_fma_f64 v[6:7], v[2:3], -v[14:15], v[12:13]
	ds_write_b128 v18, v[4:7]
.LBB64_85:
	s_or_b64 exec, exec, s[2:3]
	v_cmp_eq_u32_e32 vcc, 2, v1
	s_waitcnt lgkmcnt(0)
	s_and_saveexec_b64 s[2:3], vcc
	s_cbranch_execz .LBB64_92
; %bb.86:
	v_mov_b32_e32 v6, 0
	ds_read_b128 v[2:5], v6 offset:2272
	ds_read_b128 v[12:15], v6 offset:1600
	s_waitcnt lgkmcnt(0)
	v_add_f64 v[2:3], v[12:13], -v[2:3]
	v_add_f64 v[6:7], v[14:15], -v[4:5]
	v_cmp_gt_f64_e32 vcc, 0, v[2:3]
	v_xor_b32_e32 v4, 0x80000000, v3
	v_xor_b32_e32 v5, 0x80000000, v7
	v_cndmask_b32_e32 v3, v3, v4, vcc
	v_cmp_gt_f64_e32 vcc, 0, v[6:7]
	v_mov_b32_e32 v4, v6
	v_cndmask_b32_e32 v5, v7, v5, vcc
	v_cmp_gt_f64_e32 vcc, v[2:3], v[4:5]
	s_cbranch_vccnz .LBB64_89
; %bb.87:
	v_cmp_eq_f64_e32 vcc, 0, v[6:7]
	s_mov_b64 s[4:5], 0
	s_cbranch_vccnz .LBB64_148
; %bb.88:
	v_div_scale_f64 v[6:7], s[16:17], v[4:5], v[4:5], v[2:3]
	s_mov_b32 s16, 0
	s_brev_b32 s17, 8
	v_rcp_f64_e32 v[12:13], v[6:7]
	v_fma_f64 v[14:15], -v[6:7], v[12:13], 1.0
	v_fma_f64 v[12:13], v[12:13], v[14:15], v[12:13]
	v_div_scale_f64 v[14:15], vcc, v[2:3], v[4:5], v[2:3]
	v_fma_f64 v[20:21], -v[6:7], v[12:13], 1.0
	v_fma_f64 v[12:13], v[12:13], v[20:21], v[12:13]
	v_mul_f64 v[20:21], v[14:15], v[12:13]
	v_fma_f64 v[6:7], -v[6:7], v[20:21], v[14:15]
	v_div_fmas_f64 v[6:7], v[6:7], v[12:13], v[20:21]
	v_div_fixup_f64 v[6:7], v[6:7], v[4:5], v[2:3]
	v_fma_f64 v[6:7], v[6:7], v[6:7], 1.0
	v_cmp_gt_f64_e32 vcc, s[16:17], v[6:7]
	s_and_b64 s[16:17], vcc, exec
	s_cselect_b32 s16, 0x100, 0
	v_ldexp_f64 v[6:7], v[6:7], s16
	s_cselect_b32 s16, 0xffffff80, 0
	v_rsq_f64_e32 v[12:13], v[6:7]
	v_mul_f64 v[14:15], v[6:7], v[12:13]
	v_mul_f64 v[12:13], v[12:13], 0.5
	v_fma_f64 v[20:21], -v[12:13], v[14:15], 0.5
	v_fma_f64 v[14:15], v[14:15], v[20:21], v[14:15]
	v_fma_f64 v[12:13], v[12:13], v[20:21], v[12:13]
	v_fma_f64 v[20:21], -v[14:15], v[14:15], v[6:7]
	v_fma_f64 v[14:15], v[20:21], v[12:13], v[14:15]
	v_fma_f64 v[20:21], -v[14:15], v[14:15], v[6:7]
	v_fma_f64 v[12:13], v[20:21], v[12:13], v[14:15]
	v_mov_b32_e32 v14, 0x260
	v_cmp_class_f64_e32 vcc, v[6:7], v14
	v_ldexp_f64 v[12:13], v[12:13], s16
	v_cndmask_b32_e32 v7, v13, v7, vcc
	v_cndmask_b32_e32 v6, v12, v6, vcc
	v_mul_f64 v[6:7], v[4:5], v[6:7]
	s_andn2_b64 vcc, exec, s[4:5]
	s_cbranch_vccz .LBB64_90
	s_branch .LBB64_91
.LBB64_89:
                                        ; implicit-def: $vgpr6_vgpr7
.LBB64_90:
	v_div_scale_f64 v[6:7], s[4:5], v[2:3], v[2:3], v[4:5]
	s_mov_b32 s4, 0
	s_brev_b32 s5, 8
	v_rcp_f64_e32 v[12:13], v[6:7]
	v_fma_f64 v[14:15], -v[6:7], v[12:13], 1.0
	v_fma_f64 v[12:13], v[12:13], v[14:15], v[12:13]
	v_div_scale_f64 v[14:15], vcc, v[4:5], v[2:3], v[4:5]
	v_fma_f64 v[20:21], -v[6:7], v[12:13], 1.0
	v_fma_f64 v[12:13], v[12:13], v[20:21], v[12:13]
	v_mul_f64 v[20:21], v[14:15], v[12:13]
	v_fma_f64 v[6:7], -v[6:7], v[20:21], v[14:15]
	v_div_fmas_f64 v[6:7], v[6:7], v[12:13], v[20:21]
	v_div_fixup_f64 v[4:5], v[6:7], v[2:3], v[4:5]
	v_fma_f64 v[4:5], v[4:5], v[4:5], 1.0
	v_cmp_gt_f64_e32 vcc, s[4:5], v[4:5]
	s_and_b64 s[4:5], vcc, exec
	s_cselect_b32 s4, 0x100, 0
	v_ldexp_f64 v[4:5], v[4:5], s4
	s_cselect_b32 s4, 0xffffff80, 0
	v_rsq_f64_e32 v[6:7], v[4:5]
	v_mul_f64 v[12:13], v[4:5], v[6:7]
	v_mul_f64 v[6:7], v[6:7], 0.5
	v_fma_f64 v[14:15], -v[6:7], v[12:13], 0.5
	v_fma_f64 v[12:13], v[12:13], v[14:15], v[12:13]
	v_fma_f64 v[6:7], v[6:7], v[14:15], v[6:7]
	v_fma_f64 v[14:15], -v[12:13], v[12:13], v[4:5]
	v_fma_f64 v[12:13], v[14:15], v[6:7], v[12:13]
	v_fma_f64 v[14:15], -v[12:13], v[12:13], v[4:5]
	v_fma_f64 v[6:7], v[14:15], v[6:7], v[12:13]
	v_mov_b32_e32 v12, 0x260
	v_cmp_class_f64_e32 vcc, v[4:5], v12
	v_ldexp_f64 v[6:7], v[6:7], s4
	v_cndmask_b32_e32 v5, v7, v5, vcc
	v_cndmask_b32_e32 v4, v6, v4, vcc
	v_mul_f64 v[6:7], v[2:3], v[4:5]
.LBB64_91:
	s_mov_b32 s4, 0
	s_brev_b32 s5, 8
	v_cmp_gt_f64_e32 vcc, s[4:5], v[6:7]
	s_and_b64 s[4:5], vcc, exec
	s_cselect_b32 s4, 0x100, 0
	v_ldexp_f64 v[2:3], v[6:7], s4
	s_cselect_b32 s4, 0xffffff80, 0
	v_rsq_f64_e32 v[4:5], v[2:3]
	v_mul_f64 v[6:7], v[2:3], v[4:5]
	v_mul_f64 v[4:5], v[4:5], 0.5
	v_fma_f64 v[12:13], -v[4:5], v[6:7], 0.5
	v_fma_f64 v[6:7], v[6:7], v[12:13], v[6:7]
	v_fma_f64 v[4:5], v[4:5], v[12:13], v[4:5]
	v_fma_f64 v[12:13], -v[6:7], v[6:7], v[2:3]
	v_fma_f64 v[6:7], v[12:13], v[4:5], v[6:7]
	v_fma_f64 v[12:13], -v[6:7], v[6:7], v[2:3]
	v_fma_f64 v[4:5], v[12:13], v[4:5], v[6:7]
	v_mov_b32_e32 v7, 0x260
	v_cmp_class_f64_e32 vcc, v[2:3], v7
	v_ldexp_f64 v[5:6], v[4:5], s4
	v_mov_b32_e32 v4, 0
	v_cndmask_b32_e32 v3, v6, v3, vcc
	v_cndmask_b32_e32 v2, v5, v2, vcc
	v_mov_b32_e32 v5, v4
	ds_write_b128 v4, v[2:5] offset:1600
.LBB64_92:
	s_or_b64 exec, exec, s[2:3]
	v_mov_b32_e32 v2, 0
	s_waitcnt lgkmcnt(0)
	ds_read_b128 v[2:5], v2 offset:1600
	v_mov_b32_e32 v6, 0x3ff00000
	s_waitcnt lgkmcnt(0)
	v_cmp_neq_f64_e32 vcc, 0, v[2:3]
	v_cmp_neq_f64_e64 s[2:3], 0, v[4:5]
	s_or_b64 vcc, vcc, s[2:3]
	v_cndmask_b32_e32 v3, v6, v3, vcc
	s_nor_b64 s[4:5], vcc, s[0:1]
	v_cndmask_b32_e32 v2, 0, v2, vcc
	v_cndmask_b32_e32 v5, 0, v5, vcc
	;; [unrolled: 1-line block ×3, first 2 shown]
	s_and_saveexec_b64 s[2:3], s[4:5]
	s_cbranch_execz .LBB64_96
; %bb.93:
	v_mbcnt_lo_u32_b32 v2, exec_lo, 0
	v_mbcnt_hi_u32_b32 v2, exec_hi, v2
	v_cmp_eq_u32_e32 vcc, 0, v2
	s_and_saveexec_b64 s[4:5], vcc
	s_cbranch_execz .LBB64_95
; %bb.94:
	v_mov_b32_e32 v2, 0
	v_mov_b32_e32 v3, s19
	global_atomic_smin v2, v3, s[14:15]
.LBB64_95:
	s_or_b64 exec, exec, s[4:5]
	v_mov_b32_e32 v4, 0
	v_mov_b32_e32 v2, 0
	;; [unrolled: 1-line block ×4, first 2 shown]
.LBB64_96:
	s_or_b64 exec, exec, s[2:3]
	v_cmp_lt_u32_e32 vcc, 2, v1
	s_and_saveexec_b64 s[2:3], vcc
	s_cbranch_execz .LBB64_98
; %bb.97:
	v_mul_f64 v[6:7], v[4:5], v[4:5]
	v_fma_f64 v[6:7], v[2:3], v[2:3], v[6:7]
	v_div_scale_f64 v[12:13], s[4:5], v[6:7], v[6:7], 1.0
	v_rcp_f64_e32 v[14:15], v[12:13]
	v_fma_f64 v[20:21], -v[12:13], v[14:15], 1.0
	v_fma_f64 v[14:15], v[14:15], v[20:21], v[14:15]
	v_div_scale_f64 v[20:21], vcc, 1.0, v[6:7], 1.0
	v_fma_f64 v[22:23], -v[12:13], v[14:15], 1.0
	v_fma_f64 v[24:25], v[14:15], v[22:23], v[14:15]
	v_mul_f64 v[26:27], v[20:21], v[24:25]
	v_fma_f64 v[28:29], -v[12:13], v[26:27], v[20:21]
	ds_read_b128 v[12:15], v9 offset:32
	ds_read_b128 v[20:23], v19 offset:32
	s_waitcnt lgkmcnt(0)
	v_add_f64 v[14:15], v[14:15], -v[22:23]
	v_add_f64 v[12:13], v[12:13], -v[20:21]
	v_div_fmas_f64 v[22:23], v[28:29], v[24:25], v[26:27]
	v_mul_f64 v[20:21], v[4:5], v[14:15]
	v_mul_f64 v[4:5], v[4:5], -v[12:13]
	v_fma_f64 v[12:13], v[12:13], v[2:3], v[20:21]
	v_fma_f64 v[4:5], v[14:15], v[2:3], v[4:5]
	v_div_fixup_f64 v[6:7], v[22:23], v[6:7], 1.0
	v_mul_f64 v[2:3], v[6:7], v[12:13]
	v_mul_f64 v[4:5], v[6:7], v[4:5]
	ds_write_b128 v9, v[2:5] offset:32
	s_waitcnt lgkmcnt(0)
	ds_read_b128 v[12:15], v11 offset:32
	ds_read_b128 v[20:23], v18
	s_waitcnt lgkmcnt(0)
	v_fma_f64 v[6:7], v[2:3], v[12:13], v[20:21]
	v_fma_f64 v[12:13], v[4:5], v[12:13], v[22:23]
	;; [unrolled: 1-line block ×3, first 2 shown]
	v_fma_f64 v[6:7], v[2:3], -v[14:15], v[12:13]
	ds_write_b128 v18, v[4:7]
.LBB64_98:
	s_or_b64 exec, exec, s[2:3]
	v_cmp_eq_u32_e32 vcc, 3, v1
	s_waitcnt lgkmcnt(0)
	s_and_saveexec_b64 s[2:3], vcc
	s_cbranch_execz .LBB64_105
; %bb.99:
	v_mov_b32_e32 v6, 0
	ds_read_b128 v[2:5], v6 offset:2400
	ds_read_b128 v[12:15], v6 offset:1728
	s_waitcnt lgkmcnt(0)
	v_add_f64 v[2:3], v[12:13], -v[2:3]
	v_add_f64 v[6:7], v[14:15], -v[4:5]
	v_cmp_gt_f64_e32 vcc, 0, v[2:3]
	v_xor_b32_e32 v4, 0x80000000, v3
	v_xor_b32_e32 v5, 0x80000000, v7
	v_cndmask_b32_e32 v3, v3, v4, vcc
	v_cmp_gt_f64_e32 vcc, 0, v[6:7]
	v_mov_b32_e32 v4, v6
	v_cndmask_b32_e32 v5, v7, v5, vcc
	v_cmp_gt_f64_e32 vcc, v[2:3], v[4:5]
	s_cbranch_vccnz .LBB64_102
; %bb.100:
	v_cmp_eq_f64_e32 vcc, 0, v[6:7]
	s_mov_b64 s[4:5], 0
	s_cbranch_vccnz .LBB64_149
; %bb.101:
	v_div_scale_f64 v[6:7], s[16:17], v[4:5], v[4:5], v[2:3]
	s_mov_b32 s16, 0
	s_brev_b32 s17, 8
	v_rcp_f64_e32 v[12:13], v[6:7]
	v_fma_f64 v[14:15], -v[6:7], v[12:13], 1.0
	v_fma_f64 v[12:13], v[12:13], v[14:15], v[12:13]
	v_div_scale_f64 v[14:15], vcc, v[2:3], v[4:5], v[2:3]
	v_fma_f64 v[20:21], -v[6:7], v[12:13], 1.0
	v_fma_f64 v[12:13], v[12:13], v[20:21], v[12:13]
	v_mul_f64 v[20:21], v[14:15], v[12:13]
	v_fma_f64 v[6:7], -v[6:7], v[20:21], v[14:15]
	v_div_fmas_f64 v[6:7], v[6:7], v[12:13], v[20:21]
	v_div_fixup_f64 v[6:7], v[6:7], v[4:5], v[2:3]
	v_fma_f64 v[6:7], v[6:7], v[6:7], 1.0
	v_cmp_gt_f64_e32 vcc, s[16:17], v[6:7]
	s_and_b64 s[16:17], vcc, exec
	s_cselect_b32 s16, 0x100, 0
	v_ldexp_f64 v[6:7], v[6:7], s16
	s_cselect_b32 s16, 0xffffff80, 0
	v_rsq_f64_e32 v[12:13], v[6:7]
	v_mul_f64 v[14:15], v[6:7], v[12:13]
	v_mul_f64 v[12:13], v[12:13], 0.5
	v_fma_f64 v[20:21], -v[12:13], v[14:15], 0.5
	v_fma_f64 v[14:15], v[14:15], v[20:21], v[14:15]
	v_fma_f64 v[12:13], v[12:13], v[20:21], v[12:13]
	v_fma_f64 v[20:21], -v[14:15], v[14:15], v[6:7]
	v_fma_f64 v[14:15], v[20:21], v[12:13], v[14:15]
	v_fma_f64 v[20:21], -v[14:15], v[14:15], v[6:7]
	v_fma_f64 v[12:13], v[20:21], v[12:13], v[14:15]
	v_mov_b32_e32 v14, 0x260
	v_cmp_class_f64_e32 vcc, v[6:7], v14
	v_ldexp_f64 v[12:13], v[12:13], s16
	v_cndmask_b32_e32 v7, v13, v7, vcc
	v_cndmask_b32_e32 v6, v12, v6, vcc
	v_mul_f64 v[6:7], v[4:5], v[6:7]
	s_andn2_b64 vcc, exec, s[4:5]
	s_cbranch_vccz .LBB64_103
	s_branch .LBB64_104
.LBB64_102:
                                        ; implicit-def: $vgpr6_vgpr7
.LBB64_103:
	v_div_scale_f64 v[6:7], s[4:5], v[2:3], v[2:3], v[4:5]
	s_mov_b32 s4, 0
	s_brev_b32 s5, 8
	v_rcp_f64_e32 v[12:13], v[6:7]
	v_fma_f64 v[14:15], -v[6:7], v[12:13], 1.0
	v_fma_f64 v[12:13], v[12:13], v[14:15], v[12:13]
	v_div_scale_f64 v[14:15], vcc, v[4:5], v[2:3], v[4:5]
	v_fma_f64 v[20:21], -v[6:7], v[12:13], 1.0
	v_fma_f64 v[12:13], v[12:13], v[20:21], v[12:13]
	v_mul_f64 v[20:21], v[14:15], v[12:13]
	v_fma_f64 v[6:7], -v[6:7], v[20:21], v[14:15]
	v_div_fmas_f64 v[6:7], v[6:7], v[12:13], v[20:21]
	v_div_fixup_f64 v[4:5], v[6:7], v[2:3], v[4:5]
	v_fma_f64 v[4:5], v[4:5], v[4:5], 1.0
	v_cmp_gt_f64_e32 vcc, s[4:5], v[4:5]
	s_and_b64 s[4:5], vcc, exec
	s_cselect_b32 s4, 0x100, 0
	v_ldexp_f64 v[4:5], v[4:5], s4
	s_cselect_b32 s4, 0xffffff80, 0
	v_rsq_f64_e32 v[6:7], v[4:5]
	v_mul_f64 v[12:13], v[4:5], v[6:7]
	v_mul_f64 v[6:7], v[6:7], 0.5
	v_fma_f64 v[14:15], -v[6:7], v[12:13], 0.5
	v_fma_f64 v[12:13], v[12:13], v[14:15], v[12:13]
	v_fma_f64 v[6:7], v[6:7], v[14:15], v[6:7]
	v_fma_f64 v[14:15], -v[12:13], v[12:13], v[4:5]
	v_fma_f64 v[12:13], v[14:15], v[6:7], v[12:13]
	v_fma_f64 v[14:15], -v[12:13], v[12:13], v[4:5]
	v_fma_f64 v[6:7], v[14:15], v[6:7], v[12:13]
	v_mov_b32_e32 v12, 0x260
	v_cmp_class_f64_e32 vcc, v[4:5], v12
	v_ldexp_f64 v[6:7], v[6:7], s4
	v_cndmask_b32_e32 v5, v7, v5, vcc
	v_cndmask_b32_e32 v4, v6, v4, vcc
	v_mul_f64 v[6:7], v[2:3], v[4:5]
.LBB64_104:
	s_mov_b32 s4, 0
	s_brev_b32 s5, 8
	v_cmp_gt_f64_e32 vcc, s[4:5], v[6:7]
	s_and_b64 s[4:5], vcc, exec
	s_cselect_b32 s4, 0x100, 0
	v_ldexp_f64 v[2:3], v[6:7], s4
	s_cselect_b32 s4, 0xffffff80, 0
	v_rsq_f64_e32 v[4:5], v[2:3]
	v_mul_f64 v[6:7], v[2:3], v[4:5]
	v_mul_f64 v[4:5], v[4:5], 0.5
	v_fma_f64 v[12:13], -v[4:5], v[6:7], 0.5
	v_fma_f64 v[6:7], v[6:7], v[12:13], v[6:7]
	v_fma_f64 v[4:5], v[4:5], v[12:13], v[4:5]
	v_fma_f64 v[12:13], -v[6:7], v[6:7], v[2:3]
	v_fma_f64 v[6:7], v[12:13], v[4:5], v[6:7]
	v_fma_f64 v[12:13], -v[6:7], v[6:7], v[2:3]
	v_fma_f64 v[4:5], v[12:13], v[4:5], v[6:7]
	v_mov_b32_e32 v7, 0x260
	v_cmp_class_f64_e32 vcc, v[2:3], v7
	v_ldexp_f64 v[5:6], v[4:5], s4
	v_mov_b32_e32 v4, 0
	v_cndmask_b32_e32 v3, v6, v3, vcc
	v_cndmask_b32_e32 v2, v5, v2, vcc
	v_mov_b32_e32 v5, v4
	ds_write_b128 v4, v[2:5] offset:1728
.LBB64_105:
	s_or_b64 exec, exec, s[2:3]
	v_mov_b32_e32 v2, 0
	s_waitcnt lgkmcnt(0)
	ds_read_b128 v[2:5], v2 offset:1728
	v_mov_b32_e32 v6, 0x3ff00000
	s_waitcnt lgkmcnt(0)
	v_cmp_neq_f64_e32 vcc, 0, v[2:3]
	v_cmp_neq_f64_e64 s[2:3], 0, v[4:5]
	s_or_b64 vcc, vcc, s[2:3]
	v_cndmask_b32_e32 v3, v6, v3, vcc
	s_nor_b64 s[4:5], vcc, s[0:1]
	v_cndmask_b32_e32 v2, 0, v2, vcc
	v_cndmask_b32_e32 v5, 0, v5, vcc
	;; [unrolled: 1-line block ×3, first 2 shown]
	s_and_saveexec_b64 s[2:3], s[4:5]
	s_cbranch_execz .LBB64_109
; %bb.106:
	v_mbcnt_lo_u32_b32 v2, exec_lo, 0
	v_mbcnt_hi_u32_b32 v2, exec_hi, v2
	v_cmp_eq_u32_e32 vcc, 0, v2
	s_and_saveexec_b64 s[4:5], vcc
	s_cbranch_execz .LBB64_108
; %bb.107:
	v_mov_b32_e32 v2, 0
	v_mov_b32_e32 v3, s19
	global_atomic_smin v2, v3, s[14:15]
.LBB64_108:
	s_or_b64 exec, exec, s[4:5]
	v_mov_b32_e32 v4, 0
	v_mov_b32_e32 v2, 0
	;; [unrolled: 1-line block ×4, first 2 shown]
.LBB64_109:
	s_or_b64 exec, exec, s[2:3]
	v_cmp_lt_u32_e32 vcc, 3, v1
	s_and_saveexec_b64 s[2:3], vcc
	s_cbranch_execz .LBB64_111
; %bb.110:
	v_mul_f64 v[6:7], v[4:5], v[4:5]
	v_fma_f64 v[6:7], v[2:3], v[2:3], v[6:7]
	v_div_scale_f64 v[12:13], s[4:5], v[6:7], v[6:7], 1.0
	v_rcp_f64_e32 v[14:15], v[12:13]
	v_fma_f64 v[20:21], -v[12:13], v[14:15], 1.0
	v_fma_f64 v[14:15], v[14:15], v[20:21], v[14:15]
	v_div_scale_f64 v[20:21], vcc, 1.0, v[6:7], 1.0
	v_fma_f64 v[22:23], -v[12:13], v[14:15], 1.0
	v_fma_f64 v[24:25], v[14:15], v[22:23], v[14:15]
	v_mul_f64 v[26:27], v[20:21], v[24:25]
	v_fma_f64 v[28:29], -v[12:13], v[26:27], v[20:21]
	ds_read_b128 v[12:15], v9 offset:48
	ds_read_b128 v[20:23], v19 offset:48
	s_waitcnt lgkmcnt(0)
	v_add_f64 v[14:15], v[14:15], -v[22:23]
	v_add_f64 v[12:13], v[12:13], -v[20:21]
	v_div_fmas_f64 v[22:23], v[28:29], v[24:25], v[26:27]
	v_mul_f64 v[20:21], v[4:5], v[14:15]
	v_mul_f64 v[4:5], v[4:5], -v[12:13]
	v_fma_f64 v[12:13], v[12:13], v[2:3], v[20:21]
	v_fma_f64 v[4:5], v[14:15], v[2:3], v[4:5]
	v_div_fixup_f64 v[6:7], v[22:23], v[6:7], 1.0
	v_mul_f64 v[2:3], v[6:7], v[12:13]
	v_mul_f64 v[4:5], v[6:7], v[4:5]
	ds_write_b128 v9, v[2:5] offset:48
	s_waitcnt lgkmcnt(0)
	ds_read_b128 v[12:15], v11 offset:48
	ds_read_b128 v[20:23], v18
	s_waitcnt lgkmcnt(0)
	v_fma_f64 v[6:7], v[2:3], v[12:13], v[20:21]
	v_fma_f64 v[12:13], v[4:5], v[12:13], v[22:23]
	;; [unrolled: 1-line block ×3, first 2 shown]
	v_fma_f64 v[6:7], v[2:3], -v[14:15], v[12:13]
	ds_write_b128 v18, v[4:7]
.LBB64_111:
	s_or_b64 exec, exec, s[2:3]
	v_cmp_eq_u32_e32 vcc, 4, v1
	s_waitcnt lgkmcnt(0)
	s_and_saveexec_b64 s[2:3], vcc
	s_cbranch_execz .LBB64_118
; %bb.112:
	v_mov_b32_e32 v6, 0
	ds_read_b128 v[2:5], v6 offset:2528
	ds_read_b128 v[12:15], v6 offset:1856
	s_waitcnt lgkmcnt(0)
	v_add_f64 v[2:3], v[12:13], -v[2:3]
	v_add_f64 v[6:7], v[14:15], -v[4:5]
	v_cmp_gt_f64_e32 vcc, 0, v[2:3]
	v_xor_b32_e32 v4, 0x80000000, v3
	v_xor_b32_e32 v5, 0x80000000, v7
	v_cndmask_b32_e32 v3, v3, v4, vcc
	v_cmp_gt_f64_e32 vcc, 0, v[6:7]
	v_mov_b32_e32 v4, v6
	v_cndmask_b32_e32 v5, v7, v5, vcc
	v_cmp_gt_f64_e32 vcc, v[2:3], v[4:5]
	s_cbranch_vccnz .LBB64_115
; %bb.113:
	v_cmp_eq_f64_e32 vcc, 0, v[6:7]
	s_mov_b64 s[4:5], 0
	s_cbranch_vccnz .LBB64_150
; %bb.114:
	v_div_scale_f64 v[6:7], s[16:17], v[4:5], v[4:5], v[2:3]
	s_mov_b32 s16, 0
	s_brev_b32 s17, 8
	v_rcp_f64_e32 v[12:13], v[6:7]
	v_fma_f64 v[14:15], -v[6:7], v[12:13], 1.0
	v_fma_f64 v[12:13], v[12:13], v[14:15], v[12:13]
	v_div_scale_f64 v[14:15], vcc, v[2:3], v[4:5], v[2:3]
	v_fma_f64 v[20:21], -v[6:7], v[12:13], 1.0
	v_fma_f64 v[12:13], v[12:13], v[20:21], v[12:13]
	v_mul_f64 v[20:21], v[14:15], v[12:13]
	v_fma_f64 v[6:7], -v[6:7], v[20:21], v[14:15]
	v_div_fmas_f64 v[6:7], v[6:7], v[12:13], v[20:21]
	v_div_fixup_f64 v[6:7], v[6:7], v[4:5], v[2:3]
	v_fma_f64 v[6:7], v[6:7], v[6:7], 1.0
	v_cmp_gt_f64_e32 vcc, s[16:17], v[6:7]
	s_and_b64 s[16:17], vcc, exec
	s_cselect_b32 s16, 0x100, 0
	v_ldexp_f64 v[6:7], v[6:7], s16
	s_cselect_b32 s16, 0xffffff80, 0
	v_rsq_f64_e32 v[12:13], v[6:7]
	v_mul_f64 v[14:15], v[6:7], v[12:13]
	v_mul_f64 v[12:13], v[12:13], 0.5
	v_fma_f64 v[20:21], -v[12:13], v[14:15], 0.5
	v_fma_f64 v[14:15], v[14:15], v[20:21], v[14:15]
	v_fma_f64 v[12:13], v[12:13], v[20:21], v[12:13]
	v_fma_f64 v[20:21], -v[14:15], v[14:15], v[6:7]
	v_fma_f64 v[14:15], v[20:21], v[12:13], v[14:15]
	v_fma_f64 v[20:21], -v[14:15], v[14:15], v[6:7]
	v_fma_f64 v[12:13], v[20:21], v[12:13], v[14:15]
	v_mov_b32_e32 v14, 0x260
	v_cmp_class_f64_e32 vcc, v[6:7], v14
	v_ldexp_f64 v[12:13], v[12:13], s16
	v_cndmask_b32_e32 v7, v13, v7, vcc
	v_cndmask_b32_e32 v6, v12, v6, vcc
	v_mul_f64 v[6:7], v[4:5], v[6:7]
	s_andn2_b64 vcc, exec, s[4:5]
	s_cbranch_vccz .LBB64_116
	s_branch .LBB64_117
.LBB64_115:
                                        ; implicit-def: $vgpr6_vgpr7
.LBB64_116:
	v_div_scale_f64 v[6:7], s[4:5], v[2:3], v[2:3], v[4:5]
	s_mov_b32 s4, 0
	s_brev_b32 s5, 8
	v_rcp_f64_e32 v[12:13], v[6:7]
	v_fma_f64 v[14:15], -v[6:7], v[12:13], 1.0
	v_fma_f64 v[12:13], v[12:13], v[14:15], v[12:13]
	v_div_scale_f64 v[14:15], vcc, v[4:5], v[2:3], v[4:5]
	v_fma_f64 v[20:21], -v[6:7], v[12:13], 1.0
	v_fma_f64 v[12:13], v[12:13], v[20:21], v[12:13]
	v_mul_f64 v[20:21], v[14:15], v[12:13]
	v_fma_f64 v[6:7], -v[6:7], v[20:21], v[14:15]
	v_div_fmas_f64 v[6:7], v[6:7], v[12:13], v[20:21]
	v_div_fixup_f64 v[4:5], v[6:7], v[2:3], v[4:5]
	v_fma_f64 v[4:5], v[4:5], v[4:5], 1.0
	v_cmp_gt_f64_e32 vcc, s[4:5], v[4:5]
	s_and_b64 s[4:5], vcc, exec
	s_cselect_b32 s4, 0x100, 0
	v_ldexp_f64 v[4:5], v[4:5], s4
	s_cselect_b32 s4, 0xffffff80, 0
	v_rsq_f64_e32 v[6:7], v[4:5]
	v_mul_f64 v[12:13], v[4:5], v[6:7]
	v_mul_f64 v[6:7], v[6:7], 0.5
	v_fma_f64 v[14:15], -v[6:7], v[12:13], 0.5
	v_fma_f64 v[12:13], v[12:13], v[14:15], v[12:13]
	v_fma_f64 v[6:7], v[6:7], v[14:15], v[6:7]
	v_fma_f64 v[14:15], -v[12:13], v[12:13], v[4:5]
	v_fma_f64 v[12:13], v[14:15], v[6:7], v[12:13]
	v_fma_f64 v[14:15], -v[12:13], v[12:13], v[4:5]
	v_fma_f64 v[6:7], v[14:15], v[6:7], v[12:13]
	v_mov_b32_e32 v12, 0x260
	v_cmp_class_f64_e32 vcc, v[4:5], v12
	v_ldexp_f64 v[6:7], v[6:7], s4
	v_cndmask_b32_e32 v5, v7, v5, vcc
	v_cndmask_b32_e32 v4, v6, v4, vcc
	v_mul_f64 v[6:7], v[2:3], v[4:5]
.LBB64_117:
	s_mov_b32 s4, 0
	s_brev_b32 s5, 8
	v_cmp_gt_f64_e32 vcc, s[4:5], v[6:7]
	s_and_b64 s[4:5], vcc, exec
	s_cselect_b32 s4, 0x100, 0
	v_ldexp_f64 v[2:3], v[6:7], s4
	s_cselect_b32 s4, 0xffffff80, 0
	v_rsq_f64_e32 v[4:5], v[2:3]
	v_mul_f64 v[6:7], v[2:3], v[4:5]
	v_mul_f64 v[4:5], v[4:5], 0.5
	v_fma_f64 v[12:13], -v[4:5], v[6:7], 0.5
	v_fma_f64 v[6:7], v[6:7], v[12:13], v[6:7]
	v_fma_f64 v[4:5], v[4:5], v[12:13], v[4:5]
	v_fma_f64 v[12:13], -v[6:7], v[6:7], v[2:3]
	v_fma_f64 v[6:7], v[12:13], v[4:5], v[6:7]
	v_fma_f64 v[12:13], -v[6:7], v[6:7], v[2:3]
	v_fma_f64 v[4:5], v[12:13], v[4:5], v[6:7]
	v_mov_b32_e32 v7, 0x260
	v_cmp_class_f64_e32 vcc, v[2:3], v7
	v_ldexp_f64 v[5:6], v[4:5], s4
	v_mov_b32_e32 v4, 0
	v_cndmask_b32_e32 v3, v6, v3, vcc
	v_cndmask_b32_e32 v2, v5, v2, vcc
	v_mov_b32_e32 v5, v4
	ds_write_b128 v4, v[2:5] offset:1856
.LBB64_118:
	s_or_b64 exec, exec, s[2:3]
	v_mov_b32_e32 v2, 0
	s_waitcnt lgkmcnt(0)
	ds_read_b128 v[2:5], v2 offset:1856
	v_mov_b32_e32 v6, 0x3ff00000
	s_waitcnt lgkmcnt(0)
	v_cmp_neq_f64_e32 vcc, 0, v[2:3]
	v_cmp_neq_f64_e64 s[2:3], 0, v[4:5]
	s_or_b64 vcc, vcc, s[2:3]
	v_cndmask_b32_e32 v3, v6, v3, vcc
	s_nor_b64 s[4:5], vcc, s[0:1]
	v_cndmask_b32_e32 v2, 0, v2, vcc
	v_cndmask_b32_e32 v5, 0, v5, vcc
	;; [unrolled: 1-line block ×3, first 2 shown]
	s_and_saveexec_b64 s[2:3], s[4:5]
	s_cbranch_execz .LBB64_122
; %bb.119:
	v_mbcnt_lo_u32_b32 v2, exec_lo, 0
	v_mbcnt_hi_u32_b32 v2, exec_hi, v2
	v_cmp_eq_u32_e32 vcc, 0, v2
	s_and_saveexec_b64 s[4:5], vcc
	s_cbranch_execz .LBB64_121
; %bb.120:
	v_mov_b32_e32 v2, 0
	v_mov_b32_e32 v3, s19
	global_atomic_smin v2, v3, s[14:15]
.LBB64_121:
	s_or_b64 exec, exec, s[4:5]
	v_mov_b32_e32 v4, 0
	v_mov_b32_e32 v2, 0
	;; [unrolled: 1-line block ×4, first 2 shown]
.LBB64_122:
	s_or_b64 exec, exec, s[2:3]
	v_cmp_lt_u32_e32 vcc, 4, v1
	s_and_saveexec_b64 s[2:3], vcc
	s_cbranch_execz .LBB64_124
; %bb.123:
	v_mul_f64 v[6:7], v[4:5], v[4:5]
	v_fma_f64 v[6:7], v[2:3], v[2:3], v[6:7]
	v_div_scale_f64 v[12:13], s[4:5], v[6:7], v[6:7], 1.0
	v_rcp_f64_e32 v[14:15], v[12:13]
	v_fma_f64 v[20:21], -v[12:13], v[14:15], 1.0
	v_fma_f64 v[14:15], v[14:15], v[20:21], v[14:15]
	v_div_scale_f64 v[20:21], vcc, 1.0, v[6:7], 1.0
	v_fma_f64 v[22:23], -v[12:13], v[14:15], 1.0
	v_fma_f64 v[24:25], v[14:15], v[22:23], v[14:15]
	v_mul_f64 v[26:27], v[20:21], v[24:25]
	v_fma_f64 v[28:29], -v[12:13], v[26:27], v[20:21]
	ds_read_b128 v[12:15], v9 offset:64
	ds_read_b128 v[20:23], v19 offset:64
	s_waitcnt lgkmcnt(0)
	v_add_f64 v[14:15], v[14:15], -v[22:23]
	v_add_f64 v[12:13], v[12:13], -v[20:21]
	v_div_fmas_f64 v[22:23], v[28:29], v[24:25], v[26:27]
	v_mul_f64 v[20:21], v[4:5], v[14:15]
	v_mul_f64 v[4:5], v[4:5], -v[12:13]
	v_fma_f64 v[12:13], v[12:13], v[2:3], v[20:21]
	v_fma_f64 v[4:5], v[14:15], v[2:3], v[4:5]
	v_div_fixup_f64 v[6:7], v[22:23], v[6:7], 1.0
	v_mul_f64 v[2:3], v[6:7], v[12:13]
	v_mul_f64 v[4:5], v[6:7], v[4:5]
	ds_write_b128 v9, v[2:5] offset:64
	s_waitcnt lgkmcnt(0)
	ds_read_b128 v[12:15], v11 offset:64
	ds_read_b128 v[20:23], v18
	s_waitcnt lgkmcnt(0)
	v_fma_f64 v[6:7], v[2:3], v[12:13], v[20:21]
	v_fma_f64 v[12:13], v[4:5], v[12:13], v[22:23]
	v_fma_f64 v[4:5], v[4:5], v[14:15], v[6:7]
	v_fma_f64 v[6:7], v[2:3], -v[14:15], v[12:13]
	ds_write_b128 v18, v[4:7]
.LBB64_124:
	s_or_b64 exec, exec, s[2:3]
	v_cmp_eq_u32_e32 vcc, 5, v1
	s_waitcnt lgkmcnt(0)
	s_and_saveexec_b64 s[2:3], vcc
	s_cbranch_execz .LBB64_131
; %bb.125:
	v_mov_b32_e32 v6, 0
	ds_read_b128 v[2:5], v6 offset:2656
	ds_read_b128 v[12:15], v6 offset:1984
	s_waitcnt lgkmcnt(0)
	v_add_f64 v[2:3], v[12:13], -v[2:3]
	v_add_f64 v[6:7], v[14:15], -v[4:5]
	v_cmp_gt_f64_e32 vcc, 0, v[2:3]
	v_xor_b32_e32 v4, 0x80000000, v3
	v_xor_b32_e32 v5, 0x80000000, v7
	v_cndmask_b32_e32 v3, v3, v4, vcc
	v_cmp_gt_f64_e32 vcc, 0, v[6:7]
	v_mov_b32_e32 v4, v6
	v_cndmask_b32_e32 v5, v7, v5, vcc
	v_cmp_gt_f64_e32 vcc, v[2:3], v[4:5]
	s_cbranch_vccnz .LBB64_128
; %bb.126:
	v_cmp_eq_f64_e32 vcc, 0, v[6:7]
	s_mov_b64 s[4:5], 0
	s_cbranch_vccnz .LBB64_151
; %bb.127:
	v_div_scale_f64 v[6:7], s[16:17], v[4:5], v[4:5], v[2:3]
	s_mov_b32 s16, 0
	s_brev_b32 s17, 8
	v_rcp_f64_e32 v[12:13], v[6:7]
	v_fma_f64 v[14:15], -v[6:7], v[12:13], 1.0
	v_fma_f64 v[12:13], v[12:13], v[14:15], v[12:13]
	v_div_scale_f64 v[14:15], vcc, v[2:3], v[4:5], v[2:3]
	v_fma_f64 v[20:21], -v[6:7], v[12:13], 1.0
	v_fma_f64 v[12:13], v[12:13], v[20:21], v[12:13]
	v_mul_f64 v[20:21], v[14:15], v[12:13]
	v_fma_f64 v[6:7], -v[6:7], v[20:21], v[14:15]
	v_div_fmas_f64 v[6:7], v[6:7], v[12:13], v[20:21]
	v_div_fixup_f64 v[6:7], v[6:7], v[4:5], v[2:3]
	v_fma_f64 v[6:7], v[6:7], v[6:7], 1.0
	v_cmp_gt_f64_e32 vcc, s[16:17], v[6:7]
	s_and_b64 s[16:17], vcc, exec
	s_cselect_b32 s16, 0x100, 0
	v_ldexp_f64 v[6:7], v[6:7], s16
	s_cselect_b32 s16, 0xffffff80, 0
	v_rsq_f64_e32 v[12:13], v[6:7]
	v_mul_f64 v[14:15], v[6:7], v[12:13]
	v_mul_f64 v[12:13], v[12:13], 0.5
	v_fma_f64 v[20:21], -v[12:13], v[14:15], 0.5
	v_fma_f64 v[14:15], v[14:15], v[20:21], v[14:15]
	v_fma_f64 v[12:13], v[12:13], v[20:21], v[12:13]
	v_fma_f64 v[20:21], -v[14:15], v[14:15], v[6:7]
	v_fma_f64 v[14:15], v[20:21], v[12:13], v[14:15]
	v_fma_f64 v[20:21], -v[14:15], v[14:15], v[6:7]
	v_fma_f64 v[12:13], v[20:21], v[12:13], v[14:15]
	v_mov_b32_e32 v14, 0x260
	v_cmp_class_f64_e32 vcc, v[6:7], v14
	v_ldexp_f64 v[12:13], v[12:13], s16
	v_cndmask_b32_e32 v7, v13, v7, vcc
	v_cndmask_b32_e32 v6, v12, v6, vcc
	v_mul_f64 v[6:7], v[4:5], v[6:7]
	s_andn2_b64 vcc, exec, s[4:5]
	s_cbranch_vccz .LBB64_129
	s_branch .LBB64_130
.LBB64_128:
                                        ; implicit-def: $vgpr6_vgpr7
.LBB64_129:
	v_div_scale_f64 v[6:7], s[4:5], v[2:3], v[2:3], v[4:5]
	s_mov_b32 s4, 0
	s_brev_b32 s5, 8
	v_rcp_f64_e32 v[12:13], v[6:7]
	v_fma_f64 v[14:15], -v[6:7], v[12:13], 1.0
	v_fma_f64 v[12:13], v[12:13], v[14:15], v[12:13]
	v_div_scale_f64 v[14:15], vcc, v[4:5], v[2:3], v[4:5]
	v_fma_f64 v[20:21], -v[6:7], v[12:13], 1.0
	v_fma_f64 v[12:13], v[12:13], v[20:21], v[12:13]
	v_mul_f64 v[20:21], v[14:15], v[12:13]
	v_fma_f64 v[6:7], -v[6:7], v[20:21], v[14:15]
	v_div_fmas_f64 v[6:7], v[6:7], v[12:13], v[20:21]
	v_div_fixup_f64 v[4:5], v[6:7], v[2:3], v[4:5]
	v_fma_f64 v[4:5], v[4:5], v[4:5], 1.0
	v_cmp_gt_f64_e32 vcc, s[4:5], v[4:5]
	s_and_b64 s[4:5], vcc, exec
	s_cselect_b32 s4, 0x100, 0
	v_ldexp_f64 v[4:5], v[4:5], s4
	s_cselect_b32 s4, 0xffffff80, 0
	v_rsq_f64_e32 v[6:7], v[4:5]
	v_mul_f64 v[12:13], v[4:5], v[6:7]
	v_mul_f64 v[6:7], v[6:7], 0.5
	v_fma_f64 v[14:15], -v[6:7], v[12:13], 0.5
	v_fma_f64 v[12:13], v[12:13], v[14:15], v[12:13]
	v_fma_f64 v[6:7], v[6:7], v[14:15], v[6:7]
	v_fma_f64 v[14:15], -v[12:13], v[12:13], v[4:5]
	v_fma_f64 v[12:13], v[14:15], v[6:7], v[12:13]
	v_fma_f64 v[14:15], -v[12:13], v[12:13], v[4:5]
	v_fma_f64 v[6:7], v[14:15], v[6:7], v[12:13]
	v_mov_b32_e32 v12, 0x260
	v_cmp_class_f64_e32 vcc, v[4:5], v12
	v_ldexp_f64 v[6:7], v[6:7], s4
	v_cndmask_b32_e32 v5, v7, v5, vcc
	v_cndmask_b32_e32 v4, v6, v4, vcc
	v_mul_f64 v[6:7], v[2:3], v[4:5]
.LBB64_130:
	s_mov_b32 s4, 0
	s_brev_b32 s5, 8
	v_cmp_gt_f64_e32 vcc, s[4:5], v[6:7]
	s_and_b64 s[4:5], vcc, exec
	s_cselect_b32 s4, 0x100, 0
	v_ldexp_f64 v[2:3], v[6:7], s4
	s_cselect_b32 s4, 0xffffff80, 0
	v_rsq_f64_e32 v[4:5], v[2:3]
	v_mul_f64 v[6:7], v[2:3], v[4:5]
	v_mul_f64 v[4:5], v[4:5], 0.5
	v_fma_f64 v[12:13], -v[4:5], v[6:7], 0.5
	v_fma_f64 v[6:7], v[6:7], v[12:13], v[6:7]
	v_fma_f64 v[4:5], v[4:5], v[12:13], v[4:5]
	v_fma_f64 v[12:13], -v[6:7], v[6:7], v[2:3]
	v_fma_f64 v[6:7], v[12:13], v[4:5], v[6:7]
	v_fma_f64 v[12:13], -v[6:7], v[6:7], v[2:3]
	v_fma_f64 v[4:5], v[12:13], v[4:5], v[6:7]
	v_mov_b32_e32 v7, 0x260
	v_cmp_class_f64_e32 vcc, v[2:3], v7
	v_ldexp_f64 v[5:6], v[4:5], s4
	v_mov_b32_e32 v4, 0
	v_cndmask_b32_e32 v3, v6, v3, vcc
	v_cndmask_b32_e32 v2, v5, v2, vcc
	v_mov_b32_e32 v5, v4
	ds_write_b128 v4, v[2:5] offset:1984
.LBB64_131:
	s_or_b64 exec, exec, s[2:3]
	v_mov_b32_e32 v2, 0
	s_waitcnt lgkmcnt(0)
	ds_read_b128 v[2:5], v2 offset:1984
	v_mov_b32_e32 v6, 0x3ff00000
	s_waitcnt lgkmcnt(0)
	v_cmp_neq_f64_e32 vcc, 0, v[2:3]
	v_cmp_neq_f64_e64 s[2:3], 0, v[4:5]
	s_or_b64 vcc, vcc, s[2:3]
	v_cndmask_b32_e32 v3, v6, v3, vcc
	s_nor_b64 s[2:3], vcc, s[0:1]
	v_cndmask_b32_e32 v2, 0, v2, vcc
	v_cndmask_b32_e32 v5, 0, v5, vcc
	v_cndmask_b32_e32 v4, 0, v4, vcc
	s_and_saveexec_b64 s[0:1], s[2:3]
	s_cbranch_execz .LBB64_144
; %bb.132:
	v_mbcnt_lo_u32_b32 v2, exec_lo, 0
	v_mbcnt_hi_u32_b32 v2, exec_hi, v2
	v_cmp_eq_u32_e32 vcc, 0, v2
	s_and_saveexec_b64 s[2:3], vcc
	s_cbranch_execz .LBB64_134
; %bb.133:
	v_mov_b32_e32 v2, 0
	v_mov_b32_e32 v3, s19
	global_atomic_smin v2, v3, s[14:15]
.LBB64_134:
	s_or_b64 exec, exec, s[2:3]
	v_mov_b32_e32 v4, 0
	v_mov_b32_e32 v2, 0
	;; [unrolled: 1-line block ×4, first 2 shown]
	s_or_b64 exec, exec, s[0:1]
	v_cmp_lt_u32_e32 vcc, 5, v1
	s_and_saveexec_b64 s[0:1], vcc
	s_cbranch_execnz .LBB64_145
.LBB64_135:
	s_or_b64 exec, exec, s[0:1]
	s_andn2_b64 vcc, exec, s[8:9]
	s_cbranch_vccnz .LBB64_137
.LBB64_136:
	v_mov_b32_e32 v16, v17
.LBB64_137:
	v_add_u32_e32 v2, s18, v16
	v_ashrrev_i32_e32 v3, 31, v2
	v_lshlrev_b64 v[6:7], 4, v[2:3]
	ds_read2_b64 v[2:5], v8 offset1:1
	v_mov_b32_e32 v9, s21
	v_add_co_u32_e32 v6, vcc, s20, v6
	v_addc_co_u32_e32 v7, vcc, v9, v7, vcc
	v_cmp_eq_u32_e32 vcc, 0, v10
	s_waitcnt lgkmcnt(0)
	global_store_dwordx4 v[6:7], v[2:5], off
	s_and_saveexec_b64 s[0:1], vcc
	s_cbranch_execz .LBB64_139
; %bb.138:
	s_add_u32 s2, s10, s6
	s_addc_u32 s3, s11, s7
	v_mov_b32_e32 v2, 0
	v_mov_b32_e32 v3, 1
	s_waitcnt vmcnt(0)
	global_store_dword v2, v3, s[2:3]
.LBB64_139:
	s_or_b64 exec, exec, s[0:1]
	s_branch .LBB64_62
.LBB64_140:
	v_or_b32_e32 v0, v0, v1
	v_cmp_eq_u32_e32 vcc, 0, v0
	s_and_saveexec_b64 s[0:1], vcc
	s_cbranch_execz .LBB64_62
; %bb.141:
	v_mbcnt_lo_u32_b32 v0, exec_lo, 0
	v_mbcnt_hi_u32_b32 v0, exec_hi, v0
	v_cmp_eq_u32_e32 vcc, 0, v0
	s_and_saveexec_b64 s[0:1], vcc
	s_cbranch_execz .LBB64_143
; %bb.142:
	s_add_i32 s2, s12, s13
	v_mov_b32_e32 v0, 0
	v_mov_b32_e32 v1, s2
	global_atomic_smin v0, v1, s[14:15]
.LBB64_143:
	s_or_b64 exec, exec, s[0:1]
	s_add_u32 s0, s10, s6
	s_addc_u32 s1, s11, s7
	v_mov_b32_e32 v0, 0
	v_mov_b32_e32 v1, 1
	s_waitcnt vmcnt(0)
	global_store_dword v0, v1, s[0:1]
	s_endpgm
.LBB64_144:
	s_or_b64 exec, exec, s[0:1]
	v_cmp_lt_u32_e32 vcc, 5, v1
	s_and_saveexec_b64 s[0:1], vcc
	s_cbranch_execz .LBB64_135
.LBB64_145:
	v_mul_f64 v[6:7], v[4:5], v[4:5]
	v_fma_f64 v[6:7], v[2:3], v[2:3], v[6:7]
	v_div_scale_f64 v[12:13], s[2:3], v[6:7], v[6:7], 1.0
	v_rcp_f64_e32 v[14:15], v[12:13]
	v_fma_f64 v[20:21], -v[12:13], v[14:15], 1.0
	v_fma_f64 v[14:15], v[14:15], v[20:21], v[14:15]
	v_div_scale_f64 v[20:21], vcc, 1.0, v[6:7], 1.0
	v_fma_f64 v[22:23], -v[12:13], v[14:15], 1.0
	v_fma_f64 v[23:24], v[14:15], v[22:23], v[14:15]
	v_mul_f64 v[25:26], v[20:21], v[23:24]
	v_fma_f64 v[27:28], -v[12:13], v[25:26], v[20:21]
	ds_read_b128 v[12:15], v9 offset:80
	ds_read_b128 v[19:22], v19 offset:80
	s_waitcnt lgkmcnt(0)
	v_add_f64 v[14:15], v[14:15], -v[21:22]
	v_add_f64 v[12:13], v[12:13], -v[19:20]
	v_div_fmas_f64 v[21:22], v[27:28], v[23:24], v[25:26]
	v_mul_f64 v[19:20], v[4:5], v[14:15]
	v_mul_f64 v[4:5], v[4:5], -v[12:13]
	v_fma_f64 v[12:13], v[12:13], v[2:3], v[19:20]
	v_fma_f64 v[4:5], v[14:15], v[2:3], v[4:5]
	v_div_fixup_f64 v[6:7], v[21:22], v[6:7], 1.0
	v_mul_f64 v[2:3], v[6:7], v[12:13]
	v_mul_f64 v[4:5], v[6:7], v[4:5]
	ds_write_b128 v9, v[2:5] offset:80
	s_waitcnt lgkmcnt(0)
	ds_read_b128 v[11:14], v11 offset:80
	ds_read_b128 v[19:22], v18
	s_waitcnt lgkmcnt(0)
	v_fma_f64 v[6:7], v[2:3], v[11:12], v[19:20]
	v_fma_f64 v[11:12], v[4:5], v[11:12], v[21:22]
	;; [unrolled: 1-line block ×3, first 2 shown]
	v_fma_f64 v[6:7], v[2:3], -v[13:14], v[11:12]
	ds_write_b128 v18, v[4:7]
	s_or_b64 exec, exec, s[0:1]
	s_andn2_b64 vcc, exec, s[8:9]
	s_waitcnt lgkmcnt(0)
	s_cbranch_vccz .LBB64_136
	s_branch .LBB64_137
.LBB64_146:
	v_mov_b32_e32 v6, 0
	v_mov_b32_e32 v7, 0
	s_andn2_b64 vcc, exec, s[4:5]
	s_cbranch_vccz .LBB64_64
	s_branch .LBB64_65
.LBB64_147:
	v_mov_b32_e32 v6, 0
	v_mov_b32_e32 v7, 0
	s_andn2_b64 vcc, exec, s[4:5]
	s_cbranch_vccz .LBB64_77
	s_branch .LBB64_78
.LBB64_148:
	v_mov_b32_e32 v6, 0
	v_mov_b32_e32 v7, 0
	s_andn2_b64 vcc, exec, s[4:5]
	s_cbranch_vccz .LBB64_90
	s_branch .LBB64_91
.LBB64_149:
	v_mov_b32_e32 v6, 0
	v_mov_b32_e32 v7, 0
	s_andn2_b64 vcc, exec, s[4:5]
	s_cbranch_vccz .LBB64_103
	s_branch .LBB64_104
.LBB64_150:
	v_mov_b32_e32 v6, 0
	v_mov_b32_e32 v7, 0
	s_andn2_b64 vcc, exec, s[4:5]
	s_cbranch_vccz .LBB64_116
	s_branch .LBB64_117
.LBB64_151:
	v_mov_b32_e32 v6, 0
	v_mov_b32_e32 v7, 0
	s_andn2_b64 vcc, exec, s[4:5]
	s_cbranch_vccz .LBB64_129
	s_branch .LBB64_130
	.section	.rodata,"a",@progbits
	.p2align	6, 0x0
	.amdhsa_kernel _ZN9rocsparseL26bsric0_2_8_unrolled_kernelILi36ELi32ELi6E21rocsparse_complex_numIdEEEv20rocsparse_direction_iiPKiS5_PT2_S5_PiS5_S8_21rocsparse_index_base_
		.amdhsa_group_segment_fixed_size 3072
		.amdhsa_private_segment_fixed_size 0
		.amdhsa_kernarg_size 76
		.amdhsa_user_sgpr_count 6
		.amdhsa_user_sgpr_private_segment_buffer 1
		.amdhsa_user_sgpr_dispatch_ptr 0
		.amdhsa_user_sgpr_queue_ptr 0
		.amdhsa_user_sgpr_kernarg_segment_ptr 1
		.amdhsa_user_sgpr_dispatch_id 0
		.amdhsa_user_sgpr_flat_scratch_init 0
		.amdhsa_user_sgpr_private_segment_size 0
		.amdhsa_uses_dynamic_stack 0
		.amdhsa_system_sgpr_private_segment_wavefront_offset 0
		.amdhsa_system_sgpr_workgroup_id_x 1
		.amdhsa_system_sgpr_workgroup_id_y 0
		.amdhsa_system_sgpr_workgroup_id_z 0
		.amdhsa_system_sgpr_workgroup_info 0
		.amdhsa_system_vgpr_workitem_id 1
		.amdhsa_next_free_vgpr 55
		.amdhsa_next_free_sgpr 93
		.amdhsa_reserve_vcc 1
		.amdhsa_reserve_flat_scratch 0
		.amdhsa_float_round_mode_32 0
		.amdhsa_float_round_mode_16_64 0
		.amdhsa_float_denorm_mode_32 3
		.amdhsa_float_denorm_mode_16_64 3
		.amdhsa_dx10_clamp 1
		.amdhsa_ieee_mode 1
		.amdhsa_fp16_overflow 0
		.amdhsa_exception_fp_ieee_invalid_op 0
		.amdhsa_exception_fp_denorm_src 0
		.amdhsa_exception_fp_ieee_div_zero 0
		.amdhsa_exception_fp_ieee_overflow 0
		.amdhsa_exception_fp_ieee_underflow 0
		.amdhsa_exception_fp_ieee_inexact 0
		.amdhsa_exception_int_div_zero 0
	.end_amdhsa_kernel
	.section	.text._ZN9rocsparseL26bsric0_2_8_unrolled_kernelILi36ELi32ELi6E21rocsparse_complex_numIdEEEv20rocsparse_direction_iiPKiS5_PT2_S5_PiS5_S8_21rocsparse_index_base_,"axG",@progbits,_ZN9rocsparseL26bsric0_2_8_unrolled_kernelILi36ELi32ELi6E21rocsparse_complex_numIdEEEv20rocsparse_direction_iiPKiS5_PT2_S5_PiS5_S8_21rocsparse_index_base_,comdat
.Lfunc_end64:
	.size	_ZN9rocsparseL26bsric0_2_8_unrolled_kernelILi36ELi32ELi6E21rocsparse_complex_numIdEEEv20rocsparse_direction_iiPKiS5_PT2_S5_PiS5_S8_21rocsparse_index_base_, .Lfunc_end64-_ZN9rocsparseL26bsric0_2_8_unrolled_kernelILi36ELi32ELi6E21rocsparse_complex_numIdEEEv20rocsparse_direction_iiPKiS5_PT2_S5_PiS5_S8_21rocsparse_index_base_
                                        ; -- End function
	.set _ZN9rocsparseL26bsric0_2_8_unrolled_kernelILi36ELi32ELi6E21rocsparse_complex_numIdEEEv20rocsparse_direction_iiPKiS5_PT2_S5_PiS5_S8_21rocsparse_index_base_.num_vgpr, 55
	.set _ZN9rocsparseL26bsric0_2_8_unrolled_kernelILi36ELi32ELi6E21rocsparse_complex_numIdEEEv20rocsparse_direction_iiPKiS5_PT2_S5_PiS5_S8_21rocsparse_index_base_.num_agpr, 0
	.set _ZN9rocsparseL26bsric0_2_8_unrolled_kernelILi36ELi32ELi6E21rocsparse_complex_numIdEEEv20rocsparse_direction_iiPKiS5_PT2_S5_PiS5_S8_21rocsparse_index_base_.numbered_sgpr, 40
	.set _ZN9rocsparseL26bsric0_2_8_unrolled_kernelILi36ELi32ELi6E21rocsparse_complex_numIdEEEv20rocsparse_direction_iiPKiS5_PT2_S5_PiS5_S8_21rocsparse_index_base_.num_named_barrier, 0
	.set _ZN9rocsparseL26bsric0_2_8_unrolled_kernelILi36ELi32ELi6E21rocsparse_complex_numIdEEEv20rocsparse_direction_iiPKiS5_PT2_S5_PiS5_S8_21rocsparse_index_base_.private_seg_size, 0
	.set _ZN9rocsparseL26bsric0_2_8_unrolled_kernelILi36ELi32ELi6E21rocsparse_complex_numIdEEEv20rocsparse_direction_iiPKiS5_PT2_S5_PiS5_S8_21rocsparse_index_base_.uses_vcc, 1
	.set _ZN9rocsparseL26bsric0_2_8_unrolled_kernelILi36ELi32ELi6E21rocsparse_complex_numIdEEEv20rocsparse_direction_iiPKiS5_PT2_S5_PiS5_S8_21rocsparse_index_base_.uses_flat_scratch, 0
	.set _ZN9rocsparseL26bsric0_2_8_unrolled_kernelILi36ELi32ELi6E21rocsparse_complex_numIdEEEv20rocsparse_direction_iiPKiS5_PT2_S5_PiS5_S8_21rocsparse_index_base_.has_dyn_sized_stack, 0
	.set _ZN9rocsparseL26bsric0_2_8_unrolled_kernelILi36ELi32ELi6E21rocsparse_complex_numIdEEEv20rocsparse_direction_iiPKiS5_PT2_S5_PiS5_S8_21rocsparse_index_base_.has_recursion, 0
	.set _ZN9rocsparseL26bsric0_2_8_unrolled_kernelILi36ELi32ELi6E21rocsparse_complex_numIdEEEv20rocsparse_direction_iiPKiS5_PT2_S5_PiS5_S8_21rocsparse_index_base_.has_indirect_call, 0
	.section	.AMDGPU.csdata,"",@progbits
; Kernel info:
; codeLenInByte = 12964
; TotalNumSgprs: 44
; NumVgprs: 55
; ScratchSize: 0
; MemoryBound: 1
; FloatMode: 240
; IeeeMode: 1
; LDSByteSize: 3072 bytes/workgroup (compile time only)
; SGPRBlocks: 12
; VGPRBlocks: 13
; NumSGPRsForWavesPerEU: 97
; NumVGPRsForWavesPerEU: 55
; Occupancy: 4
; WaveLimiterHint : 1
; COMPUTE_PGM_RSRC2:SCRATCH_EN: 0
; COMPUTE_PGM_RSRC2:USER_SGPR: 6
; COMPUTE_PGM_RSRC2:TRAP_HANDLER: 0
; COMPUTE_PGM_RSRC2:TGID_X_EN: 1
; COMPUTE_PGM_RSRC2:TGID_Y_EN: 0
; COMPUTE_PGM_RSRC2:TGID_Z_EN: 0
; COMPUTE_PGM_RSRC2:TIDIG_COMP_CNT: 1
	.section	.text._ZN9rocsparseL26bsric0_2_8_unrolled_kernelILi49ELi32ELi7E21rocsparse_complex_numIdEEEv20rocsparse_direction_iiPKiS5_PT2_S5_PiS5_S8_21rocsparse_index_base_,"axG",@progbits,_ZN9rocsparseL26bsric0_2_8_unrolled_kernelILi49ELi32ELi7E21rocsparse_complex_numIdEEEv20rocsparse_direction_iiPKiS5_PT2_S5_PiS5_S8_21rocsparse_index_base_,comdat
	.globl	_ZN9rocsparseL26bsric0_2_8_unrolled_kernelILi49ELi32ELi7E21rocsparse_complex_numIdEEEv20rocsparse_direction_iiPKiS5_PT2_S5_PiS5_S8_21rocsparse_index_base_ ; -- Begin function _ZN9rocsparseL26bsric0_2_8_unrolled_kernelILi49ELi32ELi7E21rocsparse_complex_numIdEEEv20rocsparse_direction_iiPKiS5_PT2_S5_PiS5_S8_21rocsparse_index_base_
	.p2align	8
	.type	_ZN9rocsparseL26bsric0_2_8_unrolled_kernelILi49ELi32ELi7E21rocsparse_complex_numIdEEEv20rocsparse_direction_iiPKiS5_PT2_S5_PiS5_S8_21rocsparse_index_base_,@function
_ZN9rocsparseL26bsric0_2_8_unrolled_kernelILi49ELi32ELi7E21rocsparse_complex_numIdEEEv20rocsparse_direction_iiPKiS5_PT2_S5_PiS5_S8_21rocsparse_index_base_: ; @_ZN9rocsparseL26bsric0_2_8_unrolled_kernelILi49ELi32ELi7E21rocsparse_complex_numIdEEEv20rocsparse_direction_iiPKiS5_PT2_S5_PiS5_S8_21rocsparse_index_base_
; %bb.0:
	s_load_dwordx8 s[8:15], s[4:5], 0x28
	s_mov_b32 s7, 0
	s_lshl_b64 s[0:1], s[6:7], 2
	s_waitcnt lgkmcnt(0)
	s_add_u32 s0, s12, s0
	s_addc_u32 s1, s13, s1
	s_load_dword s12, s[0:1], 0x0
	s_waitcnt lgkmcnt(0)
	s_ashr_i32 s13, s12, 31
	s_lshl_b64 s[6:7], s[12:13], 2
	s_add_u32 s0, s8, s6
	s_addc_u32 s1, s9, s7
	s_load_dword s30, s[0:1], 0x0
	s_load_dword s13, s[4:5], 0x48
	s_waitcnt lgkmcnt(0)
	s_cmp_lg_u32 s30, -1
	s_cbranch_scc0 .LBB65_45
; %bb.1:
	s_load_dwordx4 s[16:19], s[4:5], 0x10
	s_load_dwordx2 s[20:21], s[4:5], 0x20
	v_mad_u32_u24 v18, v1, 7, v0
	s_waitcnt lgkmcnt(0)
	s_add_u32 s0, s16, s6
	s_addc_u32 s1, s17, s7
	s_load_dword s0, s[0:1], 0x0
	s_waitcnt lgkmcnt(0)
	s_sub_i32 s31, s0, s13
	v_add_u32_e32 v2, s31, v18
	v_cmp_ge_i32_e32 vcc, s30, v2
	s_and_saveexec_b64 s[0:1], vcc
	s_cbranch_execz .LBB65_4
; %bb.2:
	v_mov_b32_e32 v3, 0xf00
	v_lshl_add_u32 v5, v18, 2, v3
	v_ashrrev_i32_e32 v3, 31, v2
	v_lshlrev_b64 v[3:4], 2, v[2:3]
	v_mov_b32_e32 v6, s19
	v_add_co_u32_e32 v3, vcc, s18, v3
	v_addc_co_u32_e32 v4, vcc, v6, v4, vcc
	s_mov_b64 s[2:3], 0
.LBB65_3:                               ; =>This Inner Loop Header: Depth=1
	global_load_dword v6, v[3:4], off
	v_add_co_u32_e32 v3, vcc, 0xc4, v3
	v_add_u32_e32 v2, 49, v2
	v_addc_co_u32_e32 v4, vcc, 0, v4, vcc
	v_cmp_lt_i32_e32 vcc, s30, v2
	s_or_b64 s[2:3], vcc, s[2:3]
	s_waitcnt vmcnt(0)
	v_subrev_u32_e32 v6, s13, v6
	ds_write_b32 v5, v6
	v_add_u32_e32 v5, 0xc4, v5
	s_andn2_b64 exec, exec, s[2:3]
	s_cbranch_execnz .LBB65_3
.LBB65_4:
	s_or_b64 exec, exec, s[0:1]
	s_load_dword s33, s[4:5], 0x0
	v_mov_b32_e32 v2, 0xa80
	v_lshl_add_u32 v21, v1, 7, v2
	v_mov_b32_e32 v2, 0
	v_mul_u32_u24_e32 v22, 7, v1
	v_lshl_add_u32 v20, v0, 4, v21
	v_mov_b32_e32 v3, v2
	v_mov_b32_e32 v4, v2
	;; [unrolled: 1-line block ×3, first 2 shown]
	s_cmp_ge_i32 s31, s30
	v_mad_u32_u24 v19, v0, 7, v1
	ds_write_b128 v20, v[2:5]
	s_waitcnt lgkmcnt(0)
	s_cbranch_scc1 .LBB65_39
; %bb.5:
	s_cmp_lg_u32 s33, 0
	v_lshlrev_b32_e32 v4, 7, v1
	v_lshlrev_b32_e32 v5, 4, v0
	s_cselect_b64 s[4:5], -1, 0
	s_cmp_eq_u32 s33, 0
	v_add_u32_e32 v24, 0x700, v4
	v_add_u32_e32 v26, v4, v5
	v_add_u32_e32 v27, 0x380, v4
	v_mov_b32_e32 v4, 0x700
	v_mad_u32_u24 v3, v0, 7, v1
	v_lshl_add_u32 v29, v0, 7, v4
	v_or_b32_e32 v4, v0, v1
	s_cselect_b64 vcc, -1, 0
	v_mul_u32_u24_e32 v23, 7, v0
	v_add_u32_e32 v25, v24, v5
	v_add_u32_e32 v28, v27, v5
	v_cmp_ne_u32_e64 s[0:1], 0, v4
	v_cndmask_b32_e32 v11, v3, v18, vcc
	v_mov_b32_e32 v30, 0x3ff00000
	s_mov_b32 s22, s31
	s_branch .LBB65_7
.LBB65_6:                               ;   in Loop: Header=BB65_7 Depth=1
	ds_read2_b64 v[3:6], v25 offset1:1
	s_add_i32 s22, s22, 1
	s_cmp_ge_i32 s22, s30
	s_cselect_b64 s[2:3], -1, 0
	s_waitcnt lgkmcnt(0)
	global_store_dwordx4 v[12:13], v[3:6], off
	s_waitcnt vmcnt(0)
	buffer_wbinvl1_vol
	s_and_b64 vcc, exec, s[2:3]
	s_cbranch_vccnz .LBB65_39
.LBB65_7:                               ; =>This Loop Header: Depth=1
                                        ;     Child Loop BB65_10 Depth 2
                                        ;     Child Loop BB65_21 Depth 2
	;; [unrolled: 1-line block ×4, first 2 shown]
                                        ;       Child Loop BB65_37 Depth 3
	s_ashr_i32 s23, s22, 31
	s_lshl_b64 s[2:3], s[22:23], 2
	s_add_u32 s2, s18, s2
	s_addc_u32 s3, s19, s3
	s_load_dword s23, s[2:3], 0x0
	s_waitcnt lgkmcnt(0)
	s_sub_i32 s24, s23, s13
	s_ashr_i32 s25, s24, 31
	s_lshl_b64 s[2:3], s[24:25], 2
	s_add_u32 s26, s8, s2
	s_addc_u32 s27, s9, s3
	s_load_dword s25, s[26:27], 0x0
	s_waitcnt lgkmcnt(0)
	s_cmp_eq_u32 s25, -1
	s_cbranch_scc1 .LBB65_38
; %bb.8:                                ;   in Loop: Header=BB65_7 Depth=1
	v_mad_u64_u32 v[3:4], s[26:27], s22, 49, v[11:12]
	v_mov_b32_e32 v5, s21
	s_add_u32 s26, s16, s2
	v_ashrrev_i32_e32 v4, 31, v3
	v_lshlrev_b64 v[3:4], 4, v[3:4]
	s_addc_u32 s27, s17, s3
	v_add_co_u32_e32 v12, vcc, s20, v3
	v_addc_co_u32_e32 v13, vcc, v5, v4, vcc
	global_load_dwordx4 v[3:6], v[12:13], off
	s_load_dword s26, s[26:27], 0x0
	ds_read_b32 v7, v2 offset:3840
	s_mov_b32 s27, 0
	s_waitcnt lgkmcnt(0)
	s_sub_i32 s26, s26, s13
	s_cmp_le_i32 s26, s25
	v_cmp_ge_i32_e32 vcc, s24, v7
	s_cselect_b64 s[28:29], -1, 0
	s_and_b64 s[28:29], s[28:29], vcc
	s_andn2_b64 vcc, exec, s[28:29]
	s_waitcnt vmcnt(0)
	ds_write2_b64 v25, v[3:4], v[5:6] offset1:1
	s_cbranch_vccnz .LBB65_20
; %bb.9:                                ;   in Loop: Header=BB65_7 Depth=1
	s_mov_b32 s34, 0
	s_mov_b32 s35, 0
.LBB65_10:                              ;   Parent Loop BB65_7 Depth=1
                                        ; =>  This Inner Loop Header: Depth=2
	s_ashr_i32 s27, s26, 31
	s_lshl_b64 s[28:29], s[26:27], 2
	s_add_u32 s28, s18, s28
	s_addc_u32 s29, s19, s29
	s_load_dword s27, s[28:29], 0x0
	s_lshl_b32 s28, s35, 2
	v_mov_b32_e32 v3, s28
	ds_read_b32 v3, v3 offset:3840
	s_mov_b64 s[28:29], -1
	s_waitcnt lgkmcnt(0)
	s_sub_i32 s39, s27, s13
                                        ; implicit-def: $sgpr27
                                        ; implicit-def: $sgpr38
                                        ; implicit-def: $sgpr37
	v_cmp_ge_i32_e32 vcc, s39, v3
	v_readfirstlane_b32 s36, v3
	s_cbranch_vccz .LBB65_16
; %bb.11:                               ;   in Loop: Header=BB65_10 Depth=2
	s_cmp_le_i32 s39, s36
                                        ; implicit-def: $sgpr27
                                        ; implicit-def: $sgpr38
                                        ; implicit-def: $sgpr37
	s_cbranch_scc0 .LBB65_13
; %bb.12:                               ;   in Loop: Header=BB65_10 Depth=2
	s_add_i32 s27, s35, s31
	s_mul_i32 s27, s27, 49
	s_lshl_b32 s28, s34, 2
	v_mov_b32_e32 v3, s28
	v_mov_b32_e32 v4, s27
	s_mul_i32 s27, s26, 49
	v_mov_b32_e32 v5, s27
	v_add_u32_e32 v3, 0xc00, v3
	ds_write2_b32 v3, v5, v4 offset0:128 offset1:160
	s_add_i32 s37, s35, 1
	s_add_i32 s38, s26, 1
	;; [unrolled: 1-line block ×3, first 2 shown]
	s_mov_b64 s[28:29], 0
.LBB65_13:                              ;   in Loop: Header=BB65_10 Depth=2
	s_andn2_b64 vcc, exec, s[28:29]
	s_cbranch_vccnz .LBB65_15
; %bb.14:                               ;   in Loop: Header=BB65_10 Depth=2
	s_add_i32 s37, s35, 1
	s_mov_b32 s27, s34
	s_mov_b32 s38, s26
.LBB65_15:                              ;   in Loop: Header=BB65_10 Depth=2
	s_mov_b64 s[28:29], 0
.LBB65_16:                              ;   in Loop: Header=BB65_10 Depth=2
	s_andn2_b64 vcc, exec, s[28:29]
	s_cbranch_vccnz .LBB65_18
; %bb.17:                               ;   in Loop: Header=BB65_10 Depth=2
	s_add_i32 s38, s26, 1
	s_mov_b32 s37, s35
	s_mov_b32 s27, s34
.LBB65_18:                              ;   in Loop: Header=BB65_10 Depth=2
	s_cmp_le_i32 s38, s25
	s_cselect_b64 s[28:29], -1, 0
	s_cmp_le_i32 s36, s24
	s_cselect_b64 s[34:35], -1, 0
	s_and_b64 s[28:29], s[28:29], s[34:35]
	s_and_b64 vcc, exec, s[28:29]
	s_cbranch_vccz .LBB65_20
; %bb.19:                               ;   in Loop: Header=BB65_10 Depth=2
	s_mov_b32 s34, s27
	s_mov_b32 s26, s38
	;; [unrolled: 1-line block ×3, first 2 shown]
	s_branch .LBB65_10
.LBB65_20:                              ;   in Loop: Header=BB65_7 Depth=1
	s_add_u32 s2, s10, s2
	s_addc_u32 s3, s11, s3
	s_waitcnt lgkmcnt(0)
.LBB65_21:                              ;   Parent Loop BB65_7 Depth=1
                                        ; =>  This Inner Loop Header: Depth=2
	global_load_dword v3, v2, s[2:3] glc
	s_waitcnt vmcnt(0)
	v_cmp_eq_u32_e32 vcc, 0, v3
	s_cbranch_vccnz .LBB65_21
; %bb.22:                               ;   in Loop: Header=BB65_7 Depth=1
	v_mad_u64_u32 v[3:4], s[2:3], s25, 49, v[11:12]
	v_mov_b32_e32 v5, s21
	buffer_wbinvl1_vol
	v_ashrrev_i32_e32 v4, 31, v3
	v_lshlrev_b64 v[3:4], 4, v[3:4]
	s_cmp_lt_i32 s27, 2
	v_add_co_u32_e32 v3, vcc, s20, v3
	v_addc_co_u32_e32 v4, vcc, v5, v4, vcc
	global_load_dwordx4 v[7:10], v[3:4], off
	v_mov_b32_e32 v5, 0
	v_mov_b32_e32 v3, 0
	;; [unrolled: 1-line block ×4, first 2 shown]
	s_waitcnt vmcnt(0)
	ds_write2_b64 v26, v[7:8], v[9:10] offset1:1
	s_waitcnt lgkmcnt(0)
	s_cbranch_scc1 .LBB65_30
; %bb.23:                               ;   in Loop: Header=BB65_7 Depth=1
	v_mov_b32_e32 v7, 0
	v_mov_b32_e32 v9, 0
	s_add_i32 s24, s27, -1
	v_mov_b32_e32 v8, 0
	v_mov_b32_e32 v10, 0
	s_movk_i32 s25, 0xe00
.LBB65_24:                              ;   Parent Loop BB65_7 Depth=1
                                        ; =>  This Inner Loop Header: Depth=2
	v_mov_b32_e32 v3, s25
	s_waitcnt lgkmcnt(0)
	ds_read2_b32 v[14:15], v3 offset1:32
	s_mov_b64 s[2:3], -1
	s_and_b64 vcc, exec, s[4:5]
                                        ; implicit-def: $vgpr5_vgpr6
	s_cbranch_vccz .LBB65_27
; %bb.25:                               ;   in Loop: Header=BB65_24 Depth=2
	s_waitcnt lgkmcnt(0)
	v_add_u32_e32 v16, v14, v0
	v_ashrrev_i32_e32 v17, 31, v16
	v_lshlrev_b64 v[3:4], 4, v[16:17]
	v_add_u32_e32 v35, v15, v1
	v_ashrrev_i32_e32 v36, 31, v35
	v_add_co_u32_e32 v3, vcc, s20, v3
	v_mov_b32_e32 v5, s21
	v_lshlrev_b64 v[31:32], 4, v[35:36]
	v_addc_co_u32_e32 v4, vcc, v5, v4, vcc
	v_add_co_u32_e32 v31, vcc, s20, v31
	v_mov_b32_e32 v17, s21
	v_addc_co_u32_e32 v32, vcc, v17, v32, vcc
	global_load_dwordx4 v[3:6], v[3:4], off
	s_nop 0
	global_load_dwordx4 v[31:34], v[31:32], off
	s_waitcnt vmcnt(0)
	v_fma_f64 v[36:37], v[3:4], v[31:32], v[9:10]
	v_fma_f64 v[36:37], v[5:6], v[33:34], v[36:37]
	v_fma_f64 v[5:6], v[5:6], v[31:32], v[7:8]
	v_add_u32_e32 v31, 7, v35
	v_ashrrev_i32_e32 v32, 31, v31
	v_lshlrev_b64 v[31:32], 4, v[31:32]
	v_fma_f64 v[38:39], v[3:4], -v[33:34], v[5:6]
	v_add_u32_e32 v3, 7, v16
	v_ashrrev_i32_e32 v4, 31, v3
	v_lshlrev_b64 v[3:4], 4, v[3:4]
	v_mov_b32_e32 v5, s21
	v_add_co_u32_e32 v3, vcc, s20, v3
	v_addc_co_u32_e32 v4, vcc, v5, v4, vcc
	v_add_co_u32_e32 v31, vcc, s20, v31
	v_addc_co_u32_e32 v32, vcc, v17, v32, vcc
	global_load_dwordx4 v[3:6], v[3:4], off
	s_nop 0
	global_load_dwordx4 v[31:34], v[31:32], off
	s_waitcnt vmcnt(0)
	v_fma_f64 v[36:37], v[3:4], v[31:32], v[36:37]
	v_fma_f64 v[36:37], v[5:6], v[33:34], v[36:37]
	v_fma_f64 v[5:6], v[5:6], v[31:32], v[38:39]
	v_add_u32_e32 v31, 14, v35
	v_ashrrev_i32_e32 v32, 31, v31
	v_lshlrev_b64 v[31:32], 4, v[31:32]
	v_fma_f64 v[38:39], v[3:4], -v[33:34], v[5:6]
	v_add_u32_e32 v3, 14, v16
	v_ashrrev_i32_e32 v4, 31, v3
	v_lshlrev_b64 v[3:4], 4, v[3:4]
	v_mov_b32_e32 v5, s21
	v_add_co_u32_e32 v3, vcc, s20, v3
	v_addc_co_u32_e32 v4, vcc, v5, v4, vcc
	v_add_co_u32_e32 v31, vcc, s20, v31
	;; [unrolled: 19-line block ×5, first 2 shown]
	v_addc_co_u32_e32 v32, vcc, v17, v32, vcc
	global_load_dwordx4 v[3:6], v[3:4], off
	s_nop 0
	global_load_dwordx4 v[31:34], v[31:32], off
	s_waitcnt vmcnt(0)
	v_fma_f64 v[36:37], v[3:4], v[31:32], v[36:37]
	v_fma_f64 v[40:41], v[5:6], v[33:34], v[36:37]
	;; [unrolled: 1-line block ×3, first 2 shown]
	v_fma_f64 v[5:6], v[3:4], -v[33:34], v[5:6]
	v_add_u32_e32 v3, 42, v16
	v_ashrrev_i32_e32 v4, 31, v3
	v_lshlrev_b64 v[3:4], 4, v[3:4]
	v_mov_b32_e32 v16, s21
	v_add_co_u32_e32 v3, vcc, s20, v3
	v_addc_co_u32_e32 v4, vcc, v16, v4, vcc
	global_load_dwordx4 v[31:34], v[3:4], off
	v_add_u32_e32 v3, 42, v35
	v_ashrrev_i32_e32 v4, 31, v3
	v_lshlrev_b64 v[3:4], 4, v[3:4]
	v_add_co_u32_e32 v3, vcc, s20, v3
	v_addc_co_u32_e32 v4, vcc, v16, v4, vcc
	global_load_dwordx4 v[35:38], v[3:4], off
	s_waitcnt vmcnt(0)
	v_fma_f64 v[3:4], v[31:32], v[35:36], v[40:41]
	v_fma_f64 v[5:6], v[33:34], v[35:36], v[5:6]
	;; [unrolled: 1-line block ×3, first 2 shown]
	v_fma_f64 v[5:6], v[31:32], -v[37:38], v[5:6]
	s_cbranch_execz .LBB65_28
.LBB65_26:                              ;   in Loop: Header=BB65_24 Depth=2
	s_add_i32 s24, s24, -1
	s_add_i32 s25, s25, 4
	s_cmp_eq_u32 s24, 0
	s_cbranch_scc0 .LBB65_29
	s_branch .LBB65_30
.LBB65_27:                              ;   in Loop: Header=BB65_24 Depth=2
	s_andn2_b64 vcc, exec, s[2:3]
	s_cbranch_vccnz .LBB65_26
.LBB65_28:                              ;   in Loop: Header=BB65_24 Depth=2
	s_waitcnt lgkmcnt(0)
	v_add_u32_e32 v3, v14, v23
	v_ashrrev_i32_e32 v4, 31, v3
	v_lshlrev_b64 v[3:4], 4, v[3:4]
	v_add_u32_e32 v14, v15, v22
	v_ashrrev_i32_e32 v15, 31, v14
	v_add_co_u32_e32 v55, vcc, s20, v3
	v_mov_b32_e32 v3, s21
	v_lshlrev_b64 v[14:15], 4, v[14:15]
	v_addc_co_u32_e32 v56, vcc, v3, v4, vcc
	v_add_co_u32_e32 v57, vcc, s20, v14
	v_mov_b32_e32 v14, s21
	v_addc_co_u32_e32 v58, vcc, v14, v15, vcc
	global_load_dwordx4 v[3:6], v[55:56], off offset:48
	global_load_dwordx4 v[31:34], v[55:56], off offset:32
	;; [unrolled: 1-line block ×3, first 2 shown]
	global_load_dwordx4 v[39:42], v[55:56], off
	global_load_dwordx4 v[14:17], v[57:58], off offset:48
	global_load_dwordx4 v[43:46], v[57:58], off offset:32
	;; [unrolled: 1-line block ×3, first 2 shown]
	global_load_dwordx4 v[51:54], v[57:58], off
	s_waitcnt vmcnt(0)
	v_fma_f64 v[9:10], v[39:40], v[51:52], v[9:10]
	v_fma_f64 v[7:8], v[41:42], v[51:52], v[7:8]
	v_fma_f64 v[9:10], v[41:42], v[53:54], v[9:10]
	v_fma_f64 v[7:8], v[39:40], -v[53:54], v[7:8]
	v_fma_f64 v[9:10], v[35:36], v[47:48], v[9:10]
	v_fma_f64 v[7:8], v[37:38], v[47:48], v[7:8]
	v_fma_f64 v[9:10], v[37:38], v[49:50], v[9:10]
	v_fma_f64 v[7:8], v[35:36], -v[49:50], v[7:8]
	;; [unrolled: 4-line block ×4, first 2 shown]
	global_load_dwordx4 v[5:8], v[55:56], off offset:96
	global_load_dwordx4 v[14:17], v[55:56], off offset:80
	global_load_dwordx4 v[31:34], v[55:56], off offset:64
	global_load_dwordx4 v[35:38], v[57:58], off offset:96
	global_load_dwordx4 v[39:42], v[57:58], off offset:80
	global_load_dwordx4 v[43:46], v[57:58], off offset:64
	s_waitcnt vmcnt(0)
	v_fma_f64 v[9:10], v[31:32], v[43:44], v[9:10]
	v_fma_f64 v[3:4], v[33:34], v[43:44], v[3:4]
	v_fma_f64 v[9:10], v[33:34], v[45:46], v[9:10]
	v_fma_f64 v[3:4], v[31:32], -v[45:46], v[3:4]
	v_fma_f64 v[9:10], v[14:15], v[39:40], v[9:10]
	v_fma_f64 v[3:4], v[16:17], v[39:40], v[3:4]
	v_fma_f64 v[9:10], v[16:17], v[41:42], v[9:10]
	v_fma_f64 v[14:15], v[14:15], -v[41:42], v[3:4]
	;; [unrolled: 4-line block ×3, first 2 shown]
	s_add_i32 s24, s24, -1
	s_add_i32 s25, s25, 4
	s_cmp_eq_u32 s24, 0
	s_cbranch_scc1 .LBB65_30
.LBB65_29:                              ;   in Loop: Header=BB65_24 Depth=2
	v_mov_b32_e32 v8, v6
	v_mov_b32_e32 v10, v4
	;; [unrolled: 1-line block ×4, first 2 shown]
	s_branch .LBB65_24
.LBB65_30:                              ;   in Loop: Header=BB65_7 Depth=1
	s_mov_b32 s26, 0
	s_mov_b32 s27, 0
	ds_write_b128 v28, v[3:6]
	s_waitcnt lgkmcnt(0)
	s_branch .LBB65_32
.LBB65_31:                              ;   in Loop: Header=BB65_32 Depth=2
	v_mul_f64 v[32:33], v[16:17], v[16:17]
	s_waitcnt lgkmcnt(0)
	v_add_f64 v[5:6], v[5:6], -v[9:10]
	v_add_f64 v[3:4], v[3:4], -v[7:8]
	s_addk_i32 s26, 0x80
	v_fma_f64 v[32:33], v[14:15], v[14:15], v[32:33]
	v_mul_f64 v[7:8], v[16:17], v[5:6]
	v_mul_f64 v[16:17], v[16:17], -v[3:4]
	v_div_scale_f64 v[34:35], s[2:3], v[32:33], v[32:33], 1.0
	v_fma_f64 v[3:4], v[3:4], v[14:15], v[7:8]
	v_fma_f64 v[5:6], v[5:6], v[14:15], v[16:17]
	v_rcp_f64_e32 v[36:37], v[34:35]
	v_fma_f64 v[38:39], -v[34:35], v[36:37], 1.0
	v_fma_f64 v[36:37], v[36:37], v[38:39], v[36:37]
	v_div_scale_f64 v[38:39], vcc, 1.0, v[32:33], 1.0
	v_fma_f64 v[40:41], -v[34:35], v[36:37], 1.0
	v_fma_f64 v[36:37], v[36:37], v[40:41], v[36:37]
	v_mul_f64 v[40:41], v[38:39], v[36:37]
	v_fma_f64 v[34:35], -v[34:35], v[40:41], v[38:39]
	v_div_fmas_f64 v[9:10], v[34:35], v[36:37], v[40:41]
	v_div_fixup_f64 v[7:8], v[9:10], v[32:33], 1.0
	v_mul_f64 v[3:4], v[7:8], v[3:4]
	v_mul_f64 v[5:6], v[7:8], v[5:6]
	v_lshl_add_u32 v7, s27, 4, v29
	s_add_i32 s27, s27, 1
	s_cmp_eq_u32 s27, 7
	ds_write_b128 v31, v[3:6]
	s_waitcnt lgkmcnt(0)
	ds_read_b128 v[7:10], v7
	ds_read_b128 v[14:17], v20
	s_waitcnt lgkmcnt(0)
	v_fma_f64 v[14:15], v[3:4], v[7:8], v[14:15]
	v_fma_f64 v[7:8], v[5:6], v[7:8], v[16:17]
	;; [unrolled: 1-line block ×3, first 2 shown]
	v_fma_f64 v[7:8], v[3:4], -v[9:10], v[7:8]
	ds_write_b128 v20, v[5:8]
	s_waitcnt lgkmcnt(0)
	s_cbranch_scc1 .LBB65_6
.LBB65_32:                              ;   Parent Loop BB65_7 Depth=1
                                        ; =>  This Loop Header: Depth=2
                                        ;       Child Loop BB65_37 Depth 3
	s_lshl_b32 s24, s27, 4
	s_lshl_b32 s2, s27, 7
	s_add_i32 s2, s2, s24
	v_mov_b32_e32 v3, s2
	ds_read_b128 v[7:10], v3
	v_add_u32_e32 v31, s24, v24
	ds_read_b128 v[3:6], v31
	s_waitcnt lgkmcnt(1)
	v_cmp_neq_f64_e32 vcc, 0, v[7:8]
	v_cmp_neq_f64_e64 s[2:3], 0, v[9:10]
	s_or_b64 vcc, vcc, s[2:3]
	v_cndmask_b32_e32 v15, v30, v8, vcc
	s_nor_b64 s[24:25], vcc, s[0:1]
	v_cndmask_b32_e32 v14, 0, v7, vcc
	v_cndmask_b32_e32 v17, 0, v10, vcc
	;; [unrolled: 1-line block ×3, first 2 shown]
	s_and_saveexec_b64 s[2:3], s[24:25]
	s_cbranch_execz .LBB65_36
; %bb.33:                               ;   in Loop: Header=BB65_32 Depth=2
	v_mbcnt_lo_u32_b32 v7, exec_lo, 0
	v_mbcnt_hi_u32_b32 v7, exec_hi, v7
	v_cmp_eq_u32_e32 vcc, 0, v7
	s_and_saveexec_b64 s[24:25], vcc
	s_cbranch_execz .LBB65_35
; %bb.34:                               ;   in Loop: Header=BB65_32 Depth=2
	v_mov_b32_e32 v7, s23
	global_atomic_smin v2, v7, s[14:15]
.LBB65_35:                              ;   in Loop: Header=BB65_32 Depth=2
	s_or_b64 exec, exec, s[24:25]
	v_mov_b32_e32 v16, 0
	v_mov_b32_e32 v14, 0
	;; [unrolled: 1-line block ×4, first 2 shown]
.LBB65_36:                              ;   in Loop: Header=BB65_32 Depth=2
	s_or_b64 exec, exec, s[2:3]
	v_lshl_add_u32 v7, s27, 4, v27
	ds_read_b128 v[7:10], v7
	s_cmp_eq_u32 s27, 0
	v_mov_b32_e32 v32, v24
	s_mov_b32 s2, s26
	s_mov_b32 s3, s27
	s_cbranch_scc1 .LBB65_31
.LBB65_37:                              ;   Parent Loop BB65_7 Depth=1
                                        ;     Parent Loop BB65_32 Depth=2
                                        ; =>    This Inner Loop Header: Depth=3
	v_mov_b32_e32 v37, s2
	ds_read_b128 v[33:36], v32
	ds_read_b128 v[37:40], v37
	s_add_i32 s3, s3, -1
	s_add_i32 s2, s2, 16
	s_cmp_eq_u32 s3, 0
	v_add_u32_e32 v32, 16, v32
	s_waitcnt lgkmcnt(0)
	v_fma_f64 v[7:8], v[37:38], v[33:34], v[7:8]
	v_fma_f64 v[9:10], v[39:40], v[33:34], v[9:10]
	;; [unrolled: 1-line block ×3, first 2 shown]
	v_fma_f64 v[9:10], v[37:38], -v[35:36], v[9:10]
	s_cbranch_scc0 .LBB65_37
	s_branch .LBB65_31
.LBB65_38:                              ;   in Loop: Header=BB65_7 Depth=1
                                        ; implicit-def: $sgpr22
	s_cbranch_execz .LBB65_7
.LBB65_39:
	s_cmp_lg_u32 s33, 0
	s_cselect_b64 s[8:9], -1, 0
	s_cmp_eq_u32 s33, 0
	v_mov_b32_e32 v2, v18
	s_cbranch_scc1 .LBB65_41
; %bb.40:
	v_mad_u32_u24 v2, v0, 7, v1
.LBB65_41:
	s_mul_i32 s18, s30, 49
	v_add_u32_e32 v2, s18, v2
	v_ashrrev_i32_e32 v3, 31, v2
	v_lshlrev_b64 v[2:3], 4, v[2:3]
	v_mov_b32_e32 v4, s21
	v_add_co_u32_e32 v2, vcc, s20, v2
	v_addc_co_u32_e32 v3, vcc, v4, v3, vcc
	global_load_dwordx4 v[2:5], v[2:3], off
	v_mov_b32_e32 v6, 0x700
	v_lshl_add_u32 v9, v1, 7, v6
	v_cmp_ne_u32_e64 s[2:3], 0, v1
	v_lshl_add_u32 v8, v0, 4, v9
	v_cmp_eq_u32_e32 vcc, 0, v1
	s_waitcnt vmcnt(0)
	ds_write2_b64 v8, v[2:3], v[4:5] offset1:1
	s_waitcnt lgkmcnt(0)
	s_and_saveexec_b64 s[0:1], vcc
	s_cbranch_execz .LBB65_50
; %bb.42:
	v_mov_b32_e32 v6, 0
	ds_read_b128 v[2:5], v6 offset:2688
	ds_read_b128 v[10:13], v6 offset:1792
	s_waitcnt lgkmcnt(0)
	v_add_f64 v[2:3], v[10:11], -v[2:3]
	v_add_f64 v[6:7], v[12:13], -v[4:5]
	v_cmp_gt_f64_e32 vcc, 0, v[2:3]
	v_xor_b32_e32 v4, 0x80000000, v3
	v_xor_b32_e32 v5, 0x80000000, v7
	v_cndmask_b32_e32 v3, v3, v4, vcc
	v_cmp_gt_f64_e32 vcc, 0, v[6:7]
	v_mov_b32_e32 v4, v6
	v_cndmask_b32_e32 v5, v7, v5, vcc
	v_cmp_ngt_f64_e32 vcc, v[2:3], v[4:5]
	s_cbranch_vccz .LBB65_47
; %bb.43:
	v_cmp_eq_f64_e32 vcc, 0, v[6:7]
	s_mov_b64 s[4:5], 0
	s_cbranch_vccnz .LBB65_143
; %bb.44:
	v_div_scale_f64 v[6:7], s[16:17], v[4:5], v[4:5], v[2:3]
	s_mov_b32 s16, 0
	s_brev_b32 s17, 8
	v_rcp_f64_e32 v[10:11], v[6:7]
	v_fma_f64 v[12:13], -v[6:7], v[10:11], 1.0
	v_fma_f64 v[10:11], v[10:11], v[12:13], v[10:11]
	v_div_scale_f64 v[12:13], vcc, v[2:3], v[4:5], v[2:3]
	v_fma_f64 v[14:15], -v[6:7], v[10:11], 1.0
	v_fma_f64 v[10:11], v[10:11], v[14:15], v[10:11]
	v_mul_f64 v[14:15], v[12:13], v[10:11]
	v_fma_f64 v[6:7], -v[6:7], v[14:15], v[12:13]
	v_div_fmas_f64 v[6:7], v[6:7], v[10:11], v[14:15]
	v_div_fixup_f64 v[6:7], v[6:7], v[4:5], v[2:3]
	v_fma_f64 v[6:7], v[6:7], v[6:7], 1.0
	v_cmp_gt_f64_e32 vcc, s[16:17], v[6:7]
	s_and_b64 s[16:17], vcc, exec
	s_cselect_b32 s16, 0x100, 0
	v_ldexp_f64 v[6:7], v[6:7], s16
	s_cselect_b32 s16, 0xffffff80, 0
	v_rsq_f64_e32 v[10:11], v[6:7]
	v_mul_f64 v[12:13], v[6:7], v[10:11]
	v_mul_f64 v[10:11], v[10:11], 0.5
	v_fma_f64 v[14:15], -v[10:11], v[12:13], 0.5
	v_fma_f64 v[12:13], v[12:13], v[14:15], v[12:13]
	v_fma_f64 v[10:11], v[10:11], v[14:15], v[10:11]
	v_fma_f64 v[14:15], -v[12:13], v[12:13], v[6:7]
	v_fma_f64 v[12:13], v[14:15], v[10:11], v[12:13]
	v_fma_f64 v[14:15], -v[12:13], v[12:13], v[6:7]
	v_fma_f64 v[10:11], v[14:15], v[10:11], v[12:13]
	v_mov_b32_e32 v12, 0x260
	v_cmp_class_f64_e32 vcc, v[6:7], v12
	v_ldexp_f64 v[10:11], v[10:11], s16
	v_cndmask_b32_e32 v7, v11, v7, vcc
	v_cndmask_b32_e32 v6, v10, v6, vcc
	v_mul_f64 v[6:7], v[4:5], v[6:7]
	s_andn2_b64 vcc, exec, s[4:5]
	s_cbranch_vccz .LBB65_48
	s_branch .LBB65_49
.LBB65_45:
	s_cbranch_execnz .LBB65_137
.LBB65_46:
	s_endpgm
.LBB65_47:
                                        ; implicit-def: $vgpr6_vgpr7
.LBB65_48:
	v_div_scale_f64 v[6:7], s[4:5], v[2:3], v[2:3], v[4:5]
	s_mov_b32 s4, 0
	s_brev_b32 s5, 8
	v_rcp_f64_e32 v[10:11], v[6:7]
	v_fma_f64 v[12:13], -v[6:7], v[10:11], 1.0
	v_fma_f64 v[10:11], v[10:11], v[12:13], v[10:11]
	v_div_scale_f64 v[12:13], vcc, v[4:5], v[2:3], v[4:5]
	v_fma_f64 v[14:15], -v[6:7], v[10:11], 1.0
	v_fma_f64 v[10:11], v[10:11], v[14:15], v[10:11]
	v_mul_f64 v[14:15], v[12:13], v[10:11]
	v_fma_f64 v[6:7], -v[6:7], v[14:15], v[12:13]
	v_div_fmas_f64 v[6:7], v[6:7], v[10:11], v[14:15]
	v_div_fixup_f64 v[4:5], v[6:7], v[2:3], v[4:5]
	v_fma_f64 v[4:5], v[4:5], v[4:5], 1.0
	v_cmp_gt_f64_e32 vcc, s[4:5], v[4:5]
	s_and_b64 s[4:5], vcc, exec
	s_cselect_b32 s4, 0x100, 0
	v_ldexp_f64 v[4:5], v[4:5], s4
	s_cselect_b32 s4, 0xffffff80, 0
	v_rsq_f64_e32 v[6:7], v[4:5]
	v_mul_f64 v[10:11], v[4:5], v[6:7]
	v_mul_f64 v[6:7], v[6:7], 0.5
	v_fma_f64 v[12:13], -v[6:7], v[10:11], 0.5
	v_fma_f64 v[10:11], v[10:11], v[12:13], v[10:11]
	v_fma_f64 v[6:7], v[6:7], v[12:13], v[6:7]
	v_fma_f64 v[12:13], -v[10:11], v[10:11], v[4:5]
	v_fma_f64 v[10:11], v[12:13], v[6:7], v[10:11]
	v_fma_f64 v[12:13], -v[10:11], v[10:11], v[4:5]
	v_fma_f64 v[6:7], v[12:13], v[6:7], v[10:11]
	v_mov_b32_e32 v10, 0x260
	v_cmp_class_f64_e32 vcc, v[4:5], v10
	v_ldexp_f64 v[6:7], v[6:7], s4
	v_cndmask_b32_e32 v5, v7, v5, vcc
	v_cndmask_b32_e32 v4, v6, v4, vcc
	v_mul_f64 v[6:7], v[2:3], v[4:5]
.LBB65_49:
	s_mov_b32 s4, 0
	s_brev_b32 s5, 8
	v_cmp_gt_f64_e32 vcc, s[4:5], v[6:7]
	s_and_b64 s[4:5], vcc, exec
	s_cselect_b32 s4, 0x100, 0
	v_ldexp_f64 v[2:3], v[6:7], s4
	s_cselect_b32 s4, 0xffffff80, 0
	v_rsq_f64_e32 v[4:5], v[2:3]
	v_mul_f64 v[6:7], v[2:3], v[4:5]
	v_mul_f64 v[4:5], v[4:5], 0.5
	v_fma_f64 v[10:11], -v[4:5], v[6:7], 0.5
	v_fma_f64 v[6:7], v[6:7], v[10:11], v[6:7]
	v_fma_f64 v[4:5], v[4:5], v[10:11], v[4:5]
	v_fma_f64 v[10:11], -v[6:7], v[6:7], v[2:3]
	v_fma_f64 v[6:7], v[10:11], v[4:5], v[6:7]
	v_fma_f64 v[10:11], -v[6:7], v[6:7], v[2:3]
	v_fma_f64 v[4:5], v[10:11], v[4:5], v[6:7]
	v_mov_b32_e32 v7, 0x260
	v_cmp_class_f64_e32 vcc, v[2:3], v7
	v_ldexp_f64 v[5:6], v[4:5], s4
	v_mov_b32_e32 v4, 0
	v_cndmask_b32_e32 v3, v6, v3, vcc
	v_cndmask_b32_e32 v2, v5, v2, vcc
	v_mov_b32_e32 v5, v4
	ds_write_b128 v4, v[2:5] offset:1792
.LBB65_50:
	s_or_b64 exec, exec, s[0:1]
	v_mov_b32_e32 v2, 0
	s_waitcnt lgkmcnt(0)
	ds_read_b128 v[2:5], v2 offset:1792
	v_or_b32_e32 v10, v0, v1
	v_mov_b32_e32 v6, 0x3ff00000
	v_cmp_ne_u32_e64 s[0:1], 0, v10
	s_add_i32 s19, s12, s13
	s_waitcnt lgkmcnt(0)
	v_cmp_neq_f64_e32 vcc, 0, v[2:3]
	v_cmp_neq_f64_e64 s[4:5], 0, v[4:5]
	s_or_b64 vcc, vcc, s[4:5]
	v_cndmask_b32_e32 v3, v6, v3, vcc
	s_nor_b64 s[16:17], vcc, s[0:1]
	v_cndmask_b32_e32 v2, 0, v2, vcc
	v_cndmask_b32_e32 v5, 0, v5, vcc
	;; [unrolled: 1-line block ×3, first 2 shown]
	s_and_saveexec_b64 s[4:5], s[16:17]
	s_cbranch_execz .LBB65_54
; %bb.51:
	v_mbcnt_lo_u32_b32 v2, exec_lo, 0
	v_mbcnt_hi_u32_b32 v2, exec_hi, v2
	v_cmp_eq_u32_e32 vcc, 0, v2
	s_and_saveexec_b64 s[16:17], vcc
	s_cbranch_execz .LBB65_53
; %bb.52:
	v_mov_b32_e32 v2, 0
	v_mov_b32_e32 v3, s19
	global_atomic_smin v2, v3, s[14:15]
.LBB65_53:
	s_or_b64 exec, exec, s[16:17]
	v_mov_b32_e32 v4, 0
	v_mov_b32_e32 v2, 0
	;; [unrolled: 1-line block ×4, first 2 shown]
.LBB65_54:
	s_or_b64 exec, exec, s[4:5]
	v_mov_b32_e32 v6, 0x700
	v_lshl_add_u32 v11, v0, 7, v6
	s_and_saveexec_b64 s[4:5], s[2:3]
	s_cbranch_execz .LBB65_56
; %bb.55:
	v_mul_f64 v[6:7], v[4:5], v[4:5]
	v_fma_f64 v[6:7], v[2:3], v[2:3], v[6:7]
	v_div_scale_f64 v[12:13], s[2:3], v[6:7], v[6:7], 1.0
	v_rcp_f64_e32 v[14:15], v[12:13]
	v_fma_f64 v[16:17], -v[12:13], v[14:15], 1.0
	v_fma_f64 v[14:15], v[14:15], v[16:17], v[14:15]
	v_div_scale_f64 v[16:17], vcc, 1.0, v[6:7], 1.0
	v_fma_f64 v[22:23], -v[12:13], v[14:15], 1.0
	v_fma_f64 v[26:27], v[14:15], v[22:23], v[14:15]
	v_mul_f64 v[28:29], v[16:17], v[26:27]
	v_fma_f64 v[16:17], -v[12:13], v[28:29], v[16:17]
	ds_read_b128 v[12:15], v9
	ds_read_b128 v[22:25], v21
	s_waitcnt lgkmcnt(0)
	v_add_f64 v[14:15], v[14:15], -v[24:25]
	v_add_f64 v[12:13], v[12:13], -v[22:23]
	v_div_fmas_f64 v[16:17], v[16:17], v[26:27], v[28:29]
	v_mul_f64 v[22:23], v[4:5], v[14:15]
	v_mul_f64 v[4:5], v[4:5], -v[12:13]
	v_fma_f64 v[12:13], v[12:13], v[2:3], v[22:23]
	v_fma_f64 v[4:5], v[14:15], v[2:3], v[4:5]
	v_div_fixup_f64 v[6:7], v[16:17], v[6:7], 1.0
	v_mul_f64 v[2:3], v[6:7], v[12:13]
	v_mul_f64 v[4:5], v[6:7], v[4:5]
	ds_write_b128 v9, v[2:5]
	s_waitcnt lgkmcnt(0)
	ds_read_b128 v[12:15], v11
	ds_read_b128 v[22:25], v20
	s_waitcnt lgkmcnt(0)
	v_fma_f64 v[6:7], v[2:3], v[12:13], v[22:23]
	v_fma_f64 v[12:13], v[4:5], v[12:13], v[24:25]
	;; [unrolled: 1-line block ×3, first 2 shown]
	v_fma_f64 v[6:7], v[2:3], -v[14:15], v[12:13]
	ds_write_b128 v20, v[4:7]
.LBB65_56:
	s_or_b64 exec, exec, s[4:5]
	v_cmp_eq_u32_e32 vcc, 1, v1
	s_waitcnt lgkmcnt(0)
	s_and_saveexec_b64 s[2:3], vcc
	s_cbranch_execz .LBB65_63
; %bb.57:
	v_mov_b32_e32 v6, 0
	ds_read_b128 v[2:5], v6 offset:2832
	ds_read_b128 v[12:15], v6 offset:1936
	s_waitcnt lgkmcnt(0)
	v_add_f64 v[2:3], v[12:13], -v[2:3]
	v_add_f64 v[6:7], v[14:15], -v[4:5]
	v_cmp_gt_f64_e32 vcc, 0, v[2:3]
	v_xor_b32_e32 v4, 0x80000000, v3
	v_xor_b32_e32 v5, 0x80000000, v7
	v_cndmask_b32_e32 v3, v3, v4, vcc
	v_cmp_gt_f64_e32 vcc, 0, v[6:7]
	v_mov_b32_e32 v4, v6
	v_cndmask_b32_e32 v5, v7, v5, vcc
	v_cmp_gt_f64_e32 vcc, v[2:3], v[4:5]
	s_cbranch_vccnz .LBB65_60
; %bb.58:
	v_cmp_eq_f64_e32 vcc, 0, v[6:7]
	s_mov_b64 s[4:5], 0
	s_cbranch_vccnz .LBB65_144
; %bb.59:
	v_div_scale_f64 v[6:7], s[16:17], v[4:5], v[4:5], v[2:3]
	s_mov_b32 s16, 0
	s_brev_b32 s17, 8
	v_rcp_f64_e32 v[12:13], v[6:7]
	v_fma_f64 v[14:15], -v[6:7], v[12:13], 1.0
	v_fma_f64 v[12:13], v[12:13], v[14:15], v[12:13]
	v_div_scale_f64 v[14:15], vcc, v[2:3], v[4:5], v[2:3]
	v_fma_f64 v[16:17], -v[6:7], v[12:13], 1.0
	v_fma_f64 v[12:13], v[12:13], v[16:17], v[12:13]
	v_mul_f64 v[16:17], v[14:15], v[12:13]
	v_fma_f64 v[6:7], -v[6:7], v[16:17], v[14:15]
	v_div_fmas_f64 v[6:7], v[6:7], v[12:13], v[16:17]
	v_div_fixup_f64 v[6:7], v[6:7], v[4:5], v[2:3]
	v_fma_f64 v[6:7], v[6:7], v[6:7], 1.0
	v_cmp_gt_f64_e32 vcc, s[16:17], v[6:7]
	s_and_b64 s[16:17], vcc, exec
	s_cselect_b32 s16, 0x100, 0
	v_ldexp_f64 v[6:7], v[6:7], s16
	s_cselect_b32 s16, 0xffffff80, 0
	v_rsq_f64_e32 v[12:13], v[6:7]
	v_mul_f64 v[14:15], v[6:7], v[12:13]
	v_mul_f64 v[12:13], v[12:13], 0.5
	v_fma_f64 v[16:17], -v[12:13], v[14:15], 0.5
	v_fma_f64 v[14:15], v[14:15], v[16:17], v[14:15]
	v_fma_f64 v[12:13], v[12:13], v[16:17], v[12:13]
	v_fma_f64 v[16:17], -v[14:15], v[14:15], v[6:7]
	v_fma_f64 v[14:15], v[16:17], v[12:13], v[14:15]
	v_fma_f64 v[16:17], -v[14:15], v[14:15], v[6:7]
	v_fma_f64 v[12:13], v[16:17], v[12:13], v[14:15]
	v_mov_b32_e32 v14, 0x260
	v_cmp_class_f64_e32 vcc, v[6:7], v14
	v_ldexp_f64 v[12:13], v[12:13], s16
	v_cndmask_b32_e32 v7, v13, v7, vcc
	v_cndmask_b32_e32 v6, v12, v6, vcc
	v_mul_f64 v[6:7], v[4:5], v[6:7]
	s_andn2_b64 vcc, exec, s[4:5]
	s_cbranch_vccz .LBB65_61
	s_branch .LBB65_62
.LBB65_60:
                                        ; implicit-def: $vgpr6_vgpr7
.LBB65_61:
	v_div_scale_f64 v[6:7], s[4:5], v[2:3], v[2:3], v[4:5]
	s_mov_b32 s4, 0
	s_brev_b32 s5, 8
	v_rcp_f64_e32 v[12:13], v[6:7]
	v_fma_f64 v[14:15], -v[6:7], v[12:13], 1.0
	v_fma_f64 v[12:13], v[12:13], v[14:15], v[12:13]
	v_div_scale_f64 v[14:15], vcc, v[4:5], v[2:3], v[4:5]
	v_fma_f64 v[16:17], -v[6:7], v[12:13], 1.0
	v_fma_f64 v[12:13], v[12:13], v[16:17], v[12:13]
	v_mul_f64 v[16:17], v[14:15], v[12:13]
	v_fma_f64 v[6:7], -v[6:7], v[16:17], v[14:15]
	v_div_fmas_f64 v[6:7], v[6:7], v[12:13], v[16:17]
	v_div_fixup_f64 v[4:5], v[6:7], v[2:3], v[4:5]
	v_fma_f64 v[4:5], v[4:5], v[4:5], 1.0
	v_cmp_gt_f64_e32 vcc, s[4:5], v[4:5]
	s_and_b64 s[4:5], vcc, exec
	s_cselect_b32 s4, 0x100, 0
	v_ldexp_f64 v[4:5], v[4:5], s4
	s_cselect_b32 s4, 0xffffff80, 0
	v_rsq_f64_e32 v[6:7], v[4:5]
	v_mul_f64 v[12:13], v[4:5], v[6:7]
	v_mul_f64 v[6:7], v[6:7], 0.5
	v_fma_f64 v[14:15], -v[6:7], v[12:13], 0.5
	v_fma_f64 v[12:13], v[12:13], v[14:15], v[12:13]
	v_fma_f64 v[6:7], v[6:7], v[14:15], v[6:7]
	v_fma_f64 v[14:15], -v[12:13], v[12:13], v[4:5]
	v_fma_f64 v[12:13], v[14:15], v[6:7], v[12:13]
	v_fma_f64 v[14:15], -v[12:13], v[12:13], v[4:5]
	v_fma_f64 v[6:7], v[14:15], v[6:7], v[12:13]
	v_mov_b32_e32 v12, 0x260
	v_cmp_class_f64_e32 vcc, v[4:5], v12
	v_ldexp_f64 v[6:7], v[6:7], s4
	v_cndmask_b32_e32 v5, v7, v5, vcc
	v_cndmask_b32_e32 v4, v6, v4, vcc
	v_mul_f64 v[6:7], v[2:3], v[4:5]
.LBB65_62:
	s_mov_b32 s4, 0
	s_brev_b32 s5, 8
	v_cmp_gt_f64_e32 vcc, s[4:5], v[6:7]
	s_and_b64 s[4:5], vcc, exec
	s_cselect_b32 s4, 0x100, 0
	v_ldexp_f64 v[2:3], v[6:7], s4
	s_cselect_b32 s4, 0xffffff80, 0
	v_rsq_f64_e32 v[4:5], v[2:3]
	v_mul_f64 v[6:7], v[2:3], v[4:5]
	v_mul_f64 v[4:5], v[4:5], 0.5
	v_fma_f64 v[12:13], -v[4:5], v[6:7], 0.5
	v_fma_f64 v[6:7], v[6:7], v[12:13], v[6:7]
	v_fma_f64 v[4:5], v[4:5], v[12:13], v[4:5]
	v_fma_f64 v[12:13], -v[6:7], v[6:7], v[2:3]
	v_fma_f64 v[6:7], v[12:13], v[4:5], v[6:7]
	v_fma_f64 v[12:13], -v[6:7], v[6:7], v[2:3]
	v_fma_f64 v[4:5], v[12:13], v[4:5], v[6:7]
	v_mov_b32_e32 v7, 0x260
	v_cmp_class_f64_e32 vcc, v[2:3], v7
	v_ldexp_f64 v[5:6], v[4:5], s4
	v_mov_b32_e32 v4, 0
	v_cndmask_b32_e32 v3, v6, v3, vcc
	v_cndmask_b32_e32 v2, v5, v2, vcc
	v_mov_b32_e32 v5, v4
	ds_write_b128 v4, v[2:5] offset:1936
.LBB65_63:
	s_or_b64 exec, exec, s[2:3]
	v_mov_b32_e32 v2, 0
	s_waitcnt lgkmcnt(0)
	ds_read_b128 v[2:5], v2 offset:1936
	v_mov_b32_e32 v6, 0x3ff00000
	s_waitcnt lgkmcnt(0)
	v_cmp_neq_f64_e32 vcc, 0, v[2:3]
	v_cmp_neq_f64_e64 s[2:3], 0, v[4:5]
	s_or_b64 vcc, vcc, s[2:3]
	v_cndmask_b32_e32 v3, v6, v3, vcc
	s_nor_b64 s[4:5], vcc, s[0:1]
	v_cndmask_b32_e32 v2, 0, v2, vcc
	v_cndmask_b32_e32 v5, 0, v5, vcc
	;; [unrolled: 1-line block ×3, first 2 shown]
	s_and_saveexec_b64 s[2:3], s[4:5]
	s_cbranch_execz .LBB65_67
; %bb.64:
	v_mbcnt_lo_u32_b32 v2, exec_lo, 0
	v_mbcnt_hi_u32_b32 v2, exec_hi, v2
	v_cmp_eq_u32_e32 vcc, 0, v2
	s_and_saveexec_b64 s[4:5], vcc
	s_cbranch_execz .LBB65_66
; %bb.65:
	v_mov_b32_e32 v2, 0
	v_mov_b32_e32 v3, s19
	global_atomic_smin v2, v3, s[14:15]
.LBB65_66:
	s_or_b64 exec, exec, s[4:5]
	v_mov_b32_e32 v4, 0
	v_mov_b32_e32 v2, 0
	;; [unrolled: 1-line block ×4, first 2 shown]
.LBB65_67:
	s_or_b64 exec, exec, s[2:3]
	v_cmp_lt_u32_e32 vcc, 1, v1
	s_and_saveexec_b64 s[2:3], vcc
	s_cbranch_execz .LBB65_69
; %bb.68:
	v_mul_f64 v[6:7], v[4:5], v[4:5]
	v_fma_f64 v[6:7], v[2:3], v[2:3], v[6:7]
	v_div_scale_f64 v[12:13], s[4:5], v[6:7], v[6:7], 1.0
	v_rcp_f64_e32 v[14:15], v[12:13]
	v_fma_f64 v[16:17], -v[12:13], v[14:15], 1.0
	v_fma_f64 v[14:15], v[14:15], v[16:17], v[14:15]
	v_div_scale_f64 v[16:17], vcc, 1.0, v[6:7], 1.0
	v_fma_f64 v[22:23], -v[12:13], v[14:15], 1.0
	v_fma_f64 v[26:27], v[14:15], v[22:23], v[14:15]
	v_mul_f64 v[28:29], v[16:17], v[26:27]
	v_fma_f64 v[16:17], -v[12:13], v[28:29], v[16:17]
	ds_read_b128 v[12:15], v9 offset:16
	ds_read_b128 v[22:25], v21 offset:16
	s_waitcnt lgkmcnt(0)
	v_add_f64 v[14:15], v[14:15], -v[24:25]
	v_add_f64 v[12:13], v[12:13], -v[22:23]
	v_div_fmas_f64 v[16:17], v[16:17], v[26:27], v[28:29]
	v_mul_f64 v[22:23], v[4:5], v[14:15]
	v_mul_f64 v[4:5], v[4:5], -v[12:13]
	v_fma_f64 v[12:13], v[12:13], v[2:3], v[22:23]
	v_fma_f64 v[4:5], v[14:15], v[2:3], v[4:5]
	v_div_fixup_f64 v[6:7], v[16:17], v[6:7], 1.0
	v_mul_f64 v[2:3], v[6:7], v[12:13]
	v_mul_f64 v[4:5], v[6:7], v[4:5]
	ds_write_b128 v9, v[2:5] offset:16
	s_waitcnt lgkmcnt(0)
	ds_read_b128 v[12:15], v11 offset:16
	ds_read_b128 v[22:25], v20
	s_waitcnt lgkmcnt(0)
	v_fma_f64 v[6:7], v[2:3], v[12:13], v[22:23]
	v_fma_f64 v[12:13], v[4:5], v[12:13], v[24:25]
	;; [unrolled: 1-line block ×3, first 2 shown]
	v_fma_f64 v[6:7], v[2:3], -v[14:15], v[12:13]
	ds_write_b128 v20, v[4:7]
.LBB65_69:
	s_or_b64 exec, exec, s[2:3]
	v_cmp_eq_u32_e32 vcc, 2, v1
	s_waitcnt lgkmcnt(0)
	s_and_saveexec_b64 s[2:3], vcc
	s_cbranch_execz .LBB65_76
; %bb.70:
	v_mov_b32_e32 v6, 0
	ds_read_b128 v[2:5], v6 offset:2976
	ds_read_b128 v[12:15], v6 offset:2080
	s_waitcnt lgkmcnt(0)
	v_add_f64 v[2:3], v[12:13], -v[2:3]
	v_add_f64 v[6:7], v[14:15], -v[4:5]
	v_cmp_gt_f64_e32 vcc, 0, v[2:3]
	v_xor_b32_e32 v4, 0x80000000, v3
	v_xor_b32_e32 v5, 0x80000000, v7
	v_cndmask_b32_e32 v3, v3, v4, vcc
	v_cmp_gt_f64_e32 vcc, 0, v[6:7]
	v_mov_b32_e32 v4, v6
	v_cndmask_b32_e32 v5, v7, v5, vcc
	v_cmp_gt_f64_e32 vcc, v[2:3], v[4:5]
	s_cbranch_vccnz .LBB65_73
; %bb.71:
	v_cmp_eq_f64_e32 vcc, 0, v[6:7]
	s_mov_b64 s[4:5], 0
	s_cbranch_vccnz .LBB65_145
; %bb.72:
	v_div_scale_f64 v[6:7], s[16:17], v[4:5], v[4:5], v[2:3]
	s_mov_b32 s16, 0
	s_brev_b32 s17, 8
	v_rcp_f64_e32 v[12:13], v[6:7]
	v_fma_f64 v[14:15], -v[6:7], v[12:13], 1.0
	v_fma_f64 v[12:13], v[12:13], v[14:15], v[12:13]
	v_div_scale_f64 v[14:15], vcc, v[2:3], v[4:5], v[2:3]
	v_fma_f64 v[16:17], -v[6:7], v[12:13], 1.0
	v_fma_f64 v[12:13], v[12:13], v[16:17], v[12:13]
	v_mul_f64 v[16:17], v[14:15], v[12:13]
	v_fma_f64 v[6:7], -v[6:7], v[16:17], v[14:15]
	v_div_fmas_f64 v[6:7], v[6:7], v[12:13], v[16:17]
	v_div_fixup_f64 v[6:7], v[6:7], v[4:5], v[2:3]
	v_fma_f64 v[6:7], v[6:7], v[6:7], 1.0
	v_cmp_gt_f64_e32 vcc, s[16:17], v[6:7]
	s_and_b64 s[16:17], vcc, exec
	s_cselect_b32 s16, 0x100, 0
	v_ldexp_f64 v[6:7], v[6:7], s16
	s_cselect_b32 s16, 0xffffff80, 0
	v_rsq_f64_e32 v[12:13], v[6:7]
	v_mul_f64 v[14:15], v[6:7], v[12:13]
	v_mul_f64 v[12:13], v[12:13], 0.5
	v_fma_f64 v[16:17], -v[12:13], v[14:15], 0.5
	v_fma_f64 v[14:15], v[14:15], v[16:17], v[14:15]
	v_fma_f64 v[12:13], v[12:13], v[16:17], v[12:13]
	v_fma_f64 v[16:17], -v[14:15], v[14:15], v[6:7]
	v_fma_f64 v[14:15], v[16:17], v[12:13], v[14:15]
	v_fma_f64 v[16:17], -v[14:15], v[14:15], v[6:7]
	v_fma_f64 v[12:13], v[16:17], v[12:13], v[14:15]
	v_mov_b32_e32 v14, 0x260
	v_cmp_class_f64_e32 vcc, v[6:7], v14
	v_ldexp_f64 v[12:13], v[12:13], s16
	v_cndmask_b32_e32 v7, v13, v7, vcc
	v_cndmask_b32_e32 v6, v12, v6, vcc
	v_mul_f64 v[6:7], v[4:5], v[6:7]
	s_andn2_b64 vcc, exec, s[4:5]
	s_cbranch_vccz .LBB65_74
	s_branch .LBB65_75
.LBB65_73:
                                        ; implicit-def: $vgpr6_vgpr7
.LBB65_74:
	v_div_scale_f64 v[6:7], s[4:5], v[2:3], v[2:3], v[4:5]
	s_mov_b32 s4, 0
	s_brev_b32 s5, 8
	v_rcp_f64_e32 v[12:13], v[6:7]
	v_fma_f64 v[14:15], -v[6:7], v[12:13], 1.0
	v_fma_f64 v[12:13], v[12:13], v[14:15], v[12:13]
	v_div_scale_f64 v[14:15], vcc, v[4:5], v[2:3], v[4:5]
	v_fma_f64 v[16:17], -v[6:7], v[12:13], 1.0
	v_fma_f64 v[12:13], v[12:13], v[16:17], v[12:13]
	v_mul_f64 v[16:17], v[14:15], v[12:13]
	v_fma_f64 v[6:7], -v[6:7], v[16:17], v[14:15]
	v_div_fmas_f64 v[6:7], v[6:7], v[12:13], v[16:17]
	v_div_fixup_f64 v[4:5], v[6:7], v[2:3], v[4:5]
	v_fma_f64 v[4:5], v[4:5], v[4:5], 1.0
	v_cmp_gt_f64_e32 vcc, s[4:5], v[4:5]
	s_and_b64 s[4:5], vcc, exec
	s_cselect_b32 s4, 0x100, 0
	v_ldexp_f64 v[4:5], v[4:5], s4
	s_cselect_b32 s4, 0xffffff80, 0
	v_rsq_f64_e32 v[6:7], v[4:5]
	v_mul_f64 v[12:13], v[4:5], v[6:7]
	v_mul_f64 v[6:7], v[6:7], 0.5
	v_fma_f64 v[14:15], -v[6:7], v[12:13], 0.5
	v_fma_f64 v[12:13], v[12:13], v[14:15], v[12:13]
	v_fma_f64 v[6:7], v[6:7], v[14:15], v[6:7]
	v_fma_f64 v[14:15], -v[12:13], v[12:13], v[4:5]
	v_fma_f64 v[12:13], v[14:15], v[6:7], v[12:13]
	v_fma_f64 v[14:15], -v[12:13], v[12:13], v[4:5]
	v_fma_f64 v[6:7], v[14:15], v[6:7], v[12:13]
	v_mov_b32_e32 v12, 0x260
	v_cmp_class_f64_e32 vcc, v[4:5], v12
	v_ldexp_f64 v[6:7], v[6:7], s4
	v_cndmask_b32_e32 v5, v7, v5, vcc
	v_cndmask_b32_e32 v4, v6, v4, vcc
	v_mul_f64 v[6:7], v[2:3], v[4:5]
.LBB65_75:
	s_mov_b32 s4, 0
	s_brev_b32 s5, 8
	v_cmp_gt_f64_e32 vcc, s[4:5], v[6:7]
	s_and_b64 s[4:5], vcc, exec
	s_cselect_b32 s4, 0x100, 0
	v_ldexp_f64 v[2:3], v[6:7], s4
	s_cselect_b32 s4, 0xffffff80, 0
	v_rsq_f64_e32 v[4:5], v[2:3]
	v_mul_f64 v[6:7], v[2:3], v[4:5]
	v_mul_f64 v[4:5], v[4:5], 0.5
	v_fma_f64 v[12:13], -v[4:5], v[6:7], 0.5
	v_fma_f64 v[6:7], v[6:7], v[12:13], v[6:7]
	v_fma_f64 v[4:5], v[4:5], v[12:13], v[4:5]
	v_fma_f64 v[12:13], -v[6:7], v[6:7], v[2:3]
	v_fma_f64 v[6:7], v[12:13], v[4:5], v[6:7]
	v_fma_f64 v[12:13], -v[6:7], v[6:7], v[2:3]
	v_fma_f64 v[4:5], v[12:13], v[4:5], v[6:7]
	v_mov_b32_e32 v7, 0x260
	v_cmp_class_f64_e32 vcc, v[2:3], v7
	v_ldexp_f64 v[5:6], v[4:5], s4
	v_mov_b32_e32 v4, 0
	v_cndmask_b32_e32 v3, v6, v3, vcc
	v_cndmask_b32_e32 v2, v5, v2, vcc
	v_mov_b32_e32 v5, v4
	ds_write_b128 v4, v[2:5] offset:2080
.LBB65_76:
	s_or_b64 exec, exec, s[2:3]
	v_mov_b32_e32 v2, 0
	s_waitcnt lgkmcnt(0)
	ds_read_b128 v[2:5], v2 offset:2080
	v_mov_b32_e32 v6, 0x3ff00000
	s_waitcnt lgkmcnt(0)
	v_cmp_neq_f64_e32 vcc, 0, v[2:3]
	v_cmp_neq_f64_e64 s[2:3], 0, v[4:5]
	s_or_b64 vcc, vcc, s[2:3]
	v_cndmask_b32_e32 v3, v6, v3, vcc
	s_nor_b64 s[4:5], vcc, s[0:1]
	v_cndmask_b32_e32 v2, 0, v2, vcc
	v_cndmask_b32_e32 v5, 0, v5, vcc
	;; [unrolled: 1-line block ×3, first 2 shown]
	s_and_saveexec_b64 s[2:3], s[4:5]
	s_cbranch_execz .LBB65_80
; %bb.77:
	v_mbcnt_lo_u32_b32 v2, exec_lo, 0
	v_mbcnt_hi_u32_b32 v2, exec_hi, v2
	v_cmp_eq_u32_e32 vcc, 0, v2
	s_and_saveexec_b64 s[4:5], vcc
	s_cbranch_execz .LBB65_79
; %bb.78:
	v_mov_b32_e32 v2, 0
	v_mov_b32_e32 v3, s19
	global_atomic_smin v2, v3, s[14:15]
.LBB65_79:
	s_or_b64 exec, exec, s[4:5]
	v_mov_b32_e32 v4, 0
	v_mov_b32_e32 v2, 0
	;; [unrolled: 1-line block ×4, first 2 shown]
.LBB65_80:
	s_or_b64 exec, exec, s[2:3]
	v_cmp_lt_u32_e32 vcc, 2, v1
	s_and_saveexec_b64 s[2:3], vcc
	s_cbranch_execz .LBB65_82
; %bb.81:
	v_mul_f64 v[6:7], v[4:5], v[4:5]
	v_fma_f64 v[6:7], v[2:3], v[2:3], v[6:7]
	v_div_scale_f64 v[12:13], s[4:5], v[6:7], v[6:7], 1.0
	v_rcp_f64_e32 v[14:15], v[12:13]
	v_fma_f64 v[16:17], -v[12:13], v[14:15], 1.0
	v_fma_f64 v[14:15], v[14:15], v[16:17], v[14:15]
	v_div_scale_f64 v[16:17], vcc, 1.0, v[6:7], 1.0
	v_fma_f64 v[22:23], -v[12:13], v[14:15], 1.0
	v_fma_f64 v[26:27], v[14:15], v[22:23], v[14:15]
	v_mul_f64 v[28:29], v[16:17], v[26:27]
	v_fma_f64 v[16:17], -v[12:13], v[28:29], v[16:17]
	ds_read_b128 v[12:15], v9 offset:32
	ds_read_b128 v[22:25], v21 offset:32
	s_waitcnt lgkmcnt(0)
	v_add_f64 v[14:15], v[14:15], -v[24:25]
	v_add_f64 v[12:13], v[12:13], -v[22:23]
	v_div_fmas_f64 v[16:17], v[16:17], v[26:27], v[28:29]
	v_mul_f64 v[22:23], v[4:5], v[14:15]
	v_mul_f64 v[4:5], v[4:5], -v[12:13]
	v_fma_f64 v[12:13], v[12:13], v[2:3], v[22:23]
	v_fma_f64 v[4:5], v[14:15], v[2:3], v[4:5]
	v_div_fixup_f64 v[6:7], v[16:17], v[6:7], 1.0
	v_mul_f64 v[2:3], v[6:7], v[12:13]
	v_mul_f64 v[4:5], v[6:7], v[4:5]
	ds_write_b128 v9, v[2:5] offset:32
	s_waitcnt lgkmcnt(0)
	ds_read_b128 v[12:15], v11 offset:32
	ds_read_b128 v[22:25], v20
	s_waitcnt lgkmcnt(0)
	v_fma_f64 v[6:7], v[2:3], v[12:13], v[22:23]
	v_fma_f64 v[12:13], v[4:5], v[12:13], v[24:25]
	;; [unrolled: 1-line block ×3, first 2 shown]
	v_fma_f64 v[6:7], v[2:3], -v[14:15], v[12:13]
	ds_write_b128 v20, v[4:7]
.LBB65_82:
	s_or_b64 exec, exec, s[2:3]
	v_cmp_eq_u32_e32 vcc, 3, v1
	s_waitcnt lgkmcnt(0)
	s_and_saveexec_b64 s[2:3], vcc
	s_cbranch_execz .LBB65_89
; %bb.83:
	v_mov_b32_e32 v6, 0
	ds_read_b128 v[2:5], v6 offset:3120
	ds_read_b128 v[12:15], v6 offset:2224
	s_waitcnt lgkmcnt(0)
	v_add_f64 v[2:3], v[12:13], -v[2:3]
	v_add_f64 v[6:7], v[14:15], -v[4:5]
	v_cmp_gt_f64_e32 vcc, 0, v[2:3]
	v_xor_b32_e32 v4, 0x80000000, v3
	v_xor_b32_e32 v5, 0x80000000, v7
	v_cndmask_b32_e32 v3, v3, v4, vcc
	v_cmp_gt_f64_e32 vcc, 0, v[6:7]
	v_mov_b32_e32 v4, v6
	v_cndmask_b32_e32 v5, v7, v5, vcc
	v_cmp_gt_f64_e32 vcc, v[2:3], v[4:5]
	s_cbranch_vccnz .LBB65_86
; %bb.84:
	v_cmp_eq_f64_e32 vcc, 0, v[6:7]
	s_mov_b64 s[4:5], 0
	s_cbranch_vccnz .LBB65_146
; %bb.85:
	v_div_scale_f64 v[6:7], s[16:17], v[4:5], v[4:5], v[2:3]
	s_mov_b32 s16, 0
	s_brev_b32 s17, 8
	v_rcp_f64_e32 v[12:13], v[6:7]
	v_fma_f64 v[14:15], -v[6:7], v[12:13], 1.0
	v_fma_f64 v[12:13], v[12:13], v[14:15], v[12:13]
	v_div_scale_f64 v[14:15], vcc, v[2:3], v[4:5], v[2:3]
	v_fma_f64 v[16:17], -v[6:7], v[12:13], 1.0
	v_fma_f64 v[12:13], v[12:13], v[16:17], v[12:13]
	v_mul_f64 v[16:17], v[14:15], v[12:13]
	v_fma_f64 v[6:7], -v[6:7], v[16:17], v[14:15]
	v_div_fmas_f64 v[6:7], v[6:7], v[12:13], v[16:17]
	v_div_fixup_f64 v[6:7], v[6:7], v[4:5], v[2:3]
	v_fma_f64 v[6:7], v[6:7], v[6:7], 1.0
	v_cmp_gt_f64_e32 vcc, s[16:17], v[6:7]
	s_and_b64 s[16:17], vcc, exec
	s_cselect_b32 s16, 0x100, 0
	v_ldexp_f64 v[6:7], v[6:7], s16
	s_cselect_b32 s16, 0xffffff80, 0
	v_rsq_f64_e32 v[12:13], v[6:7]
	v_mul_f64 v[14:15], v[6:7], v[12:13]
	v_mul_f64 v[12:13], v[12:13], 0.5
	v_fma_f64 v[16:17], -v[12:13], v[14:15], 0.5
	v_fma_f64 v[14:15], v[14:15], v[16:17], v[14:15]
	v_fma_f64 v[12:13], v[12:13], v[16:17], v[12:13]
	v_fma_f64 v[16:17], -v[14:15], v[14:15], v[6:7]
	v_fma_f64 v[14:15], v[16:17], v[12:13], v[14:15]
	v_fma_f64 v[16:17], -v[14:15], v[14:15], v[6:7]
	v_fma_f64 v[12:13], v[16:17], v[12:13], v[14:15]
	v_mov_b32_e32 v14, 0x260
	v_cmp_class_f64_e32 vcc, v[6:7], v14
	v_ldexp_f64 v[12:13], v[12:13], s16
	v_cndmask_b32_e32 v7, v13, v7, vcc
	v_cndmask_b32_e32 v6, v12, v6, vcc
	v_mul_f64 v[6:7], v[4:5], v[6:7]
	s_andn2_b64 vcc, exec, s[4:5]
	s_cbranch_vccz .LBB65_87
	s_branch .LBB65_88
.LBB65_86:
                                        ; implicit-def: $vgpr6_vgpr7
.LBB65_87:
	v_div_scale_f64 v[6:7], s[4:5], v[2:3], v[2:3], v[4:5]
	s_mov_b32 s4, 0
	s_brev_b32 s5, 8
	v_rcp_f64_e32 v[12:13], v[6:7]
	v_fma_f64 v[14:15], -v[6:7], v[12:13], 1.0
	v_fma_f64 v[12:13], v[12:13], v[14:15], v[12:13]
	v_div_scale_f64 v[14:15], vcc, v[4:5], v[2:3], v[4:5]
	v_fma_f64 v[16:17], -v[6:7], v[12:13], 1.0
	v_fma_f64 v[12:13], v[12:13], v[16:17], v[12:13]
	v_mul_f64 v[16:17], v[14:15], v[12:13]
	v_fma_f64 v[6:7], -v[6:7], v[16:17], v[14:15]
	v_div_fmas_f64 v[6:7], v[6:7], v[12:13], v[16:17]
	v_div_fixup_f64 v[4:5], v[6:7], v[2:3], v[4:5]
	v_fma_f64 v[4:5], v[4:5], v[4:5], 1.0
	v_cmp_gt_f64_e32 vcc, s[4:5], v[4:5]
	s_and_b64 s[4:5], vcc, exec
	s_cselect_b32 s4, 0x100, 0
	v_ldexp_f64 v[4:5], v[4:5], s4
	s_cselect_b32 s4, 0xffffff80, 0
	v_rsq_f64_e32 v[6:7], v[4:5]
	v_mul_f64 v[12:13], v[4:5], v[6:7]
	v_mul_f64 v[6:7], v[6:7], 0.5
	v_fma_f64 v[14:15], -v[6:7], v[12:13], 0.5
	v_fma_f64 v[12:13], v[12:13], v[14:15], v[12:13]
	v_fma_f64 v[6:7], v[6:7], v[14:15], v[6:7]
	v_fma_f64 v[14:15], -v[12:13], v[12:13], v[4:5]
	v_fma_f64 v[12:13], v[14:15], v[6:7], v[12:13]
	v_fma_f64 v[14:15], -v[12:13], v[12:13], v[4:5]
	v_fma_f64 v[6:7], v[14:15], v[6:7], v[12:13]
	v_mov_b32_e32 v12, 0x260
	v_cmp_class_f64_e32 vcc, v[4:5], v12
	v_ldexp_f64 v[6:7], v[6:7], s4
	v_cndmask_b32_e32 v5, v7, v5, vcc
	v_cndmask_b32_e32 v4, v6, v4, vcc
	v_mul_f64 v[6:7], v[2:3], v[4:5]
.LBB65_88:
	s_mov_b32 s4, 0
	s_brev_b32 s5, 8
	v_cmp_gt_f64_e32 vcc, s[4:5], v[6:7]
	s_and_b64 s[4:5], vcc, exec
	s_cselect_b32 s4, 0x100, 0
	v_ldexp_f64 v[2:3], v[6:7], s4
	s_cselect_b32 s4, 0xffffff80, 0
	v_rsq_f64_e32 v[4:5], v[2:3]
	v_mul_f64 v[6:7], v[2:3], v[4:5]
	v_mul_f64 v[4:5], v[4:5], 0.5
	v_fma_f64 v[12:13], -v[4:5], v[6:7], 0.5
	v_fma_f64 v[6:7], v[6:7], v[12:13], v[6:7]
	v_fma_f64 v[4:5], v[4:5], v[12:13], v[4:5]
	v_fma_f64 v[12:13], -v[6:7], v[6:7], v[2:3]
	v_fma_f64 v[6:7], v[12:13], v[4:5], v[6:7]
	v_fma_f64 v[12:13], -v[6:7], v[6:7], v[2:3]
	v_fma_f64 v[4:5], v[12:13], v[4:5], v[6:7]
	v_mov_b32_e32 v7, 0x260
	v_cmp_class_f64_e32 vcc, v[2:3], v7
	v_ldexp_f64 v[5:6], v[4:5], s4
	v_mov_b32_e32 v4, 0
	v_cndmask_b32_e32 v3, v6, v3, vcc
	v_cndmask_b32_e32 v2, v5, v2, vcc
	v_mov_b32_e32 v5, v4
	ds_write_b128 v4, v[2:5] offset:2224
.LBB65_89:
	s_or_b64 exec, exec, s[2:3]
	v_mov_b32_e32 v2, 0
	s_waitcnt lgkmcnt(0)
	ds_read_b128 v[2:5], v2 offset:2224
	v_mov_b32_e32 v6, 0x3ff00000
	s_waitcnt lgkmcnt(0)
	v_cmp_neq_f64_e32 vcc, 0, v[2:3]
	v_cmp_neq_f64_e64 s[2:3], 0, v[4:5]
	s_or_b64 vcc, vcc, s[2:3]
	v_cndmask_b32_e32 v3, v6, v3, vcc
	s_nor_b64 s[4:5], vcc, s[0:1]
	v_cndmask_b32_e32 v2, 0, v2, vcc
	v_cndmask_b32_e32 v5, 0, v5, vcc
	;; [unrolled: 1-line block ×3, first 2 shown]
	s_and_saveexec_b64 s[2:3], s[4:5]
	s_cbranch_execz .LBB65_93
; %bb.90:
	v_mbcnt_lo_u32_b32 v2, exec_lo, 0
	v_mbcnt_hi_u32_b32 v2, exec_hi, v2
	v_cmp_eq_u32_e32 vcc, 0, v2
	s_and_saveexec_b64 s[4:5], vcc
	s_cbranch_execz .LBB65_92
; %bb.91:
	v_mov_b32_e32 v2, 0
	v_mov_b32_e32 v3, s19
	global_atomic_smin v2, v3, s[14:15]
.LBB65_92:
	s_or_b64 exec, exec, s[4:5]
	v_mov_b32_e32 v4, 0
	v_mov_b32_e32 v2, 0
	;; [unrolled: 1-line block ×4, first 2 shown]
.LBB65_93:
	s_or_b64 exec, exec, s[2:3]
	v_cmp_lt_u32_e32 vcc, 3, v1
	s_and_saveexec_b64 s[2:3], vcc
	s_cbranch_execz .LBB65_95
; %bb.94:
	v_mul_f64 v[6:7], v[4:5], v[4:5]
	v_fma_f64 v[6:7], v[2:3], v[2:3], v[6:7]
	v_div_scale_f64 v[12:13], s[4:5], v[6:7], v[6:7], 1.0
	v_rcp_f64_e32 v[14:15], v[12:13]
	v_fma_f64 v[16:17], -v[12:13], v[14:15], 1.0
	v_fma_f64 v[14:15], v[14:15], v[16:17], v[14:15]
	v_div_scale_f64 v[16:17], vcc, 1.0, v[6:7], 1.0
	v_fma_f64 v[22:23], -v[12:13], v[14:15], 1.0
	v_fma_f64 v[26:27], v[14:15], v[22:23], v[14:15]
	v_mul_f64 v[28:29], v[16:17], v[26:27]
	v_fma_f64 v[16:17], -v[12:13], v[28:29], v[16:17]
	ds_read_b128 v[12:15], v9 offset:48
	ds_read_b128 v[22:25], v21 offset:48
	s_waitcnt lgkmcnt(0)
	v_add_f64 v[14:15], v[14:15], -v[24:25]
	v_add_f64 v[12:13], v[12:13], -v[22:23]
	v_div_fmas_f64 v[16:17], v[16:17], v[26:27], v[28:29]
	v_mul_f64 v[22:23], v[4:5], v[14:15]
	v_mul_f64 v[4:5], v[4:5], -v[12:13]
	v_fma_f64 v[12:13], v[12:13], v[2:3], v[22:23]
	v_fma_f64 v[4:5], v[14:15], v[2:3], v[4:5]
	v_div_fixup_f64 v[6:7], v[16:17], v[6:7], 1.0
	v_mul_f64 v[2:3], v[6:7], v[12:13]
	v_mul_f64 v[4:5], v[6:7], v[4:5]
	ds_write_b128 v9, v[2:5] offset:48
	s_waitcnt lgkmcnt(0)
	ds_read_b128 v[12:15], v11 offset:48
	ds_read_b128 v[22:25], v20
	s_waitcnt lgkmcnt(0)
	v_fma_f64 v[6:7], v[2:3], v[12:13], v[22:23]
	v_fma_f64 v[12:13], v[4:5], v[12:13], v[24:25]
	;; [unrolled: 1-line block ×3, first 2 shown]
	v_fma_f64 v[6:7], v[2:3], -v[14:15], v[12:13]
	ds_write_b128 v20, v[4:7]
.LBB65_95:
	s_or_b64 exec, exec, s[2:3]
	v_cmp_eq_u32_e32 vcc, 4, v1
	s_waitcnt lgkmcnt(0)
	s_and_saveexec_b64 s[2:3], vcc
	s_cbranch_execz .LBB65_102
; %bb.96:
	v_mov_b32_e32 v6, 0
	ds_read_b128 v[2:5], v6 offset:3264
	ds_read_b128 v[12:15], v6 offset:2368
	s_waitcnt lgkmcnt(0)
	v_add_f64 v[2:3], v[12:13], -v[2:3]
	v_add_f64 v[6:7], v[14:15], -v[4:5]
	v_cmp_gt_f64_e32 vcc, 0, v[2:3]
	v_xor_b32_e32 v4, 0x80000000, v3
	v_xor_b32_e32 v5, 0x80000000, v7
	v_cndmask_b32_e32 v3, v3, v4, vcc
	v_cmp_gt_f64_e32 vcc, 0, v[6:7]
	v_mov_b32_e32 v4, v6
	v_cndmask_b32_e32 v5, v7, v5, vcc
	v_cmp_gt_f64_e32 vcc, v[2:3], v[4:5]
	s_cbranch_vccnz .LBB65_99
; %bb.97:
	v_cmp_eq_f64_e32 vcc, 0, v[6:7]
	s_mov_b64 s[4:5], 0
	s_cbranch_vccnz .LBB65_147
; %bb.98:
	v_div_scale_f64 v[6:7], s[16:17], v[4:5], v[4:5], v[2:3]
	s_mov_b32 s16, 0
	s_brev_b32 s17, 8
	v_rcp_f64_e32 v[12:13], v[6:7]
	v_fma_f64 v[14:15], -v[6:7], v[12:13], 1.0
	v_fma_f64 v[12:13], v[12:13], v[14:15], v[12:13]
	v_div_scale_f64 v[14:15], vcc, v[2:3], v[4:5], v[2:3]
	v_fma_f64 v[16:17], -v[6:7], v[12:13], 1.0
	v_fma_f64 v[12:13], v[12:13], v[16:17], v[12:13]
	v_mul_f64 v[16:17], v[14:15], v[12:13]
	v_fma_f64 v[6:7], -v[6:7], v[16:17], v[14:15]
	v_div_fmas_f64 v[6:7], v[6:7], v[12:13], v[16:17]
	v_div_fixup_f64 v[6:7], v[6:7], v[4:5], v[2:3]
	v_fma_f64 v[6:7], v[6:7], v[6:7], 1.0
	v_cmp_gt_f64_e32 vcc, s[16:17], v[6:7]
	s_and_b64 s[16:17], vcc, exec
	s_cselect_b32 s16, 0x100, 0
	v_ldexp_f64 v[6:7], v[6:7], s16
	s_cselect_b32 s16, 0xffffff80, 0
	v_rsq_f64_e32 v[12:13], v[6:7]
	v_mul_f64 v[14:15], v[6:7], v[12:13]
	v_mul_f64 v[12:13], v[12:13], 0.5
	v_fma_f64 v[16:17], -v[12:13], v[14:15], 0.5
	v_fma_f64 v[14:15], v[14:15], v[16:17], v[14:15]
	v_fma_f64 v[12:13], v[12:13], v[16:17], v[12:13]
	v_fma_f64 v[16:17], -v[14:15], v[14:15], v[6:7]
	v_fma_f64 v[14:15], v[16:17], v[12:13], v[14:15]
	v_fma_f64 v[16:17], -v[14:15], v[14:15], v[6:7]
	v_fma_f64 v[12:13], v[16:17], v[12:13], v[14:15]
	v_mov_b32_e32 v14, 0x260
	v_cmp_class_f64_e32 vcc, v[6:7], v14
	v_ldexp_f64 v[12:13], v[12:13], s16
	v_cndmask_b32_e32 v7, v13, v7, vcc
	v_cndmask_b32_e32 v6, v12, v6, vcc
	v_mul_f64 v[6:7], v[4:5], v[6:7]
	s_andn2_b64 vcc, exec, s[4:5]
	s_cbranch_vccz .LBB65_100
	s_branch .LBB65_101
.LBB65_99:
                                        ; implicit-def: $vgpr6_vgpr7
.LBB65_100:
	v_div_scale_f64 v[6:7], s[4:5], v[2:3], v[2:3], v[4:5]
	s_mov_b32 s4, 0
	s_brev_b32 s5, 8
	v_rcp_f64_e32 v[12:13], v[6:7]
	v_fma_f64 v[14:15], -v[6:7], v[12:13], 1.0
	v_fma_f64 v[12:13], v[12:13], v[14:15], v[12:13]
	v_div_scale_f64 v[14:15], vcc, v[4:5], v[2:3], v[4:5]
	v_fma_f64 v[16:17], -v[6:7], v[12:13], 1.0
	v_fma_f64 v[12:13], v[12:13], v[16:17], v[12:13]
	v_mul_f64 v[16:17], v[14:15], v[12:13]
	v_fma_f64 v[6:7], -v[6:7], v[16:17], v[14:15]
	v_div_fmas_f64 v[6:7], v[6:7], v[12:13], v[16:17]
	v_div_fixup_f64 v[4:5], v[6:7], v[2:3], v[4:5]
	v_fma_f64 v[4:5], v[4:5], v[4:5], 1.0
	v_cmp_gt_f64_e32 vcc, s[4:5], v[4:5]
	s_and_b64 s[4:5], vcc, exec
	s_cselect_b32 s4, 0x100, 0
	v_ldexp_f64 v[4:5], v[4:5], s4
	s_cselect_b32 s4, 0xffffff80, 0
	v_rsq_f64_e32 v[6:7], v[4:5]
	v_mul_f64 v[12:13], v[4:5], v[6:7]
	v_mul_f64 v[6:7], v[6:7], 0.5
	v_fma_f64 v[14:15], -v[6:7], v[12:13], 0.5
	v_fma_f64 v[12:13], v[12:13], v[14:15], v[12:13]
	v_fma_f64 v[6:7], v[6:7], v[14:15], v[6:7]
	v_fma_f64 v[14:15], -v[12:13], v[12:13], v[4:5]
	v_fma_f64 v[12:13], v[14:15], v[6:7], v[12:13]
	v_fma_f64 v[14:15], -v[12:13], v[12:13], v[4:5]
	v_fma_f64 v[6:7], v[14:15], v[6:7], v[12:13]
	v_mov_b32_e32 v12, 0x260
	v_cmp_class_f64_e32 vcc, v[4:5], v12
	v_ldexp_f64 v[6:7], v[6:7], s4
	v_cndmask_b32_e32 v5, v7, v5, vcc
	v_cndmask_b32_e32 v4, v6, v4, vcc
	v_mul_f64 v[6:7], v[2:3], v[4:5]
.LBB65_101:
	s_mov_b32 s4, 0
	s_brev_b32 s5, 8
	v_cmp_gt_f64_e32 vcc, s[4:5], v[6:7]
	s_and_b64 s[4:5], vcc, exec
	s_cselect_b32 s4, 0x100, 0
	v_ldexp_f64 v[2:3], v[6:7], s4
	s_cselect_b32 s4, 0xffffff80, 0
	v_rsq_f64_e32 v[4:5], v[2:3]
	v_mul_f64 v[6:7], v[2:3], v[4:5]
	v_mul_f64 v[4:5], v[4:5], 0.5
	v_fma_f64 v[12:13], -v[4:5], v[6:7], 0.5
	v_fma_f64 v[6:7], v[6:7], v[12:13], v[6:7]
	v_fma_f64 v[4:5], v[4:5], v[12:13], v[4:5]
	v_fma_f64 v[12:13], -v[6:7], v[6:7], v[2:3]
	v_fma_f64 v[6:7], v[12:13], v[4:5], v[6:7]
	v_fma_f64 v[12:13], -v[6:7], v[6:7], v[2:3]
	v_fma_f64 v[4:5], v[12:13], v[4:5], v[6:7]
	v_mov_b32_e32 v7, 0x260
	v_cmp_class_f64_e32 vcc, v[2:3], v7
	v_ldexp_f64 v[5:6], v[4:5], s4
	v_mov_b32_e32 v4, 0
	v_cndmask_b32_e32 v3, v6, v3, vcc
	v_cndmask_b32_e32 v2, v5, v2, vcc
	v_mov_b32_e32 v5, v4
	ds_write_b128 v4, v[2:5] offset:2368
.LBB65_102:
	s_or_b64 exec, exec, s[2:3]
	v_mov_b32_e32 v2, 0
	s_waitcnt lgkmcnt(0)
	ds_read_b128 v[2:5], v2 offset:2368
	v_mov_b32_e32 v6, 0x3ff00000
	s_waitcnt lgkmcnt(0)
	v_cmp_neq_f64_e32 vcc, 0, v[2:3]
	v_cmp_neq_f64_e64 s[2:3], 0, v[4:5]
	s_or_b64 vcc, vcc, s[2:3]
	v_cndmask_b32_e32 v3, v6, v3, vcc
	s_nor_b64 s[4:5], vcc, s[0:1]
	v_cndmask_b32_e32 v2, 0, v2, vcc
	v_cndmask_b32_e32 v5, 0, v5, vcc
	;; [unrolled: 1-line block ×3, first 2 shown]
	s_and_saveexec_b64 s[2:3], s[4:5]
	s_cbranch_execz .LBB65_106
; %bb.103:
	v_mbcnt_lo_u32_b32 v2, exec_lo, 0
	v_mbcnt_hi_u32_b32 v2, exec_hi, v2
	v_cmp_eq_u32_e32 vcc, 0, v2
	s_and_saveexec_b64 s[4:5], vcc
	s_cbranch_execz .LBB65_105
; %bb.104:
	v_mov_b32_e32 v2, 0
	v_mov_b32_e32 v3, s19
	global_atomic_smin v2, v3, s[14:15]
.LBB65_105:
	s_or_b64 exec, exec, s[4:5]
	v_mov_b32_e32 v4, 0
	v_mov_b32_e32 v2, 0
	;; [unrolled: 1-line block ×4, first 2 shown]
.LBB65_106:
	s_or_b64 exec, exec, s[2:3]
	v_cmp_lt_u32_e32 vcc, 4, v1
	s_and_saveexec_b64 s[2:3], vcc
	s_cbranch_execz .LBB65_108
; %bb.107:
	v_mul_f64 v[6:7], v[4:5], v[4:5]
	v_fma_f64 v[6:7], v[2:3], v[2:3], v[6:7]
	v_div_scale_f64 v[12:13], s[4:5], v[6:7], v[6:7], 1.0
	v_rcp_f64_e32 v[14:15], v[12:13]
	v_fma_f64 v[16:17], -v[12:13], v[14:15], 1.0
	v_fma_f64 v[14:15], v[14:15], v[16:17], v[14:15]
	v_div_scale_f64 v[16:17], vcc, 1.0, v[6:7], 1.0
	v_fma_f64 v[22:23], -v[12:13], v[14:15], 1.0
	v_fma_f64 v[26:27], v[14:15], v[22:23], v[14:15]
	v_mul_f64 v[28:29], v[16:17], v[26:27]
	v_fma_f64 v[16:17], -v[12:13], v[28:29], v[16:17]
	ds_read_b128 v[12:15], v9 offset:64
	ds_read_b128 v[22:25], v21 offset:64
	s_waitcnt lgkmcnt(0)
	v_add_f64 v[14:15], v[14:15], -v[24:25]
	v_add_f64 v[12:13], v[12:13], -v[22:23]
	v_div_fmas_f64 v[16:17], v[16:17], v[26:27], v[28:29]
	v_mul_f64 v[22:23], v[4:5], v[14:15]
	v_mul_f64 v[4:5], v[4:5], -v[12:13]
	v_fma_f64 v[12:13], v[12:13], v[2:3], v[22:23]
	v_fma_f64 v[4:5], v[14:15], v[2:3], v[4:5]
	v_div_fixup_f64 v[6:7], v[16:17], v[6:7], 1.0
	v_mul_f64 v[2:3], v[6:7], v[12:13]
	v_mul_f64 v[4:5], v[6:7], v[4:5]
	ds_write_b128 v9, v[2:5] offset:64
	s_waitcnt lgkmcnt(0)
	ds_read_b128 v[12:15], v11 offset:64
	ds_read_b128 v[22:25], v20
	s_waitcnt lgkmcnt(0)
	v_fma_f64 v[6:7], v[2:3], v[12:13], v[22:23]
	v_fma_f64 v[12:13], v[4:5], v[12:13], v[24:25]
	;; [unrolled: 1-line block ×3, first 2 shown]
	v_fma_f64 v[6:7], v[2:3], -v[14:15], v[12:13]
	ds_write_b128 v20, v[4:7]
.LBB65_108:
	s_or_b64 exec, exec, s[2:3]
	v_cmp_eq_u32_e32 vcc, 5, v1
	s_waitcnt lgkmcnt(0)
	s_and_saveexec_b64 s[2:3], vcc
	s_cbranch_execz .LBB65_115
; %bb.109:
	v_mov_b32_e32 v6, 0
	ds_read_b128 v[2:5], v6 offset:3408
	ds_read_b128 v[12:15], v6 offset:2512
	s_waitcnt lgkmcnt(0)
	v_add_f64 v[2:3], v[12:13], -v[2:3]
	v_add_f64 v[6:7], v[14:15], -v[4:5]
	v_cmp_gt_f64_e32 vcc, 0, v[2:3]
	v_xor_b32_e32 v4, 0x80000000, v3
	v_xor_b32_e32 v5, 0x80000000, v7
	v_cndmask_b32_e32 v3, v3, v4, vcc
	v_cmp_gt_f64_e32 vcc, 0, v[6:7]
	v_mov_b32_e32 v4, v6
	v_cndmask_b32_e32 v5, v7, v5, vcc
	v_cmp_gt_f64_e32 vcc, v[2:3], v[4:5]
	s_cbranch_vccnz .LBB65_112
; %bb.110:
	v_cmp_eq_f64_e32 vcc, 0, v[6:7]
	s_mov_b64 s[4:5], 0
	s_cbranch_vccnz .LBB65_148
; %bb.111:
	v_div_scale_f64 v[6:7], s[16:17], v[4:5], v[4:5], v[2:3]
	s_mov_b32 s16, 0
	s_brev_b32 s17, 8
	v_rcp_f64_e32 v[12:13], v[6:7]
	v_fma_f64 v[14:15], -v[6:7], v[12:13], 1.0
	v_fma_f64 v[12:13], v[12:13], v[14:15], v[12:13]
	v_div_scale_f64 v[14:15], vcc, v[2:3], v[4:5], v[2:3]
	v_fma_f64 v[16:17], -v[6:7], v[12:13], 1.0
	v_fma_f64 v[12:13], v[12:13], v[16:17], v[12:13]
	v_mul_f64 v[16:17], v[14:15], v[12:13]
	v_fma_f64 v[6:7], -v[6:7], v[16:17], v[14:15]
	v_div_fmas_f64 v[6:7], v[6:7], v[12:13], v[16:17]
	v_div_fixup_f64 v[6:7], v[6:7], v[4:5], v[2:3]
	v_fma_f64 v[6:7], v[6:7], v[6:7], 1.0
	v_cmp_gt_f64_e32 vcc, s[16:17], v[6:7]
	s_and_b64 s[16:17], vcc, exec
	s_cselect_b32 s16, 0x100, 0
	v_ldexp_f64 v[6:7], v[6:7], s16
	s_cselect_b32 s16, 0xffffff80, 0
	v_rsq_f64_e32 v[12:13], v[6:7]
	v_mul_f64 v[14:15], v[6:7], v[12:13]
	v_mul_f64 v[12:13], v[12:13], 0.5
	v_fma_f64 v[16:17], -v[12:13], v[14:15], 0.5
	v_fma_f64 v[14:15], v[14:15], v[16:17], v[14:15]
	v_fma_f64 v[12:13], v[12:13], v[16:17], v[12:13]
	v_fma_f64 v[16:17], -v[14:15], v[14:15], v[6:7]
	v_fma_f64 v[14:15], v[16:17], v[12:13], v[14:15]
	v_fma_f64 v[16:17], -v[14:15], v[14:15], v[6:7]
	v_fma_f64 v[12:13], v[16:17], v[12:13], v[14:15]
	v_mov_b32_e32 v14, 0x260
	v_cmp_class_f64_e32 vcc, v[6:7], v14
	v_ldexp_f64 v[12:13], v[12:13], s16
	v_cndmask_b32_e32 v7, v13, v7, vcc
	v_cndmask_b32_e32 v6, v12, v6, vcc
	v_mul_f64 v[6:7], v[4:5], v[6:7]
	s_andn2_b64 vcc, exec, s[4:5]
	s_cbranch_vccz .LBB65_113
	s_branch .LBB65_114
.LBB65_112:
                                        ; implicit-def: $vgpr6_vgpr7
.LBB65_113:
	v_div_scale_f64 v[6:7], s[4:5], v[2:3], v[2:3], v[4:5]
	s_mov_b32 s4, 0
	s_brev_b32 s5, 8
	v_rcp_f64_e32 v[12:13], v[6:7]
	v_fma_f64 v[14:15], -v[6:7], v[12:13], 1.0
	v_fma_f64 v[12:13], v[12:13], v[14:15], v[12:13]
	v_div_scale_f64 v[14:15], vcc, v[4:5], v[2:3], v[4:5]
	v_fma_f64 v[16:17], -v[6:7], v[12:13], 1.0
	v_fma_f64 v[12:13], v[12:13], v[16:17], v[12:13]
	v_mul_f64 v[16:17], v[14:15], v[12:13]
	v_fma_f64 v[6:7], -v[6:7], v[16:17], v[14:15]
	v_div_fmas_f64 v[6:7], v[6:7], v[12:13], v[16:17]
	v_div_fixup_f64 v[4:5], v[6:7], v[2:3], v[4:5]
	v_fma_f64 v[4:5], v[4:5], v[4:5], 1.0
	v_cmp_gt_f64_e32 vcc, s[4:5], v[4:5]
	s_and_b64 s[4:5], vcc, exec
	s_cselect_b32 s4, 0x100, 0
	v_ldexp_f64 v[4:5], v[4:5], s4
	s_cselect_b32 s4, 0xffffff80, 0
	v_rsq_f64_e32 v[6:7], v[4:5]
	v_mul_f64 v[12:13], v[4:5], v[6:7]
	v_mul_f64 v[6:7], v[6:7], 0.5
	v_fma_f64 v[14:15], -v[6:7], v[12:13], 0.5
	v_fma_f64 v[12:13], v[12:13], v[14:15], v[12:13]
	v_fma_f64 v[6:7], v[6:7], v[14:15], v[6:7]
	v_fma_f64 v[14:15], -v[12:13], v[12:13], v[4:5]
	v_fma_f64 v[12:13], v[14:15], v[6:7], v[12:13]
	v_fma_f64 v[14:15], -v[12:13], v[12:13], v[4:5]
	v_fma_f64 v[6:7], v[14:15], v[6:7], v[12:13]
	v_mov_b32_e32 v12, 0x260
	v_cmp_class_f64_e32 vcc, v[4:5], v12
	v_ldexp_f64 v[6:7], v[6:7], s4
	v_cndmask_b32_e32 v5, v7, v5, vcc
	v_cndmask_b32_e32 v4, v6, v4, vcc
	v_mul_f64 v[6:7], v[2:3], v[4:5]
.LBB65_114:
	s_mov_b32 s4, 0
	s_brev_b32 s5, 8
	v_cmp_gt_f64_e32 vcc, s[4:5], v[6:7]
	s_and_b64 s[4:5], vcc, exec
	s_cselect_b32 s4, 0x100, 0
	v_ldexp_f64 v[2:3], v[6:7], s4
	s_cselect_b32 s4, 0xffffff80, 0
	v_rsq_f64_e32 v[4:5], v[2:3]
	v_mul_f64 v[6:7], v[2:3], v[4:5]
	v_mul_f64 v[4:5], v[4:5], 0.5
	v_fma_f64 v[12:13], -v[4:5], v[6:7], 0.5
	v_fma_f64 v[6:7], v[6:7], v[12:13], v[6:7]
	v_fma_f64 v[4:5], v[4:5], v[12:13], v[4:5]
	v_fma_f64 v[12:13], -v[6:7], v[6:7], v[2:3]
	v_fma_f64 v[6:7], v[12:13], v[4:5], v[6:7]
	v_fma_f64 v[12:13], -v[6:7], v[6:7], v[2:3]
	v_fma_f64 v[4:5], v[12:13], v[4:5], v[6:7]
	v_mov_b32_e32 v7, 0x260
	v_cmp_class_f64_e32 vcc, v[2:3], v7
	v_ldexp_f64 v[5:6], v[4:5], s4
	v_mov_b32_e32 v4, 0
	v_cndmask_b32_e32 v3, v6, v3, vcc
	v_cndmask_b32_e32 v2, v5, v2, vcc
	v_mov_b32_e32 v5, v4
	ds_write_b128 v4, v[2:5] offset:2512
.LBB65_115:
	s_or_b64 exec, exec, s[2:3]
	v_mov_b32_e32 v2, 0
	s_waitcnt lgkmcnt(0)
	ds_read_b128 v[2:5], v2 offset:2512
	v_mov_b32_e32 v6, 0x3ff00000
	s_waitcnt lgkmcnt(0)
	v_cmp_neq_f64_e32 vcc, 0, v[2:3]
	v_cmp_neq_f64_e64 s[2:3], 0, v[4:5]
	s_or_b64 vcc, vcc, s[2:3]
	v_cndmask_b32_e32 v3, v6, v3, vcc
	s_nor_b64 s[4:5], vcc, s[0:1]
	v_cndmask_b32_e32 v2, 0, v2, vcc
	v_cndmask_b32_e32 v5, 0, v5, vcc
	;; [unrolled: 1-line block ×3, first 2 shown]
	s_and_saveexec_b64 s[2:3], s[4:5]
	s_cbranch_execz .LBB65_119
; %bb.116:
	v_mbcnt_lo_u32_b32 v2, exec_lo, 0
	v_mbcnt_hi_u32_b32 v2, exec_hi, v2
	v_cmp_eq_u32_e32 vcc, 0, v2
	s_and_saveexec_b64 s[4:5], vcc
	s_cbranch_execz .LBB65_118
; %bb.117:
	v_mov_b32_e32 v2, 0
	v_mov_b32_e32 v3, s19
	global_atomic_smin v2, v3, s[14:15]
.LBB65_118:
	s_or_b64 exec, exec, s[4:5]
	v_mov_b32_e32 v4, 0
	v_mov_b32_e32 v2, 0
	;; [unrolled: 1-line block ×4, first 2 shown]
.LBB65_119:
	s_or_b64 exec, exec, s[2:3]
	v_cmp_lt_u32_e32 vcc, 5, v1
	s_and_saveexec_b64 s[2:3], vcc
	s_cbranch_execz .LBB65_121
; %bb.120:
	v_mul_f64 v[6:7], v[4:5], v[4:5]
	v_fma_f64 v[6:7], v[2:3], v[2:3], v[6:7]
	v_div_scale_f64 v[12:13], s[4:5], v[6:7], v[6:7], 1.0
	v_rcp_f64_e32 v[14:15], v[12:13]
	v_fma_f64 v[16:17], -v[12:13], v[14:15], 1.0
	v_fma_f64 v[14:15], v[14:15], v[16:17], v[14:15]
	v_div_scale_f64 v[16:17], vcc, 1.0, v[6:7], 1.0
	v_fma_f64 v[22:23], -v[12:13], v[14:15], 1.0
	v_fma_f64 v[26:27], v[14:15], v[22:23], v[14:15]
	v_mul_f64 v[28:29], v[16:17], v[26:27]
	v_fma_f64 v[16:17], -v[12:13], v[28:29], v[16:17]
	ds_read_b128 v[12:15], v9 offset:80
	ds_read_b128 v[22:25], v21 offset:80
	s_waitcnt lgkmcnt(0)
	v_add_f64 v[14:15], v[14:15], -v[24:25]
	v_add_f64 v[12:13], v[12:13], -v[22:23]
	v_div_fmas_f64 v[16:17], v[16:17], v[26:27], v[28:29]
	v_mul_f64 v[22:23], v[4:5], v[14:15]
	v_mul_f64 v[4:5], v[4:5], -v[12:13]
	v_fma_f64 v[12:13], v[12:13], v[2:3], v[22:23]
	v_fma_f64 v[4:5], v[14:15], v[2:3], v[4:5]
	v_div_fixup_f64 v[6:7], v[16:17], v[6:7], 1.0
	v_mul_f64 v[2:3], v[6:7], v[12:13]
	v_mul_f64 v[4:5], v[6:7], v[4:5]
	ds_write_b128 v9, v[2:5] offset:80
	s_waitcnt lgkmcnt(0)
	ds_read_b128 v[12:15], v11 offset:80
	ds_read_b128 v[22:25], v20
	s_waitcnt lgkmcnt(0)
	v_fma_f64 v[6:7], v[2:3], v[12:13], v[22:23]
	v_fma_f64 v[12:13], v[4:5], v[12:13], v[24:25]
	;; [unrolled: 1-line block ×3, first 2 shown]
	v_fma_f64 v[6:7], v[2:3], -v[14:15], v[12:13]
	ds_write_b128 v20, v[4:7]
.LBB65_121:
	s_or_b64 exec, exec, s[2:3]
	v_cmp_eq_u32_e32 vcc, 6, v1
	s_waitcnt lgkmcnt(0)
	s_and_saveexec_b64 s[2:3], vcc
	s_cbranch_execz .LBB65_128
; %bb.122:
	v_mov_b32_e32 v6, 0
	ds_read_b128 v[2:5], v6 offset:3552
	ds_read_b128 v[12:15], v6 offset:2656
	s_waitcnt lgkmcnt(0)
	v_add_f64 v[2:3], v[12:13], -v[2:3]
	v_add_f64 v[6:7], v[14:15], -v[4:5]
	v_cmp_gt_f64_e32 vcc, 0, v[2:3]
	v_xor_b32_e32 v4, 0x80000000, v3
	v_xor_b32_e32 v5, 0x80000000, v7
	v_cndmask_b32_e32 v3, v3, v4, vcc
	v_cmp_gt_f64_e32 vcc, 0, v[6:7]
	v_mov_b32_e32 v4, v6
	v_cndmask_b32_e32 v5, v7, v5, vcc
	v_cmp_gt_f64_e32 vcc, v[2:3], v[4:5]
	s_cbranch_vccnz .LBB65_125
; %bb.123:
	v_cmp_eq_f64_e32 vcc, 0, v[6:7]
	s_mov_b64 s[4:5], 0
	s_cbranch_vccnz .LBB65_149
; %bb.124:
	v_div_scale_f64 v[6:7], s[16:17], v[4:5], v[4:5], v[2:3]
	s_mov_b32 s16, 0
	s_brev_b32 s17, 8
	v_rcp_f64_e32 v[12:13], v[6:7]
	v_fma_f64 v[14:15], -v[6:7], v[12:13], 1.0
	v_fma_f64 v[12:13], v[12:13], v[14:15], v[12:13]
	v_div_scale_f64 v[14:15], vcc, v[2:3], v[4:5], v[2:3]
	v_fma_f64 v[16:17], -v[6:7], v[12:13], 1.0
	v_fma_f64 v[12:13], v[12:13], v[16:17], v[12:13]
	v_mul_f64 v[16:17], v[14:15], v[12:13]
	v_fma_f64 v[6:7], -v[6:7], v[16:17], v[14:15]
	v_div_fmas_f64 v[6:7], v[6:7], v[12:13], v[16:17]
	v_div_fixup_f64 v[6:7], v[6:7], v[4:5], v[2:3]
	v_fma_f64 v[6:7], v[6:7], v[6:7], 1.0
	v_cmp_gt_f64_e32 vcc, s[16:17], v[6:7]
	s_and_b64 s[16:17], vcc, exec
	s_cselect_b32 s16, 0x100, 0
	v_ldexp_f64 v[6:7], v[6:7], s16
	s_cselect_b32 s16, 0xffffff80, 0
	v_rsq_f64_e32 v[12:13], v[6:7]
	v_mul_f64 v[14:15], v[6:7], v[12:13]
	v_mul_f64 v[12:13], v[12:13], 0.5
	v_fma_f64 v[16:17], -v[12:13], v[14:15], 0.5
	v_fma_f64 v[14:15], v[14:15], v[16:17], v[14:15]
	v_fma_f64 v[12:13], v[12:13], v[16:17], v[12:13]
	v_fma_f64 v[16:17], -v[14:15], v[14:15], v[6:7]
	v_fma_f64 v[14:15], v[16:17], v[12:13], v[14:15]
	v_fma_f64 v[16:17], -v[14:15], v[14:15], v[6:7]
	v_fma_f64 v[12:13], v[16:17], v[12:13], v[14:15]
	v_mov_b32_e32 v14, 0x260
	v_cmp_class_f64_e32 vcc, v[6:7], v14
	v_ldexp_f64 v[12:13], v[12:13], s16
	v_cndmask_b32_e32 v7, v13, v7, vcc
	v_cndmask_b32_e32 v6, v12, v6, vcc
	v_mul_f64 v[6:7], v[4:5], v[6:7]
	s_andn2_b64 vcc, exec, s[4:5]
	s_cbranch_vccz .LBB65_126
	s_branch .LBB65_127
.LBB65_125:
                                        ; implicit-def: $vgpr6_vgpr7
.LBB65_126:
	v_div_scale_f64 v[6:7], s[4:5], v[2:3], v[2:3], v[4:5]
	s_mov_b32 s4, 0
	s_brev_b32 s5, 8
	v_rcp_f64_e32 v[12:13], v[6:7]
	v_fma_f64 v[14:15], -v[6:7], v[12:13], 1.0
	v_fma_f64 v[12:13], v[12:13], v[14:15], v[12:13]
	v_div_scale_f64 v[14:15], vcc, v[4:5], v[2:3], v[4:5]
	v_fma_f64 v[16:17], -v[6:7], v[12:13], 1.0
	v_fma_f64 v[12:13], v[12:13], v[16:17], v[12:13]
	v_mul_f64 v[16:17], v[14:15], v[12:13]
	v_fma_f64 v[6:7], -v[6:7], v[16:17], v[14:15]
	v_div_fmas_f64 v[6:7], v[6:7], v[12:13], v[16:17]
	v_div_fixup_f64 v[4:5], v[6:7], v[2:3], v[4:5]
	v_fma_f64 v[4:5], v[4:5], v[4:5], 1.0
	v_cmp_gt_f64_e32 vcc, s[4:5], v[4:5]
	s_and_b64 s[4:5], vcc, exec
	s_cselect_b32 s4, 0x100, 0
	v_ldexp_f64 v[4:5], v[4:5], s4
	s_cselect_b32 s4, 0xffffff80, 0
	v_rsq_f64_e32 v[6:7], v[4:5]
	v_mul_f64 v[12:13], v[4:5], v[6:7]
	v_mul_f64 v[6:7], v[6:7], 0.5
	v_fma_f64 v[14:15], -v[6:7], v[12:13], 0.5
	v_fma_f64 v[12:13], v[12:13], v[14:15], v[12:13]
	v_fma_f64 v[6:7], v[6:7], v[14:15], v[6:7]
	v_fma_f64 v[14:15], -v[12:13], v[12:13], v[4:5]
	v_fma_f64 v[12:13], v[14:15], v[6:7], v[12:13]
	v_fma_f64 v[14:15], -v[12:13], v[12:13], v[4:5]
	v_fma_f64 v[6:7], v[14:15], v[6:7], v[12:13]
	v_mov_b32_e32 v12, 0x260
	v_cmp_class_f64_e32 vcc, v[4:5], v12
	v_ldexp_f64 v[6:7], v[6:7], s4
	v_cndmask_b32_e32 v5, v7, v5, vcc
	v_cndmask_b32_e32 v4, v6, v4, vcc
	v_mul_f64 v[6:7], v[2:3], v[4:5]
.LBB65_127:
	s_mov_b32 s4, 0
	s_brev_b32 s5, 8
	v_cmp_gt_f64_e32 vcc, s[4:5], v[6:7]
	s_and_b64 s[4:5], vcc, exec
	s_cselect_b32 s4, 0x100, 0
	v_ldexp_f64 v[2:3], v[6:7], s4
	s_cselect_b32 s4, 0xffffff80, 0
	v_rsq_f64_e32 v[4:5], v[2:3]
	v_mul_f64 v[6:7], v[2:3], v[4:5]
	v_mul_f64 v[4:5], v[4:5], 0.5
	v_fma_f64 v[12:13], -v[4:5], v[6:7], 0.5
	v_fma_f64 v[6:7], v[6:7], v[12:13], v[6:7]
	v_fma_f64 v[4:5], v[4:5], v[12:13], v[4:5]
	v_fma_f64 v[12:13], -v[6:7], v[6:7], v[2:3]
	v_fma_f64 v[6:7], v[12:13], v[4:5], v[6:7]
	v_fma_f64 v[12:13], -v[6:7], v[6:7], v[2:3]
	v_fma_f64 v[4:5], v[12:13], v[4:5], v[6:7]
	v_mov_b32_e32 v7, 0x260
	v_cmp_class_f64_e32 vcc, v[2:3], v7
	v_ldexp_f64 v[5:6], v[4:5], s4
	v_mov_b32_e32 v4, 0
	v_cndmask_b32_e32 v3, v6, v3, vcc
	v_cndmask_b32_e32 v2, v5, v2, vcc
	v_mov_b32_e32 v5, v4
	ds_write_b128 v4, v[2:5] offset:2656
.LBB65_128:
	s_or_b64 exec, exec, s[2:3]
	v_mov_b32_e32 v2, 0
	s_waitcnt lgkmcnt(0)
	ds_read_b128 v[2:5], v2 offset:2656
	v_mov_b32_e32 v6, 0x3ff00000
	s_waitcnt lgkmcnt(0)
	v_cmp_neq_f64_e32 vcc, 0, v[2:3]
	v_cmp_neq_f64_e64 s[2:3], 0, v[4:5]
	s_or_b64 vcc, vcc, s[2:3]
	v_cndmask_b32_e32 v3, v6, v3, vcc
	s_nor_b64 s[2:3], vcc, s[0:1]
	v_cndmask_b32_e32 v2, 0, v2, vcc
	v_cndmask_b32_e32 v5, 0, v5, vcc
	;; [unrolled: 1-line block ×3, first 2 shown]
	s_and_saveexec_b64 s[0:1], s[2:3]
	s_cbranch_execz .LBB65_141
; %bb.129:
	v_mbcnt_lo_u32_b32 v2, exec_lo, 0
	v_mbcnt_hi_u32_b32 v2, exec_hi, v2
	v_cmp_eq_u32_e32 vcc, 0, v2
	s_and_saveexec_b64 s[2:3], vcc
	s_cbranch_execz .LBB65_131
; %bb.130:
	v_mov_b32_e32 v2, 0
	v_mov_b32_e32 v3, s19
	global_atomic_smin v2, v3, s[14:15]
.LBB65_131:
	s_or_b64 exec, exec, s[2:3]
	v_mov_b32_e32 v4, 0
	v_mov_b32_e32 v2, 0
	;; [unrolled: 1-line block ×4, first 2 shown]
	s_or_b64 exec, exec, s[0:1]
	v_cmp_lt_u32_e32 vcc, 6, v1
	s_and_saveexec_b64 s[0:1], vcc
	s_cbranch_execnz .LBB65_142
.LBB65_132:
	s_or_b64 exec, exec, s[0:1]
	s_andn2_b64 vcc, exec, s[8:9]
	s_cbranch_vccnz .LBB65_134
.LBB65_133:
	v_mov_b32_e32 v18, v19
.LBB65_134:
	v_add_u32_e32 v2, s18, v18
	v_ashrrev_i32_e32 v3, 31, v2
	v_lshlrev_b64 v[6:7], 4, v[2:3]
	ds_read2_b64 v[2:5], v8 offset1:1
	v_mov_b32_e32 v9, s21
	v_add_co_u32_e32 v6, vcc, s20, v6
	v_addc_co_u32_e32 v7, vcc, v9, v7, vcc
	v_cmp_eq_u32_e32 vcc, 0, v10
	s_waitcnt lgkmcnt(0)
	global_store_dwordx4 v[6:7], v[2:5], off
	s_and_saveexec_b64 s[0:1], vcc
	s_cbranch_execz .LBB65_136
; %bb.135:
	s_add_u32 s2, s10, s6
	s_addc_u32 s3, s11, s7
	v_mov_b32_e32 v2, 0
	v_mov_b32_e32 v3, 1
	s_waitcnt vmcnt(0)
	global_store_dword v2, v3, s[2:3]
.LBB65_136:
	s_or_b64 exec, exec, s[0:1]
	s_branch .LBB65_46
.LBB65_137:
	v_or_b32_e32 v0, v0, v1
	v_cmp_eq_u32_e32 vcc, 0, v0
	s_and_saveexec_b64 s[0:1], vcc
	s_cbranch_execz .LBB65_46
; %bb.138:
	v_mbcnt_lo_u32_b32 v0, exec_lo, 0
	v_mbcnt_hi_u32_b32 v0, exec_hi, v0
	v_cmp_eq_u32_e32 vcc, 0, v0
	s_and_saveexec_b64 s[0:1], vcc
	s_cbranch_execz .LBB65_140
; %bb.139:
	s_add_i32 s2, s12, s13
	v_mov_b32_e32 v0, 0
	v_mov_b32_e32 v1, s2
	global_atomic_smin v0, v1, s[14:15]
.LBB65_140:
	s_or_b64 exec, exec, s[0:1]
	s_add_u32 s0, s10, s6
	s_addc_u32 s1, s11, s7
	v_mov_b32_e32 v0, 0
	v_mov_b32_e32 v1, 1
	s_waitcnt vmcnt(0)
	global_store_dword v0, v1, s[0:1]
	s_endpgm
.LBB65_141:
	s_or_b64 exec, exec, s[0:1]
	v_cmp_lt_u32_e32 vcc, 6, v1
	s_and_saveexec_b64 s[0:1], vcc
	s_cbranch_execz .LBB65_132
.LBB65_142:
	v_mul_f64 v[6:7], v[4:5], v[4:5]
	v_fma_f64 v[6:7], v[2:3], v[2:3], v[6:7]
	v_div_scale_f64 v[12:13], s[2:3], v[6:7], v[6:7], 1.0
	v_rcp_f64_e32 v[14:15], v[12:13]
	v_fma_f64 v[16:17], -v[12:13], v[14:15], 1.0
	v_fma_f64 v[14:15], v[14:15], v[16:17], v[14:15]
	v_div_scale_f64 v[16:17], vcc, 1.0, v[6:7], 1.0
	v_fma_f64 v[22:23], -v[12:13], v[14:15], 1.0
	v_fma_f64 v[25:26], v[14:15], v[22:23], v[14:15]
	v_mul_f64 v[27:28], v[16:17], v[25:26]
	v_fma_f64 v[16:17], -v[12:13], v[27:28], v[16:17]
	ds_read_b128 v[12:15], v9 offset:96
	ds_read_b128 v[21:24], v21 offset:96
	s_waitcnt lgkmcnt(0)
	v_add_f64 v[14:15], v[14:15], -v[23:24]
	v_add_f64 v[12:13], v[12:13], -v[21:22]
	v_div_fmas_f64 v[16:17], v[16:17], v[25:26], v[27:28]
	v_mul_f64 v[21:22], v[4:5], v[14:15]
	v_mul_f64 v[4:5], v[4:5], -v[12:13]
	v_fma_f64 v[12:13], v[12:13], v[2:3], v[21:22]
	v_fma_f64 v[4:5], v[14:15], v[2:3], v[4:5]
	v_div_fixup_f64 v[6:7], v[16:17], v[6:7], 1.0
	v_mul_f64 v[2:3], v[6:7], v[12:13]
	v_mul_f64 v[4:5], v[6:7], v[4:5]
	ds_write_b128 v9, v[2:5] offset:96
	s_waitcnt lgkmcnt(0)
	ds_read_b128 v[11:14], v11 offset:96
	ds_read_b128 v[21:24], v20
	s_waitcnt lgkmcnt(0)
	v_fma_f64 v[6:7], v[2:3], v[11:12], v[21:22]
	v_fma_f64 v[11:12], v[4:5], v[11:12], v[23:24]
	;; [unrolled: 1-line block ×3, first 2 shown]
	v_fma_f64 v[6:7], v[2:3], -v[13:14], v[11:12]
	ds_write_b128 v20, v[4:7]
	s_or_b64 exec, exec, s[0:1]
	s_andn2_b64 vcc, exec, s[8:9]
	s_waitcnt lgkmcnt(0)
	s_cbranch_vccz .LBB65_133
	s_branch .LBB65_134
.LBB65_143:
	v_mov_b32_e32 v6, 0
	v_mov_b32_e32 v7, 0
	s_andn2_b64 vcc, exec, s[4:5]
	s_cbranch_vccz .LBB65_48
	s_branch .LBB65_49
.LBB65_144:
	v_mov_b32_e32 v6, 0
	v_mov_b32_e32 v7, 0
	s_andn2_b64 vcc, exec, s[4:5]
	s_cbranch_vccz .LBB65_61
	s_branch .LBB65_62
.LBB65_145:
	v_mov_b32_e32 v6, 0
	v_mov_b32_e32 v7, 0
	s_andn2_b64 vcc, exec, s[4:5]
	s_cbranch_vccz .LBB65_74
	s_branch .LBB65_75
.LBB65_146:
	v_mov_b32_e32 v6, 0
	v_mov_b32_e32 v7, 0
	s_andn2_b64 vcc, exec, s[4:5]
	s_cbranch_vccz .LBB65_87
	s_branch .LBB65_88
.LBB65_147:
	v_mov_b32_e32 v6, 0
	v_mov_b32_e32 v7, 0
	s_andn2_b64 vcc, exec, s[4:5]
	s_cbranch_vccz .LBB65_100
	s_branch .LBB65_101
.LBB65_148:
	v_mov_b32_e32 v6, 0
	v_mov_b32_e32 v7, 0
	s_andn2_b64 vcc, exec, s[4:5]
	s_cbranch_vccz .LBB65_113
	s_branch .LBB65_114
.LBB65_149:
	v_mov_b32_e32 v6, 0
	v_mov_b32_e32 v7, 0
	s_andn2_b64 vcc, exec, s[4:5]
	s_cbranch_vccz .LBB65_126
	s_branch .LBB65_127
	.section	.rodata,"a",@progbits
	.p2align	6, 0x0
	.amdhsa_kernel _ZN9rocsparseL26bsric0_2_8_unrolled_kernelILi49ELi32ELi7E21rocsparse_complex_numIdEEEv20rocsparse_direction_iiPKiS5_PT2_S5_PiS5_S8_21rocsparse_index_base_
		.amdhsa_group_segment_fixed_size 3968
		.amdhsa_private_segment_fixed_size 0
		.amdhsa_kernarg_size 76
		.amdhsa_user_sgpr_count 6
		.amdhsa_user_sgpr_private_segment_buffer 1
		.amdhsa_user_sgpr_dispatch_ptr 0
		.amdhsa_user_sgpr_queue_ptr 0
		.amdhsa_user_sgpr_kernarg_segment_ptr 1
		.amdhsa_user_sgpr_dispatch_id 0
		.amdhsa_user_sgpr_flat_scratch_init 0
		.amdhsa_user_sgpr_private_segment_size 0
		.amdhsa_uses_dynamic_stack 0
		.amdhsa_system_sgpr_private_segment_wavefront_offset 0
		.amdhsa_system_sgpr_workgroup_id_x 1
		.amdhsa_system_sgpr_workgroup_id_y 0
		.amdhsa_system_sgpr_workgroup_id_z 0
		.amdhsa_system_sgpr_workgroup_info 0
		.amdhsa_system_vgpr_workitem_id 1
		.amdhsa_next_free_vgpr 59
		.amdhsa_next_free_sgpr 98
		.amdhsa_reserve_vcc 1
		.amdhsa_reserve_flat_scratch 0
		.amdhsa_float_round_mode_32 0
		.amdhsa_float_round_mode_16_64 0
		.amdhsa_float_denorm_mode_32 3
		.amdhsa_float_denorm_mode_16_64 3
		.amdhsa_dx10_clamp 1
		.amdhsa_ieee_mode 1
		.amdhsa_fp16_overflow 0
		.amdhsa_exception_fp_ieee_invalid_op 0
		.amdhsa_exception_fp_denorm_src 0
		.amdhsa_exception_fp_ieee_div_zero 0
		.amdhsa_exception_fp_ieee_overflow 0
		.amdhsa_exception_fp_ieee_underflow 0
		.amdhsa_exception_fp_ieee_inexact 0
		.amdhsa_exception_int_div_zero 0
	.end_amdhsa_kernel
	.section	.text._ZN9rocsparseL26bsric0_2_8_unrolled_kernelILi49ELi32ELi7E21rocsparse_complex_numIdEEEv20rocsparse_direction_iiPKiS5_PT2_S5_PiS5_S8_21rocsparse_index_base_,"axG",@progbits,_ZN9rocsparseL26bsric0_2_8_unrolled_kernelILi49ELi32ELi7E21rocsparse_complex_numIdEEEv20rocsparse_direction_iiPKiS5_PT2_S5_PiS5_S8_21rocsparse_index_base_,comdat
.Lfunc_end65:
	.size	_ZN9rocsparseL26bsric0_2_8_unrolled_kernelILi49ELi32ELi7E21rocsparse_complex_numIdEEEv20rocsparse_direction_iiPKiS5_PT2_S5_PiS5_S8_21rocsparse_index_base_, .Lfunc_end65-_ZN9rocsparseL26bsric0_2_8_unrolled_kernelILi49ELi32ELi7E21rocsparse_complex_numIdEEEv20rocsparse_direction_iiPKiS5_PT2_S5_PiS5_S8_21rocsparse_index_base_
                                        ; -- End function
	.set _ZN9rocsparseL26bsric0_2_8_unrolled_kernelILi49ELi32ELi7E21rocsparse_complex_numIdEEEv20rocsparse_direction_iiPKiS5_PT2_S5_PiS5_S8_21rocsparse_index_base_.num_vgpr, 59
	.set _ZN9rocsparseL26bsric0_2_8_unrolled_kernelILi49ELi32ELi7E21rocsparse_complex_numIdEEEv20rocsparse_direction_iiPKiS5_PT2_S5_PiS5_S8_21rocsparse_index_base_.num_agpr, 0
	.set _ZN9rocsparseL26bsric0_2_8_unrolled_kernelILi49ELi32ELi7E21rocsparse_complex_numIdEEEv20rocsparse_direction_iiPKiS5_PT2_S5_PiS5_S8_21rocsparse_index_base_.numbered_sgpr, 40
	.set _ZN9rocsparseL26bsric0_2_8_unrolled_kernelILi49ELi32ELi7E21rocsparse_complex_numIdEEEv20rocsparse_direction_iiPKiS5_PT2_S5_PiS5_S8_21rocsparse_index_base_.num_named_barrier, 0
	.set _ZN9rocsparseL26bsric0_2_8_unrolled_kernelILi49ELi32ELi7E21rocsparse_complex_numIdEEEv20rocsparse_direction_iiPKiS5_PT2_S5_PiS5_S8_21rocsparse_index_base_.private_seg_size, 0
	.set _ZN9rocsparseL26bsric0_2_8_unrolled_kernelILi49ELi32ELi7E21rocsparse_complex_numIdEEEv20rocsparse_direction_iiPKiS5_PT2_S5_PiS5_S8_21rocsparse_index_base_.uses_vcc, 1
	.set _ZN9rocsparseL26bsric0_2_8_unrolled_kernelILi49ELi32ELi7E21rocsparse_complex_numIdEEEv20rocsparse_direction_iiPKiS5_PT2_S5_PiS5_S8_21rocsparse_index_base_.uses_flat_scratch, 0
	.set _ZN9rocsparseL26bsric0_2_8_unrolled_kernelILi49ELi32ELi7E21rocsparse_complex_numIdEEEv20rocsparse_direction_iiPKiS5_PT2_S5_PiS5_S8_21rocsparse_index_base_.has_dyn_sized_stack, 0
	.set _ZN9rocsparseL26bsric0_2_8_unrolled_kernelILi49ELi32ELi7E21rocsparse_complex_numIdEEEv20rocsparse_direction_iiPKiS5_PT2_S5_PiS5_S8_21rocsparse_index_base_.has_recursion, 0
	.set _ZN9rocsparseL26bsric0_2_8_unrolled_kernelILi49ELi32ELi7E21rocsparse_complex_numIdEEEv20rocsparse_direction_iiPKiS5_PT2_S5_PiS5_S8_21rocsparse_index_base_.has_indirect_call, 0
	.section	.AMDGPU.csdata,"",@progbits
; Kernel info:
; codeLenInByte = 11760
; TotalNumSgprs: 44
; NumVgprs: 59
; ScratchSize: 0
; MemoryBound: 1
; FloatMode: 240
; IeeeMode: 1
; LDSByteSize: 3968 bytes/workgroup (compile time only)
; SGPRBlocks: 12
; VGPRBlocks: 14
; NumSGPRsForWavesPerEU: 102
; NumVGPRsForWavesPerEU: 59
; Occupancy: 4
; WaveLimiterHint : 1
; COMPUTE_PGM_RSRC2:SCRATCH_EN: 0
; COMPUTE_PGM_RSRC2:USER_SGPR: 6
; COMPUTE_PGM_RSRC2:TRAP_HANDLER: 0
; COMPUTE_PGM_RSRC2:TGID_X_EN: 1
; COMPUTE_PGM_RSRC2:TGID_Y_EN: 0
; COMPUTE_PGM_RSRC2:TGID_Z_EN: 0
; COMPUTE_PGM_RSRC2:TIDIG_COMP_CNT: 1
	.section	.text._ZN9rocsparseL26bsric0_2_8_unrolled_kernelILi64ELi32ELi8E21rocsparse_complex_numIdEEEv20rocsparse_direction_iiPKiS5_PT2_S5_PiS5_S8_21rocsparse_index_base_,"axG",@progbits,_ZN9rocsparseL26bsric0_2_8_unrolled_kernelILi64ELi32ELi8E21rocsparse_complex_numIdEEEv20rocsparse_direction_iiPKiS5_PT2_S5_PiS5_S8_21rocsparse_index_base_,comdat
	.globl	_ZN9rocsparseL26bsric0_2_8_unrolled_kernelILi64ELi32ELi8E21rocsparse_complex_numIdEEEv20rocsparse_direction_iiPKiS5_PT2_S5_PiS5_S8_21rocsparse_index_base_ ; -- Begin function _ZN9rocsparseL26bsric0_2_8_unrolled_kernelILi64ELi32ELi8E21rocsparse_complex_numIdEEEv20rocsparse_direction_iiPKiS5_PT2_S5_PiS5_S8_21rocsparse_index_base_
	.p2align	8
	.type	_ZN9rocsparseL26bsric0_2_8_unrolled_kernelILi64ELi32ELi8E21rocsparse_complex_numIdEEEv20rocsparse_direction_iiPKiS5_PT2_S5_PiS5_S8_21rocsparse_index_base_,@function
_ZN9rocsparseL26bsric0_2_8_unrolled_kernelILi64ELi32ELi8E21rocsparse_complex_numIdEEEv20rocsparse_direction_iiPKiS5_PT2_S5_PiS5_S8_21rocsparse_index_base_: ; @_ZN9rocsparseL26bsric0_2_8_unrolled_kernelILi64ELi32ELi8E21rocsparse_complex_numIdEEEv20rocsparse_direction_iiPKiS5_PT2_S5_PiS5_S8_21rocsparse_index_base_
; %bb.0:
	s_load_dwordx8 s[8:15], s[4:5], 0x28
	s_mov_b32 s7, 0
	s_lshl_b64 s[0:1], s[6:7], 2
	s_waitcnt lgkmcnt(0)
	s_add_u32 s0, s12, s0
	s_addc_u32 s1, s13, s1
	s_load_dword s12, s[0:1], 0x0
	s_waitcnt lgkmcnt(0)
	s_ashr_i32 s13, s12, 31
	s_lshl_b64 s[6:7], s[12:13], 2
	s_add_u32 s0, s8, s6
	s_addc_u32 s1, s9, s7
	s_load_dword s30, s[0:1], 0x0
	s_load_dword s13, s[4:5], 0x48
	s_waitcnt lgkmcnt(0)
	s_cmp_lg_u32 s30, -1
	s_cbranch_scc0 .LBB66_6
; %bb.1:
	s_load_dwordx4 s[16:19], s[4:5], 0x10
	s_load_dwordx2 s[20:21], s[4:5], 0x20
	v_lshlrev_b32_e32 v20, 3, v1
	v_add_u32_e32 v19, v20, v0
	s_waitcnt lgkmcnt(0)
	s_add_u32 s0, s16, s6
	s_addc_u32 s1, s17, s7
	s_load_dword s0, s[0:1], 0x0
	s_waitcnt lgkmcnt(0)
	s_sub_i32 s31, s0, s13
	v_add_u32_e32 v2, s31, v19
	v_cmp_ge_i32_e32 vcc, s30, v2
	s_and_saveexec_b64 s[0:1], vcc
	s_cbranch_execz .LBB66_4
; %bb.2:
	v_lshlrev_b32_e32 v3, 5, v1
	v_lshlrev_b32_e32 v4, 2, v0
	s_movk_i32 s2, 0x1300
	v_add3_u32 v5, v3, v4, s2
	v_ashrrev_i32_e32 v3, 31, v2
	v_lshlrev_b64 v[3:4], 2, v[2:3]
	v_mov_b32_e32 v6, s19
	v_add_co_u32_e32 v3, vcc, s18, v3
	v_addc_co_u32_e32 v4, vcc, v6, v4, vcc
	s_mov_b64 s[2:3], 0
.LBB66_3:                               ; =>This Inner Loop Header: Depth=1
	global_load_dword v6, v[3:4], off
	v_add_co_u32_e32 v3, vcc, 0x100, v3
	v_add_u32_e32 v2, 64, v2
	v_addc_co_u32_e32 v4, vcc, 0, v4, vcc
	v_cmp_lt_i32_e32 vcc, s30, v2
	s_or_b64 s[2:3], vcc, s[2:3]
	s_waitcnt vmcnt(0)
	v_subrev_u32_e32 v6, s13, v6
	ds_write_b32 v5, v6
	v_add_u32_e32 v5, 0x100, v5
	s_andn2_b64 exec, exec, s[2:3]
	s_cbranch_execnz .LBB66_3
.LBB66_4:
	s_or_b64 exec, exec, s[0:1]
	s_movk_i32 s0, 0x90
	v_mov_b32_e32 v2, 0xd80
	v_mad_u32_u24 v18, v1, s0, v2
	v_mov_b32_e32 v2, 0
	v_lshl_add_u32 v16, v0, 4, v18
	v_mov_b32_e32 v3, v2
	v_mov_b32_e32 v4, v2
	;; [unrolled: 1-line block ×3, first 2 shown]
	s_cmp_lt_i32 s31, s30
	ds_write_b128 v16, v[2:5]
	s_waitcnt lgkmcnt(0)
	s_cbranch_scc1 .LBB66_8
; %bb.5:
	v_lshl_add_u32 v21, v0, 3, v1
	v_or_b32_e32 v17, v0, v1
	s_load_dword s33, s[4:5], 0x0
	s_cbranch_execz .LBB66_9
	s_branch .LBB66_43
.LBB66_6:
	s_cbranch_execnz .LBB66_150
.LBB66_7:
	s_endpgm
.LBB66_8:
                                        ; implicit-def: $vgpr21
                                        ; implicit-def: $vgpr17
	s_load_dword s33, s[4:5], 0x0
.LBB66_9:
	s_waitcnt lgkmcnt(0)
	s_cmp_lg_u32 s33, 0
	s_cselect_b64 s[4:5], -1, 0
	s_cmp_eq_u32 s33, 0
	v_lshlrev_b32_e32 v22, 3, v0
	s_movk_i32 s0, 0x90
	v_mov_b32_e32 v2, 0x900
	v_mov_b32_e32 v4, 0x480
	v_add_u32_e32 v21, v22, v1
	v_mad_u32_u24 v23, v1, s0, v2
	v_lshlrev_b32_e32 v3, 4, v0
	v_mad_u32_u24 v26, v1, s0, v4
	v_or_b32_e32 v17, v0, v1
	s_cselect_b64 vcc, -1, 0
	v_add_u32_e32 v24, v23, v3
	v_mad_u32_u24 v25, v1, s0, v3
	v_add_u32_e32 v27, v26, v3
	v_mad_u32_u24 v28, v0, s0, v2
	v_cmp_ne_u32_e64 s[0:1], 0, v17
	v_cndmask_b32_e32 v29, v21, v19, vcc
	v_mov_b32_e32 v30, 0
	v_mov_b32_e32 v31, 0x3ff00000
	s_mov_b32 s22, s31
	s_branch .LBB66_11
.LBB66_10:                              ;   in Loop: Header=BB66_11 Depth=1
	ds_read2_b64 v[2:5], v24 offset1:1
	s_add_i32 s22, s22, 1
	s_cmp_ge_i32 s22, s30
	s_cselect_b64 s[2:3], -1, 0
	s_waitcnt lgkmcnt(0)
	global_store_dwordx4 v[10:11], v[2:5], off
	s_waitcnt vmcnt(0)
	buffer_wbinvl1_vol
	s_and_b64 vcc, exec, s[2:3]
	s_cbranch_vccnz .LBB66_43
.LBB66_11:                              ; =>This Loop Header: Depth=1
                                        ;     Child Loop BB66_14 Depth 2
                                        ;     Child Loop BB66_25 Depth 2
	;; [unrolled: 1-line block ×4, first 2 shown]
                                        ;       Child Loop BB66_41 Depth 3
	s_ashr_i32 s23, s22, 31
	s_lshl_b64 s[2:3], s[22:23], 2
	s_add_u32 s2, s18, s2
	s_addc_u32 s3, s19, s3
	s_load_dword s23, s[2:3], 0x0
	s_waitcnt lgkmcnt(0)
	s_sub_i32 s24, s23, s13
	s_ashr_i32 s25, s24, 31
	s_lshl_b64 s[2:3], s[24:25], 2
	s_add_u32 s26, s8, s2
	s_addc_u32 s27, s9, s3
	s_load_dword s25, s[26:27], 0x0
	s_waitcnt lgkmcnt(0)
	s_cmp_eq_u32 s25, -1
	s_cbranch_scc1 .LBB66_42
; %bb.12:                               ;   in Loop: Header=BB66_11 Depth=1
	v_lshl_add_u32 v2, s22, 6, v29
	v_ashrrev_i32_e32 v3, 31, v2
	v_lshlrev_b64 v[2:3], 4, v[2:3]
	v_mov_b32_e32 v4, s21
	v_add_co_u32_e32 v10, vcc, s20, v2
	v_addc_co_u32_e32 v11, vcc, v4, v3, vcc
	global_load_dwordx4 v[2:5], v[10:11], off
	s_add_u32 s26, s16, s2
	s_addc_u32 s27, s17, s3
	s_load_dword s26, s[26:27], 0x0
	ds_read_b32 v6, v30 offset:4864
	s_mov_b32 s27, 0
	s_waitcnt lgkmcnt(0)
	s_sub_i32 s26, s26, s13
	s_cmp_le_i32 s26, s25
	v_cmp_ge_i32_e32 vcc, s24, v6
	s_cselect_b64 s[28:29], -1, 0
	s_and_b64 s[28:29], s[28:29], vcc
	s_andn2_b64 vcc, exec, s[28:29]
	s_waitcnt vmcnt(0)
	ds_write2_b64 v24, v[2:3], v[4:5] offset1:1
	s_cbranch_vccnz .LBB66_24
; %bb.13:                               ;   in Loop: Header=BB66_11 Depth=1
	s_mov_b32 s34, 0
	s_mov_b32 s35, 0
.LBB66_14:                              ;   Parent Loop BB66_11 Depth=1
                                        ; =>  This Inner Loop Header: Depth=2
	s_ashr_i32 s27, s26, 31
	s_lshl_b64 s[28:29], s[26:27], 2
	s_add_u32 s28, s18, s28
	s_addc_u32 s29, s19, s29
	s_load_dword s27, s[28:29], 0x0
	s_lshl_b32 s28, s35, 2
	v_mov_b32_e32 v2, s28
	ds_read_b32 v2, v2 offset:4864
	s_mov_b64 s[28:29], -1
	s_waitcnt lgkmcnt(0)
	s_sub_i32 s39, s27, s13
                                        ; implicit-def: $sgpr27
                                        ; implicit-def: $sgpr38
                                        ; implicit-def: $sgpr37
	v_cmp_ge_i32_e32 vcc, s39, v2
	v_readfirstlane_b32 s36, v2
	s_cbranch_vccz .LBB66_20
; %bb.15:                               ;   in Loop: Header=BB66_14 Depth=2
	s_cmp_le_i32 s39, s36
                                        ; implicit-def: $sgpr27
                                        ; implicit-def: $sgpr38
                                        ; implicit-def: $sgpr37
	s_cbranch_scc0 .LBB66_17
; %bb.16:                               ;   in Loop: Header=BB66_14 Depth=2
	s_add_i32 s27, s35, s31
	s_lshl_b32 s27, s27, 6
	s_lshl_b32 s28, s34, 2
	v_mov_b32_e32 v2, s28
	v_mov_b32_e32 v3, s27
	s_lshl_b32 s27, s26, 6
	v_mov_b32_e32 v4, s27
	v_add_u32_e32 v2, 0x1000, v2
	ds_write2_b32 v2, v4, v3 offset0:128 offset1:160
	s_add_i32 s37, s35, 1
	s_add_i32 s38, s26, 1
	;; [unrolled: 1-line block ×3, first 2 shown]
	s_mov_b64 s[28:29], 0
.LBB66_17:                              ;   in Loop: Header=BB66_14 Depth=2
	s_andn2_b64 vcc, exec, s[28:29]
	s_cbranch_vccnz .LBB66_19
; %bb.18:                               ;   in Loop: Header=BB66_14 Depth=2
	s_add_i32 s37, s35, 1
	s_mov_b32 s27, s34
	s_mov_b32 s38, s26
.LBB66_19:                              ;   in Loop: Header=BB66_14 Depth=2
	s_mov_b64 s[28:29], 0
.LBB66_20:                              ;   in Loop: Header=BB66_14 Depth=2
	s_andn2_b64 vcc, exec, s[28:29]
	s_cbranch_vccnz .LBB66_22
; %bb.21:                               ;   in Loop: Header=BB66_14 Depth=2
	s_add_i32 s38, s26, 1
	s_mov_b32 s37, s35
	s_mov_b32 s27, s34
.LBB66_22:                              ;   in Loop: Header=BB66_14 Depth=2
	s_cmp_le_i32 s38, s25
	s_cselect_b64 s[28:29], -1, 0
	s_cmp_le_i32 s36, s24
	s_cselect_b64 s[34:35], -1, 0
	s_and_b64 s[28:29], s[28:29], s[34:35]
	s_and_b64 vcc, exec, s[28:29]
	s_cbranch_vccz .LBB66_24
; %bb.23:                               ;   in Loop: Header=BB66_14 Depth=2
	s_mov_b32 s34, s27
	s_mov_b32 s26, s38
	;; [unrolled: 1-line block ×3, first 2 shown]
	s_branch .LBB66_14
.LBB66_24:                              ;   in Loop: Header=BB66_11 Depth=1
	s_add_u32 s2, s10, s2
	s_addc_u32 s3, s11, s3
	s_waitcnt lgkmcnt(0)
.LBB66_25:                              ;   Parent Loop BB66_11 Depth=1
                                        ; =>  This Inner Loop Header: Depth=2
	global_load_dword v2, v30, s[2:3] glc
	s_waitcnt vmcnt(0)
	v_cmp_eq_u32_e32 vcc, 0, v2
	s_cbranch_vccnz .LBB66_25
; %bb.26:                               ;   in Loop: Header=BB66_11 Depth=1
	v_lshl_add_u32 v2, s25, 6, v29
	v_ashrrev_i32_e32 v3, 31, v2
	v_lshlrev_b64 v[2:3], 4, v[2:3]
	v_mov_b32_e32 v4, s21
	v_add_co_u32_e32 v2, vcc, s20, v2
	v_addc_co_u32_e32 v3, vcc, v4, v3, vcc
	buffer_wbinvl1_vol
	global_load_dwordx4 v[6:9], v[2:3], off
	v_mov_b32_e32 v4, 0
	v_mov_b32_e32 v2, 0
	;; [unrolled: 1-line block ×3, first 2 shown]
	s_cmp_lt_i32 s27, 2
	v_mov_b32_e32 v3, 0
	s_waitcnt vmcnt(0)
	ds_write2_b64 v25, v[6:7], v[8:9] offset1:1
	s_waitcnt lgkmcnt(0)
	s_cbranch_scc1 .LBB66_34
; %bb.27:                               ;   in Loop: Header=BB66_11 Depth=1
	v_mov_b32_e32 v6, 0
	v_mov_b32_e32 v8, 0
	s_add_i32 s24, s27, -1
	v_mov_b32_e32 v7, 0
	v_mov_b32_e32 v9, 0
	s_movk_i32 s25, 0x1200
.LBB66_28:                              ;   Parent Loop BB66_11 Depth=1
                                        ; =>  This Inner Loop Header: Depth=2
	v_mov_b32_e32 v2, s25
	s_waitcnt lgkmcnt(0)
	ds_read2_b32 v[12:13], v2 offset1:32
	s_mov_b64 s[2:3], -1
	s_and_b64 vcc, exec, s[4:5]
                                        ; implicit-def: $vgpr4_vgpr5
	s_cbranch_vccz .LBB66_31
; %bb.29:                               ;   in Loop: Header=BB66_28 Depth=2
	s_waitcnt lgkmcnt(0)
	v_add_u32_e32 v14, v12, v0
	v_ashrrev_i32_e32 v15, 31, v14
	v_lshlrev_b64 v[2:3], 4, v[14:15]
	v_add_u32_e32 v36, v13, v1
	v_ashrrev_i32_e32 v37, 31, v36
	v_add_co_u32_e32 v2, vcc, s20, v2
	v_mov_b32_e32 v4, s21
	v_lshlrev_b64 v[32:33], 4, v[36:37]
	v_addc_co_u32_e32 v3, vcc, v4, v3, vcc
	v_add_co_u32_e32 v32, vcc, s20, v32
	v_mov_b32_e32 v15, s21
	v_addc_co_u32_e32 v33, vcc, v15, v33, vcc
	global_load_dwordx4 v[2:5], v[2:3], off
	s_nop 0
	global_load_dwordx4 v[32:35], v[32:33], off
	s_waitcnt vmcnt(0)
	v_fma_f64 v[37:38], v[2:3], v[32:33], v[8:9]
	v_fma_f64 v[37:38], v[4:5], v[34:35], v[37:38]
	v_fma_f64 v[4:5], v[4:5], v[32:33], v[6:7]
	v_add_u32_e32 v32, 8, v36
	v_ashrrev_i32_e32 v33, 31, v32
	v_lshlrev_b64 v[32:33], 4, v[32:33]
	v_fma_f64 v[39:40], v[2:3], -v[34:35], v[4:5]
	v_add_u32_e32 v2, 8, v14
	v_ashrrev_i32_e32 v3, 31, v2
	v_lshlrev_b64 v[2:3], 4, v[2:3]
	v_mov_b32_e32 v4, s21
	v_add_co_u32_e32 v2, vcc, s20, v2
	v_addc_co_u32_e32 v3, vcc, v4, v3, vcc
	v_add_co_u32_e32 v32, vcc, s20, v32
	v_addc_co_u32_e32 v33, vcc, v15, v33, vcc
	global_load_dwordx4 v[2:5], v[2:3], off
	s_nop 0
	global_load_dwordx4 v[32:35], v[32:33], off
	s_waitcnt vmcnt(0)
	v_fma_f64 v[37:38], v[2:3], v[32:33], v[37:38]
	v_fma_f64 v[37:38], v[4:5], v[34:35], v[37:38]
	v_fma_f64 v[4:5], v[4:5], v[32:33], v[39:40]
	v_add_u32_e32 v32, 16, v36
	v_ashrrev_i32_e32 v33, 31, v32
	v_lshlrev_b64 v[32:33], 4, v[32:33]
	v_fma_f64 v[39:40], v[2:3], -v[34:35], v[4:5]
	v_add_u32_e32 v2, 16, v14
	v_ashrrev_i32_e32 v3, 31, v2
	v_lshlrev_b64 v[2:3], 4, v[2:3]
	v_mov_b32_e32 v4, s21
	v_add_co_u32_e32 v2, vcc, s20, v2
	v_addc_co_u32_e32 v3, vcc, v4, v3, vcc
	v_add_co_u32_e32 v32, vcc, s20, v32
	;; [unrolled: 19-line block ×6, first 2 shown]
	v_addc_co_u32_e32 v33, vcc, v15, v33, vcc
	global_load_dwordx4 v[2:5], v[2:3], off
	s_nop 0
	global_load_dwordx4 v[32:35], v[32:33], off
	s_waitcnt vmcnt(0)
	v_fma_f64 v[37:38], v[2:3], v[32:33], v[37:38]
	v_fma_f64 v[41:42], v[4:5], v[34:35], v[37:38]
	;; [unrolled: 1-line block ×3, first 2 shown]
	v_fma_f64 v[4:5], v[2:3], -v[34:35], v[4:5]
	v_add_u32_e32 v2, 56, v14
	v_ashrrev_i32_e32 v3, 31, v2
	v_lshlrev_b64 v[2:3], 4, v[2:3]
	v_mov_b32_e32 v14, s21
	v_add_co_u32_e32 v2, vcc, s20, v2
	v_addc_co_u32_e32 v3, vcc, v14, v3, vcc
	global_load_dwordx4 v[32:35], v[2:3], off
	v_add_u32_e32 v2, 56, v36
	v_ashrrev_i32_e32 v3, 31, v2
	v_lshlrev_b64 v[2:3], 4, v[2:3]
	v_add_co_u32_e32 v2, vcc, s20, v2
	v_addc_co_u32_e32 v3, vcc, v14, v3, vcc
	global_load_dwordx4 v[36:39], v[2:3], off
	s_waitcnt vmcnt(0)
	v_fma_f64 v[2:3], v[32:33], v[36:37], v[41:42]
	v_fma_f64 v[4:5], v[34:35], v[36:37], v[4:5]
	;; [unrolled: 1-line block ×3, first 2 shown]
	v_fma_f64 v[4:5], v[32:33], -v[38:39], v[4:5]
	s_cbranch_execz .LBB66_32
.LBB66_30:                              ;   in Loop: Header=BB66_28 Depth=2
	s_add_i32 s24, s24, -1
	s_add_i32 s25, s25, 4
	s_cmp_eq_u32 s24, 0
	s_cbranch_scc0 .LBB66_33
	s_branch .LBB66_34
.LBB66_31:                              ;   in Loop: Header=BB66_28 Depth=2
	s_andn2_b64 vcc, exec, s[2:3]
	s_cbranch_vccnz .LBB66_30
.LBB66_32:                              ;   in Loop: Header=BB66_28 Depth=2
	s_waitcnt lgkmcnt(0)
	v_add_u32_e32 v2, v12, v22
	v_ashrrev_i32_e32 v3, 31, v2
	v_lshlrev_b64 v[2:3], 4, v[2:3]
	v_add_u32_e32 v12, v13, v20
	v_ashrrev_i32_e32 v13, 31, v12
	v_add_co_u32_e32 v56, vcc, s20, v2
	v_mov_b32_e32 v2, s21
	v_lshlrev_b64 v[12:13], 4, v[12:13]
	v_addc_co_u32_e32 v57, vcc, v2, v3, vcc
	v_add_co_u32_e32 v58, vcc, s20, v12
	v_mov_b32_e32 v12, s21
	v_addc_co_u32_e32 v59, vcc, v12, v13, vcc
	global_load_dwordx4 v[2:5], v[56:57], off offset:48
	global_load_dwordx4 v[32:35], v[56:57], off offset:32
	;; [unrolled: 1-line block ×3, first 2 shown]
	global_load_dwordx4 v[40:43], v[56:57], off
	global_load_dwordx4 v[12:15], v[58:59], off offset:48
	global_load_dwordx4 v[44:47], v[58:59], off offset:32
	;; [unrolled: 1-line block ×3, first 2 shown]
	global_load_dwordx4 v[52:55], v[58:59], off
	s_waitcnt vmcnt(0)
	v_fma_f64 v[8:9], v[40:41], v[52:53], v[8:9]
	v_fma_f64 v[6:7], v[42:43], v[52:53], v[6:7]
	v_fma_f64 v[8:9], v[42:43], v[54:55], v[8:9]
	v_fma_f64 v[6:7], v[40:41], -v[54:55], v[6:7]
	v_fma_f64 v[8:9], v[36:37], v[48:49], v[8:9]
	v_fma_f64 v[6:7], v[38:39], v[48:49], v[6:7]
	v_fma_f64 v[8:9], v[38:39], v[50:51], v[8:9]
	v_fma_f64 v[6:7], v[36:37], -v[50:51], v[6:7]
	;; [unrolled: 4-line block ×4, first 2 shown]
	global_load_dwordx4 v[4:7], v[56:57], off offset:112
	global_load_dwordx4 v[12:15], v[56:57], off offset:96
	global_load_dwordx4 v[32:35], v[56:57], off offset:80
	global_load_dwordx4 v[36:39], v[56:57], off offset:64
	global_load_dwordx4 v[40:43], v[58:59], off offset:112
	global_load_dwordx4 v[44:47], v[58:59], off offset:96
	global_load_dwordx4 v[48:51], v[58:59], off offset:80
	global_load_dwordx4 v[52:55], v[58:59], off offset:64
	s_waitcnt vmcnt(0)
	v_fma_f64 v[8:9], v[36:37], v[52:53], v[8:9]
	v_fma_f64 v[2:3], v[38:39], v[52:53], v[2:3]
	v_fma_f64 v[8:9], v[38:39], v[54:55], v[8:9]
	v_fma_f64 v[2:3], v[36:37], -v[54:55], v[2:3]
	v_fma_f64 v[8:9], v[32:33], v[48:49], v[8:9]
	v_fma_f64 v[2:3], v[34:35], v[48:49], v[2:3]
	v_fma_f64 v[8:9], v[34:35], v[50:51], v[8:9]
	v_fma_f64 v[2:3], v[32:33], -v[50:51], v[2:3]
	;; [unrolled: 4-line block ×4, first 2 shown]
	s_add_i32 s24, s24, -1
	s_add_i32 s25, s25, 4
	s_cmp_eq_u32 s24, 0
	s_cbranch_scc1 .LBB66_34
.LBB66_33:                              ;   in Loop: Header=BB66_28 Depth=2
	v_mov_b32_e32 v7, v5
	v_mov_b32_e32 v9, v3
	;; [unrolled: 1-line block ×4, first 2 shown]
	s_branch .LBB66_28
.LBB66_34:                              ;   in Loop: Header=BB66_11 Depth=1
	s_mov_b32 s26, 0
	s_mov_b32 s27, 0
	ds_write_b128 v27, v[2:5]
	s_waitcnt lgkmcnt(0)
	s_branch .LBB66_36
.LBB66_35:                              ;   in Loop: Header=BB66_36 Depth=2
	v_mul_f64 v[33:34], v[14:15], v[14:15]
	s_waitcnt lgkmcnt(0)
	v_add_f64 v[4:5], v[4:5], -v[8:9]
	v_add_f64 v[2:3], v[2:3], -v[6:7]
	s_addk_i32 s26, 0x90
	v_fma_f64 v[33:34], v[12:13], v[12:13], v[33:34]
	v_mul_f64 v[6:7], v[14:15], v[4:5]
	v_mul_f64 v[14:15], v[14:15], -v[2:3]
	v_div_scale_f64 v[35:36], s[2:3], v[33:34], v[33:34], 1.0
	v_fma_f64 v[2:3], v[2:3], v[12:13], v[6:7]
	v_fma_f64 v[4:5], v[4:5], v[12:13], v[14:15]
	v_rcp_f64_e32 v[37:38], v[35:36]
	v_fma_f64 v[39:40], -v[35:36], v[37:38], 1.0
	v_fma_f64 v[37:38], v[37:38], v[39:40], v[37:38]
	v_div_scale_f64 v[39:40], vcc, 1.0, v[33:34], 1.0
	v_fma_f64 v[41:42], -v[35:36], v[37:38], 1.0
	v_fma_f64 v[37:38], v[37:38], v[41:42], v[37:38]
	v_mul_f64 v[41:42], v[39:40], v[37:38]
	v_fma_f64 v[35:36], -v[35:36], v[41:42], v[39:40]
	v_div_fmas_f64 v[8:9], v[35:36], v[37:38], v[41:42]
	v_div_fixup_f64 v[6:7], v[8:9], v[33:34], 1.0
	v_mul_f64 v[2:3], v[6:7], v[2:3]
	v_mul_f64 v[4:5], v[6:7], v[4:5]
	v_lshl_add_u32 v6, s27, 4, v28
	s_add_i32 s27, s27, 1
	s_cmp_eq_u32 s27, 8
	ds_write_b128 v32, v[2:5]
	s_waitcnt lgkmcnt(0)
	ds_read_b128 v[6:9], v6
	ds_read_b128 v[12:15], v16
	s_waitcnt lgkmcnt(0)
	v_fma_f64 v[12:13], v[2:3], v[6:7], v[12:13]
	v_fma_f64 v[6:7], v[4:5], v[6:7], v[14:15]
	;; [unrolled: 1-line block ×3, first 2 shown]
	v_fma_f64 v[6:7], v[2:3], -v[8:9], v[6:7]
	ds_write_b128 v16, v[4:7]
	s_waitcnt lgkmcnt(0)
	s_cbranch_scc1 .LBB66_10
.LBB66_36:                              ;   Parent Loop BB66_11 Depth=1
                                        ; =>  This Loop Header: Depth=2
                                        ;       Child Loop BB66_41 Depth 3
	s_lshl_b32 s24, s27, 4
	s_mul_i32 s2, s27, 0x90
	s_add_i32 s2, s2, s24
	v_mov_b32_e32 v2, s2
	ds_read_b128 v[6:9], v2
	v_add_u32_e32 v32, s24, v23
	ds_read_b128 v[2:5], v32
	s_waitcnt lgkmcnt(1)
	v_cmp_neq_f64_e32 vcc, 0, v[6:7]
	v_cmp_neq_f64_e64 s[2:3], 0, v[8:9]
	s_or_b64 vcc, vcc, s[2:3]
	v_cndmask_b32_e32 v13, v31, v7, vcc
	s_nor_b64 s[24:25], vcc, s[0:1]
	v_cndmask_b32_e32 v12, 0, v6, vcc
	v_cndmask_b32_e32 v15, 0, v9, vcc
	;; [unrolled: 1-line block ×3, first 2 shown]
	s_and_saveexec_b64 s[2:3], s[24:25]
	s_cbranch_execz .LBB66_40
; %bb.37:                               ;   in Loop: Header=BB66_36 Depth=2
	v_mbcnt_lo_u32_b32 v6, exec_lo, 0
	v_mbcnt_hi_u32_b32 v6, exec_hi, v6
	v_cmp_eq_u32_e32 vcc, 0, v6
	s_and_saveexec_b64 s[24:25], vcc
	s_cbranch_execz .LBB66_39
; %bb.38:                               ;   in Loop: Header=BB66_36 Depth=2
	v_mov_b32_e32 v6, s23
	global_atomic_smin v30, v6, s[14:15]
.LBB66_39:                              ;   in Loop: Header=BB66_36 Depth=2
	s_or_b64 exec, exec, s[24:25]
	v_mov_b32_e32 v14, 0
	v_mov_b32_e32 v12, 0
	;; [unrolled: 1-line block ×4, first 2 shown]
.LBB66_40:                              ;   in Loop: Header=BB66_36 Depth=2
	s_or_b64 exec, exec, s[2:3]
	v_lshl_add_u32 v6, s27, 4, v26
	ds_read_b128 v[6:9], v6
	s_cmp_eq_u32 s27, 0
	v_mov_b32_e32 v33, v23
	s_mov_b32 s2, s26
	s_mov_b32 s3, s27
	s_cbranch_scc1 .LBB66_35
.LBB66_41:                              ;   Parent Loop BB66_11 Depth=1
                                        ;     Parent Loop BB66_36 Depth=2
                                        ; =>    This Inner Loop Header: Depth=3
	v_mov_b32_e32 v38, s2
	ds_read_b128 v[34:37], v33
	ds_read_b128 v[38:41], v38
	s_add_i32 s3, s3, -1
	s_add_i32 s2, s2, 16
	s_cmp_eq_u32 s3, 0
	v_add_u32_e32 v33, 16, v33
	s_waitcnt lgkmcnt(0)
	v_fma_f64 v[6:7], v[38:39], v[34:35], v[6:7]
	v_fma_f64 v[8:9], v[40:41], v[34:35], v[8:9]
	;; [unrolled: 1-line block ×3, first 2 shown]
	v_fma_f64 v[8:9], v[38:39], -v[36:37], v[8:9]
	s_cbranch_scc0 .LBB66_41
	s_branch .LBB66_35
.LBB66_42:                              ;   in Loop: Header=BB66_11 Depth=1
                                        ; implicit-def: $sgpr22
	s_cbranch_execz .LBB66_11
.LBB66_43:
	s_waitcnt lgkmcnt(0)
	s_cmp_eq_u32 s33, 0
	s_cselect_b64 vcc, -1, 0
	v_cndmask_b32_e32 v2, v21, v19, vcc
	v_lshl_add_u32 v2, s30, 6, v2
	v_ashrrev_i32_e32 v3, 31, v2
	v_lshlrev_b64 v[2:3], 4, v[2:3]
	v_mov_b32_e32 v4, s21
	v_add_co_u32_e32 v2, vcc, s20, v2
	v_addc_co_u32_e32 v3, vcc, v4, v3, vcc
	global_load_dwordx4 v[4:7], v[2:3], off
	s_movk_i32 s0, 0x90
	v_mov_b32_e32 v8, 0x900
	v_mad_u32_u24 v11, v1, s0, v8
	v_cmp_ne_u32_e64 s[2:3], 0, v1
	v_lshl_add_u32 v10, v0, 4, v11
	v_cmp_eq_u32_e32 vcc, 0, v1
	s_waitcnt vmcnt(0)
	ds_write2_b64 v10, v[4:5], v[6:7] offset1:1
	s_waitcnt lgkmcnt(0)
	s_and_saveexec_b64 s[0:1], vcc
	s_cbranch_execz .LBB66_50
; %bb.44:
	v_mov_b32_e32 v8, 0
	ds_read_b128 v[4:7], v8 offset:3456
	ds_read_b128 v[12:15], v8 offset:2304
	s_waitcnt lgkmcnt(0)
	v_add_f64 v[4:5], v[12:13], -v[4:5]
	v_add_f64 v[8:9], v[14:15], -v[6:7]
	v_cmp_gt_f64_e32 vcc, 0, v[4:5]
	v_xor_b32_e32 v6, 0x80000000, v5
	v_xor_b32_e32 v7, 0x80000000, v9
	v_cndmask_b32_e32 v5, v5, v6, vcc
	v_cmp_gt_f64_e32 vcc, 0, v[8:9]
	v_mov_b32_e32 v6, v8
	v_cndmask_b32_e32 v7, v9, v7, vcc
	v_cmp_ngt_f64_e32 vcc, v[4:5], v[6:7]
	s_cbranch_vccz .LBB66_47
; %bb.45:
	v_cmp_eq_f64_e32 vcc, 0, v[8:9]
	s_mov_b64 s[4:5], 0
	s_cbranch_vccnz .LBB66_154
; %bb.46:
	v_div_scale_f64 v[8:9], s[8:9], v[6:7], v[6:7], v[4:5]
	s_mov_b32 s8, 0
	s_brev_b32 s9, 8
	v_rcp_f64_e32 v[12:13], v[8:9]
	v_fma_f64 v[14:15], -v[8:9], v[12:13], 1.0
	v_fma_f64 v[12:13], v[12:13], v[14:15], v[12:13]
	v_div_scale_f64 v[14:15], vcc, v[4:5], v[6:7], v[4:5]
	v_fma_f64 v[19:20], -v[8:9], v[12:13], 1.0
	v_fma_f64 v[12:13], v[12:13], v[19:20], v[12:13]
	v_mul_f64 v[19:20], v[14:15], v[12:13]
	v_fma_f64 v[8:9], -v[8:9], v[19:20], v[14:15]
	v_div_fmas_f64 v[8:9], v[8:9], v[12:13], v[19:20]
	v_div_fixup_f64 v[8:9], v[8:9], v[6:7], v[4:5]
	v_fma_f64 v[8:9], v[8:9], v[8:9], 1.0
	v_cmp_gt_f64_e32 vcc, s[8:9], v[8:9]
	s_and_b64 s[8:9], vcc, exec
	s_cselect_b32 s8, 0x100, 0
	v_ldexp_f64 v[8:9], v[8:9], s8
	s_cselect_b32 s8, 0xffffff80, 0
	v_rsq_f64_e32 v[12:13], v[8:9]
	v_mul_f64 v[14:15], v[8:9], v[12:13]
	v_mul_f64 v[12:13], v[12:13], 0.5
	v_fma_f64 v[19:20], -v[12:13], v[14:15], 0.5
	v_fma_f64 v[14:15], v[14:15], v[19:20], v[14:15]
	v_fma_f64 v[12:13], v[12:13], v[19:20], v[12:13]
	v_fma_f64 v[19:20], -v[14:15], v[14:15], v[8:9]
	v_fma_f64 v[14:15], v[19:20], v[12:13], v[14:15]
	v_fma_f64 v[19:20], -v[14:15], v[14:15], v[8:9]
	v_fma_f64 v[12:13], v[19:20], v[12:13], v[14:15]
	v_mov_b32_e32 v14, 0x260
	v_cmp_class_f64_e32 vcc, v[8:9], v14
	v_ldexp_f64 v[12:13], v[12:13], s8
	v_cndmask_b32_e32 v9, v13, v9, vcc
	v_cndmask_b32_e32 v8, v12, v8, vcc
	v_mul_f64 v[8:9], v[6:7], v[8:9]
	s_andn2_b64 vcc, exec, s[4:5]
	s_cbranch_vccz .LBB66_48
	s_branch .LBB66_49
.LBB66_47:
                                        ; implicit-def: $vgpr8_vgpr9
.LBB66_48:
	v_div_scale_f64 v[8:9], s[4:5], v[4:5], v[4:5], v[6:7]
	s_mov_b32 s4, 0
	s_brev_b32 s5, 8
	v_rcp_f64_e32 v[12:13], v[8:9]
	v_fma_f64 v[14:15], -v[8:9], v[12:13], 1.0
	v_fma_f64 v[12:13], v[12:13], v[14:15], v[12:13]
	v_div_scale_f64 v[14:15], vcc, v[6:7], v[4:5], v[6:7]
	v_fma_f64 v[19:20], -v[8:9], v[12:13], 1.0
	v_fma_f64 v[12:13], v[12:13], v[19:20], v[12:13]
	v_mul_f64 v[19:20], v[14:15], v[12:13]
	v_fma_f64 v[8:9], -v[8:9], v[19:20], v[14:15]
	v_div_fmas_f64 v[8:9], v[8:9], v[12:13], v[19:20]
	v_div_fixup_f64 v[6:7], v[8:9], v[4:5], v[6:7]
	v_fma_f64 v[6:7], v[6:7], v[6:7], 1.0
	v_cmp_gt_f64_e32 vcc, s[4:5], v[6:7]
	s_and_b64 s[4:5], vcc, exec
	s_cselect_b32 s4, 0x100, 0
	v_ldexp_f64 v[6:7], v[6:7], s4
	s_cselect_b32 s4, 0xffffff80, 0
	v_rsq_f64_e32 v[8:9], v[6:7]
	v_mul_f64 v[12:13], v[6:7], v[8:9]
	v_mul_f64 v[8:9], v[8:9], 0.5
	v_fma_f64 v[14:15], -v[8:9], v[12:13], 0.5
	v_fma_f64 v[12:13], v[12:13], v[14:15], v[12:13]
	v_fma_f64 v[8:9], v[8:9], v[14:15], v[8:9]
	v_fma_f64 v[14:15], -v[12:13], v[12:13], v[6:7]
	v_fma_f64 v[12:13], v[14:15], v[8:9], v[12:13]
	v_fma_f64 v[14:15], -v[12:13], v[12:13], v[6:7]
	v_fma_f64 v[8:9], v[14:15], v[8:9], v[12:13]
	v_mov_b32_e32 v12, 0x260
	v_cmp_class_f64_e32 vcc, v[6:7], v12
	v_ldexp_f64 v[8:9], v[8:9], s4
	v_cndmask_b32_e32 v7, v9, v7, vcc
	v_cndmask_b32_e32 v6, v8, v6, vcc
	v_mul_f64 v[8:9], v[4:5], v[6:7]
.LBB66_49:
	s_mov_b32 s4, 0
	s_brev_b32 s5, 8
	v_cmp_gt_f64_e32 vcc, s[4:5], v[8:9]
	s_and_b64 s[4:5], vcc, exec
	s_cselect_b32 s4, 0x100, 0
	v_ldexp_f64 v[4:5], v[8:9], s4
	s_cselect_b32 s4, 0xffffff80, 0
	v_rsq_f64_e32 v[6:7], v[4:5]
	v_mul_f64 v[8:9], v[4:5], v[6:7]
	v_mul_f64 v[6:7], v[6:7], 0.5
	v_fma_f64 v[12:13], -v[6:7], v[8:9], 0.5
	v_fma_f64 v[8:9], v[8:9], v[12:13], v[8:9]
	v_fma_f64 v[6:7], v[6:7], v[12:13], v[6:7]
	v_fma_f64 v[12:13], -v[8:9], v[8:9], v[4:5]
	v_fma_f64 v[8:9], v[12:13], v[6:7], v[8:9]
	v_fma_f64 v[12:13], -v[8:9], v[8:9], v[4:5]
	v_fma_f64 v[6:7], v[12:13], v[6:7], v[8:9]
	v_mov_b32_e32 v9, 0x260
	v_cmp_class_f64_e32 vcc, v[4:5], v9
	v_ldexp_f64 v[7:8], v[6:7], s4
	v_mov_b32_e32 v6, 0
	v_cndmask_b32_e32 v5, v8, v5, vcc
	v_cndmask_b32_e32 v4, v7, v4, vcc
	v_mov_b32_e32 v7, v6
	ds_write_b128 v6, v[4:7] offset:2304
.LBB66_50:
	s_or_b64 exec, exec, s[0:1]
	v_mov_b32_e32 v4, 0
	s_waitcnt lgkmcnt(0)
	ds_read_b128 v[4:7], v4 offset:2304
	v_cmp_ne_u32_e64 s[0:1], 0, v17
	v_mov_b32_e32 v8, 0x3ff00000
	s_add_i32 s16, s12, s13
	s_waitcnt lgkmcnt(0)
	v_cmp_neq_f64_e32 vcc, 0, v[4:5]
	v_cmp_neq_f64_e64 s[4:5], 0, v[6:7]
	s_or_b64 vcc, vcc, s[4:5]
	v_cndmask_b32_e32 v5, v8, v5, vcc
	s_nor_b64 s[8:9], vcc, s[0:1]
	v_cndmask_b32_e32 v4, 0, v4, vcc
	v_cndmask_b32_e32 v7, 0, v7, vcc
	;; [unrolled: 1-line block ×3, first 2 shown]
	s_and_saveexec_b64 s[4:5], s[8:9]
	s_cbranch_execz .LBB66_54
; %bb.51:
	v_mbcnt_lo_u32_b32 v4, exec_lo, 0
	v_mbcnt_hi_u32_b32 v4, exec_hi, v4
	v_cmp_eq_u32_e32 vcc, 0, v4
	s_and_saveexec_b64 s[8:9], vcc
	s_cbranch_execz .LBB66_53
; %bb.52:
	v_mov_b32_e32 v4, 0
	v_mov_b32_e32 v5, s16
	global_atomic_smin v4, v5, s[14:15]
.LBB66_53:
	s_or_b64 exec, exec, s[8:9]
	v_mov_b32_e32 v6, 0
	v_mov_b32_e32 v4, 0
	;; [unrolled: 1-line block ×4, first 2 shown]
.LBB66_54:
	s_or_b64 exec, exec, s[4:5]
	s_movk_i32 s4, 0x90
	v_mov_b32_e32 v8, 0x900
	v_mad_u32_u24 v12, v0, s4, v8
	s_and_saveexec_b64 s[4:5], s[2:3]
	s_cbranch_execz .LBB66_56
; %bb.55:
	v_mul_f64 v[8:9], v[6:7], v[6:7]
	v_fma_f64 v[8:9], v[4:5], v[4:5], v[8:9]
	v_div_scale_f64 v[13:14], s[2:3], v[8:9], v[8:9], 1.0
	v_rcp_f64_e32 v[19:20], v[13:14]
	v_fma_f64 v[21:22], -v[13:14], v[19:20], 1.0
	v_fma_f64 v[19:20], v[19:20], v[21:22], v[19:20]
	v_div_scale_f64 v[21:22], vcc, 1.0, v[8:9], 1.0
	v_fma_f64 v[23:24], -v[13:14], v[19:20], 1.0
	v_fma_f64 v[27:28], v[19:20], v[23:24], v[19:20]
	v_mul_f64 v[29:30], v[21:22], v[27:28]
	v_fma_f64 v[13:14], -v[13:14], v[29:30], v[21:22]
	ds_read_b128 v[19:22], v11
	ds_read_b128 v[23:26], v18
	s_waitcnt lgkmcnt(0)
	v_add_f64 v[21:22], v[21:22], -v[25:26]
	v_add_f64 v[19:20], v[19:20], -v[23:24]
	v_div_fmas_f64 v[13:14], v[13:14], v[27:28], v[29:30]
	v_mul_f64 v[23:24], v[6:7], v[21:22]
	v_mul_f64 v[6:7], v[6:7], -v[19:20]
	v_fma_f64 v[19:20], v[19:20], v[4:5], v[23:24]
	v_fma_f64 v[6:7], v[21:22], v[4:5], v[6:7]
	v_div_fixup_f64 v[8:9], v[13:14], v[8:9], 1.0
	v_mul_f64 v[4:5], v[8:9], v[19:20]
	v_mul_f64 v[6:7], v[8:9], v[6:7]
	ds_write_b128 v11, v[4:7]
	s_waitcnt lgkmcnt(0)
	ds_read_b128 v[19:22], v12
	ds_read_b128 v[23:26], v16
	s_waitcnt lgkmcnt(0)
	v_fma_f64 v[8:9], v[4:5], v[19:20], v[23:24]
	v_fma_f64 v[13:14], v[6:7], v[19:20], v[25:26]
	;; [unrolled: 1-line block ×3, first 2 shown]
	v_fma_f64 v[8:9], v[4:5], -v[21:22], v[13:14]
	ds_write_b128 v16, v[6:9]
.LBB66_56:
	s_or_b64 exec, exec, s[4:5]
	v_cmp_eq_u32_e32 vcc, 1, v1
	s_waitcnt lgkmcnt(0)
	s_and_saveexec_b64 s[2:3], vcc
	s_cbranch_execz .LBB66_63
; %bb.57:
	v_mov_b32_e32 v8, 0
	ds_read_b128 v[4:7], v8 offset:3616
	ds_read_b128 v[19:22], v8 offset:2464
	s_waitcnt lgkmcnt(0)
	v_add_f64 v[4:5], v[19:20], -v[4:5]
	v_add_f64 v[8:9], v[21:22], -v[6:7]
	v_cmp_gt_f64_e32 vcc, 0, v[4:5]
	v_xor_b32_e32 v6, 0x80000000, v5
	v_xor_b32_e32 v7, 0x80000000, v9
	v_cndmask_b32_e32 v5, v5, v6, vcc
	v_cmp_gt_f64_e32 vcc, 0, v[8:9]
	v_mov_b32_e32 v6, v8
	v_cndmask_b32_e32 v7, v9, v7, vcc
	v_cmp_gt_f64_e32 vcc, v[4:5], v[6:7]
	s_cbranch_vccnz .LBB66_60
; %bb.58:
	v_cmp_eq_f64_e32 vcc, 0, v[8:9]
	s_mov_b64 s[4:5], 0
	s_cbranch_vccnz .LBB66_155
; %bb.59:
	v_div_scale_f64 v[8:9], s[8:9], v[6:7], v[6:7], v[4:5]
	s_mov_b32 s8, 0
	s_brev_b32 s9, 8
	v_mov_b32_e32 v15, 0x260
	v_rcp_f64_e32 v[13:14], v[8:9]
	v_fma_f64 v[19:20], -v[8:9], v[13:14], 1.0
	v_fma_f64 v[13:14], v[13:14], v[19:20], v[13:14]
	v_div_scale_f64 v[19:20], vcc, v[4:5], v[6:7], v[4:5]
	v_fma_f64 v[21:22], -v[8:9], v[13:14], 1.0
	v_fma_f64 v[13:14], v[13:14], v[21:22], v[13:14]
	v_mul_f64 v[21:22], v[19:20], v[13:14]
	v_fma_f64 v[8:9], -v[8:9], v[21:22], v[19:20]
	v_div_fmas_f64 v[8:9], v[8:9], v[13:14], v[21:22]
	v_div_fixup_f64 v[8:9], v[8:9], v[6:7], v[4:5]
	v_fma_f64 v[8:9], v[8:9], v[8:9], 1.0
	v_cmp_gt_f64_e32 vcc, s[8:9], v[8:9]
	s_and_b64 s[8:9], vcc, exec
	s_cselect_b32 s8, 0x100, 0
	v_ldexp_f64 v[8:9], v[8:9], s8
	s_cselect_b32 s8, 0xffffff80, 0
	v_rsq_f64_e32 v[13:14], v[8:9]
	v_cmp_class_f64_e32 vcc, v[8:9], v15
	v_mul_f64 v[19:20], v[8:9], v[13:14]
	v_mul_f64 v[13:14], v[13:14], 0.5
	v_fma_f64 v[21:22], -v[13:14], v[19:20], 0.5
	v_fma_f64 v[19:20], v[19:20], v[21:22], v[19:20]
	v_fma_f64 v[13:14], v[13:14], v[21:22], v[13:14]
	v_fma_f64 v[21:22], -v[19:20], v[19:20], v[8:9]
	v_fma_f64 v[19:20], v[21:22], v[13:14], v[19:20]
	v_fma_f64 v[21:22], -v[19:20], v[19:20], v[8:9]
	v_fma_f64 v[13:14], v[21:22], v[13:14], v[19:20]
	v_ldexp_f64 v[13:14], v[13:14], s8
	v_cndmask_b32_e32 v9, v14, v9, vcc
	v_cndmask_b32_e32 v8, v13, v8, vcc
	v_mul_f64 v[8:9], v[6:7], v[8:9]
	s_andn2_b64 vcc, exec, s[4:5]
	s_cbranch_vccz .LBB66_61
	s_branch .LBB66_62
.LBB66_60:
                                        ; implicit-def: $vgpr8_vgpr9
.LBB66_61:
	v_div_scale_f64 v[8:9], s[4:5], v[4:5], v[4:5], v[6:7]
	s_mov_b32 s4, 0
	s_brev_b32 s5, 8
	v_rcp_f64_e32 v[13:14], v[8:9]
	v_fma_f64 v[19:20], -v[8:9], v[13:14], 1.0
	v_fma_f64 v[13:14], v[13:14], v[19:20], v[13:14]
	v_div_scale_f64 v[19:20], vcc, v[6:7], v[4:5], v[6:7]
	v_fma_f64 v[21:22], -v[8:9], v[13:14], 1.0
	v_fma_f64 v[13:14], v[13:14], v[21:22], v[13:14]
	v_mul_f64 v[21:22], v[19:20], v[13:14]
	v_fma_f64 v[8:9], -v[8:9], v[21:22], v[19:20]
	v_div_fmas_f64 v[8:9], v[8:9], v[13:14], v[21:22]
	v_div_fixup_f64 v[6:7], v[8:9], v[4:5], v[6:7]
	v_fma_f64 v[6:7], v[6:7], v[6:7], 1.0
	v_cmp_gt_f64_e32 vcc, s[4:5], v[6:7]
	s_and_b64 s[4:5], vcc, exec
	s_cselect_b32 s4, 0x100, 0
	v_ldexp_f64 v[6:7], v[6:7], s4
	s_cselect_b32 s4, 0xffffff80, 0
	v_rsq_f64_e32 v[8:9], v[6:7]
	v_mul_f64 v[13:14], v[6:7], v[8:9]
	v_mul_f64 v[8:9], v[8:9], 0.5
	v_fma_f64 v[19:20], -v[8:9], v[13:14], 0.5
	v_fma_f64 v[13:14], v[13:14], v[19:20], v[13:14]
	v_fma_f64 v[8:9], v[8:9], v[19:20], v[8:9]
	v_fma_f64 v[19:20], -v[13:14], v[13:14], v[6:7]
	v_fma_f64 v[13:14], v[19:20], v[8:9], v[13:14]
	v_fma_f64 v[19:20], -v[13:14], v[13:14], v[6:7]
	v_fma_f64 v[8:9], v[19:20], v[8:9], v[13:14]
	v_mov_b32_e32 v13, 0x260
	v_cmp_class_f64_e32 vcc, v[6:7], v13
	v_ldexp_f64 v[8:9], v[8:9], s4
	v_cndmask_b32_e32 v7, v9, v7, vcc
	v_cndmask_b32_e32 v6, v8, v6, vcc
	v_mul_f64 v[8:9], v[4:5], v[6:7]
.LBB66_62:
	s_mov_b32 s4, 0
	s_brev_b32 s5, 8
	v_cmp_gt_f64_e32 vcc, s[4:5], v[8:9]
	s_and_b64 s[4:5], vcc, exec
	s_cselect_b32 s4, 0x100, 0
	v_ldexp_f64 v[4:5], v[8:9], s4
	s_cselect_b32 s4, 0xffffff80, 0
	v_rsq_f64_e32 v[6:7], v[4:5]
	v_mul_f64 v[8:9], v[4:5], v[6:7]
	v_mul_f64 v[6:7], v[6:7], 0.5
	v_fma_f64 v[13:14], -v[6:7], v[8:9], 0.5
	v_fma_f64 v[8:9], v[8:9], v[13:14], v[8:9]
	v_fma_f64 v[6:7], v[6:7], v[13:14], v[6:7]
	v_fma_f64 v[13:14], -v[8:9], v[8:9], v[4:5]
	v_fma_f64 v[8:9], v[13:14], v[6:7], v[8:9]
	v_fma_f64 v[13:14], -v[8:9], v[8:9], v[4:5]
	v_fma_f64 v[6:7], v[13:14], v[6:7], v[8:9]
	v_mov_b32_e32 v9, 0x260
	v_cmp_class_f64_e32 vcc, v[4:5], v9
	v_ldexp_f64 v[7:8], v[6:7], s4
	v_mov_b32_e32 v6, 0
	v_cndmask_b32_e32 v5, v8, v5, vcc
	v_cndmask_b32_e32 v4, v7, v4, vcc
	v_mov_b32_e32 v7, v6
	ds_write_b128 v6, v[4:7] offset:2464
.LBB66_63:
	s_or_b64 exec, exec, s[2:3]
	v_mov_b32_e32 v4, 0
	s_waitcnt lgkmcnt(0)
	ds_read_b128 v[4:7], v4 offset:2464
	v_mov_b32_e32 v8, 0x3ff00000
	s_waitcnt lgkmcnt(0)
	v_cmp_neq_f64_e32 vcc, 0, v[4:5]
	v_cmp_neq_f64_e64 s[2:3], 0, v[6:7]
	s_or_b64 vcc, vcc, s[2:3]
	v_cndmask_b32_e32 v5, v8, v5, vcc
	s_nor_b64 s[4:5], vcc, s[0:1]
	v_cndmask_b32_e32 v4, 0, v4, vcc
	v_cndmask_b32_e32 v7, 0, v7, vcc
	;; [unrolled: 1-line block ×3, first 2 shown]
	s_and_saveexec_b64 s[2:3], s[4:5]
	s_cbranch_execz .LBB66_67
; %bb.64:
	v_mbcnt_lo_u32_b32 v4, exec_lo, 0
	v_mbcnt_hi_u32_b32 v4, exec_hi, v4
	v_cmp_eq_u32_e32 vcc, 0, v4
	s_and_saveexec_b64 s[4:5], vcc
	s_cbranch_execz .LBB66_66
; %bb.65:
	v_mov_b32_e32 v4, 0
	v_mov_b32_e32 v5, s16
	global_atomic_smin v4, v5, s[14:15]
.LBB66_66:
	s_or_b64 exec, exec, s[4:5]
	v_mov_b32_e32 v6, 0
	v_mov_b32_e32 v4, 0
	;; [unrolled: 1-line block ×4, first 2 shown]
.LBB66_67:
	s_or_b64 exec, exec, s[2:3]
	v_cmp_lt_u32_e32 vcc, 1, v1
	s_and_saveexec_b64 s[2:3], vcc
	s_cbranch_execz .LBB66_69
; %bb.68:
	v_mul_f64 v[8:9], v[6:7], v[6:7]
	v_fma_f64 v[8:9], v[4:5], v[4:5], v[8:9]
	v_div_scale_f64 v[13:14], s[4:5], v[8:9], v[8:9], 1.0
	v_rcp_f64_e32 v[19:20], v[13:14]
	v_fma_f64 v[21:22], -v[13:14], v[19:20], 1.0
	v_fma_f64 v[19:20], v[19:20], v[21:22], v[19:20]
	v_div_scale_f64 v[21:22], vcc, 1.0, v[8:9], 1.0
	v_fma_f64 v[23:24], -v[13:14], v[19:20], 1.0
	v_fma_f64 v[27:28], v[19:20], v[23:24], v[19:20]
	v_mul_f64 v[29:30], v[21:22], v[27:28]
	v_fma_f64 v[13:14], -v[13:14], v[29:30], v[21:22]
	ds_read_b128 v[19:22], v11 offset:16
	ds_read_b128 v[23:26], v18 offset:16
	s_waitcnt lgkmcnt(0)
	v_add_f64 v[21:22], v[21:22], -v[25:26]
	v_add_f64 v[19:20], v[19:20], -v[23:24]
	v_div_fmas_f64 v[13:14], v[13:14], v[27:28], v[29:30]
	v_mul_f64 v[23:24], v[6:7], v[21:22]
	v_mul_f64 v[6:7], v[6:7], -v[19:20]
	v_fma_f64 v[19:20], v[19:20], v[4:5], v[23:24]
	v_fma_f64 v[6:7], v[21:22], v[4:5], v[6:7]
	v_div_fixup_f64 v[8:9], v[13:14], v[8:9], 1.0
	v_mul_f64 v[4:5], v[8:9], v[19:20]
	v_mul_f64 v[6:7], v[8:9], v[6:7]
	ds_write_b128 v11, v[4:7] offset:16
	s_waitcnt lgkmcnt(0)
	ds_read_b128 v[19:22], v12 offset:16
	ds_read_b128 v[23:26], v16
	s_waitcnt lgkmcnt(0)
	v_fma_f64 v[8:9], v[4:5], v[19:20], v[23:24]
	v_fma_f64 v[13:14], v[6:7], v[19:20], v[25:26]
	;; [unrolled: 1-line block ×3, first 2 shown]
	v_fma_f64 v[8:9], v[4:5], -v[21:22], v[13:14]
	ds_write_b128 v16, v[6:9]
.LBB66_69:
	s_or_b64 exec, exec, s[2:3]
	v_cmp_eq_u32_e32 vcc, 2, v1
	s_waitcnt lgkmcnt(0)
	s_and_saveexec_b64 s[2:3], vcc
	s_cbranch_execz .LBB66_76
; %bb.70:
	v_mov_b32_e32 v8, 0
	ds_read_b128 v[4:7], v8 offset:3776
	ds_read_b128 v[19:22], v8 offset:2624
	s_waitcnt lgkmcnt(0)
	v_add_f64 v[4:5], v[19:20], -v[4:5]
	v_add_f64 v[8:9], v[21:22], -v[6:7]
	v_cmp_gt_f64_e32 vcc, 0, v[4:5]
	v_xor_b32_e32 v6, 0x80000000, v5
	v_xor_b32_e32 v7, 0x80000000, v9
	v_cndmask_b32_e32 v5, v5, v6, vcc
	v_cmp_gt_f64_e32 vcc, 0, v[8:9]
	v_mov_b32_e32 v6, v8
	v_cndmask_b32_e32 v7, v9, v7, vcc
	v_cmp_gt_f64_e32 vcc, v[4:5], v[6:7]
	s_cbranch_vccnz .LBB66_73
; %bb.71:
	v_cmp_eq_f64_e32 vcc, 0, v[8:9]
	s_mov_b64 s[4:5], 0
	s_cbranch_vccnz .LBB66_156
; %bb.72:
	v_div_scale_f64 v[8:9], s[8:9], v[6:7], v[6:7], v[4:5]
	s_mov_b32 s8, 0
	s_brev_b32 s9, 8
	v_mov_b32_e32 v15, 0x260
	v_rcp_f64_e32 v[13:14], v[8:9]
	v_fma_f64 v[19:20], -v[8:9], v[13:14], 1.0
	v_fma_f64 v[13:14], v[13:14], v[19:20], v[13:14]
	v_div_scale_f64 v[19:20], vcc, v[4:5], v[6:7], v[4:5]
	v_fma_f64 v[21:22], -v[8:9], v[13:14], 1.0
	v_fma_f64 v[13:14], v[13:14], v[21:22], v[13:14]
	v_mul_f64 v[21:22], v[19:20], v[13:14]
	v_fma_f64 v[8:9], -v[8:9], v[21:22], v[19:20]
	v_div_fmas_f64 v[8:9], v[8:9], v[13:14], v[21:22]
	v_div_fixup_f64 v[8:9], v[8:9], v[6:7], v[4:5]
	v_fma_f64 v[8:9], v[8:9], v[8:9], 1.0
	v_cmp_gt_f64_e32 vcc, s[8:9], v[8:9]
	s_and_b64 s[8:9], vcc, exec
	s_cselect_b32 s8, 0x100, 0
	v_ldexp_f64 v[8:9], v[8:9], s8
	s_cselect_b32 s8, 0xffffff80, 0
	v_rsq_f64_e32 v[13:14], v[8:9]
	v_cmp_class_f64_e32 vcc, v[8:9], v15
	v_mul_f64 v[19:20], v[8:9], v[13:14]
	v_mul_f64 v[13:14], v[13:14], 0.5
	v_fma_f64 v[21:22], -v[13:14], v[19:20], 0.5
	v_fma_f64 v[19:20], v[19:20], v[21:22], v[19:20]
	v_fma_f64 v[13:14], v[13:14], v[21:22], v[13:14]
	v_fma_f64 v[21:22], -v[19:20], v[19:20], v[8:9]
	v_fma_f64 v[19:20], v[21:22], v[13:14], v[19:20]
	v_fma_f64 v[21:22], -v[19:20], v[19:20], v[8:9]
	v_fma_f64 v[13:14], v[21:22], v[13:14], v[19:20]
	v_ldexp_f64 v[13:14], v[13:14], s8
	v_cndmask_b32_e32 v9, v14, v9, vcc
	v_cndmask_b32_e32 v8, v13, v8, vcc
	v_mul_f64 v[8:9], v[6:7], v[8:9]
	s_andn2_b64 vcc, exec, s[4:5]
	s_cbranch_vccz .LBB66_74
	s_branch .LBB66_75
.LBB66_73:
                                        ; implicit-def: $vgpr8_vgpr9
.LBB66_74:
	v_div_scale_f64 v[8:9], s[4:5], v[4:5], v[4:5], v[6:7]
	s_mov_b32 s4, 0
	s_brev_b32 s5, 8
	v_rcp_f64_e32 v[13:14], v[8:9]
	v_fma_f64 v[19:20], -v[8:9], v[13:14], 1.0
	v_fma_f64 v[13:14], v[13:14], v[19:20], v[13:14]
	v_div_scale_f64 v[19:20], vcc, v[6:7], v[4:5], v[6:7]
	v_fma_f64 v[21:22], -v[8:9], v[13:14], 1.0
	v_fma_f64 v[13:14], v[13:14], v[21:22], v[13:14]
	v_mul_f64 v[21:22], v[19:20], v[13:14]
	v_fma_f64 v[8:9], -v[8:9], v[21:22], v[19:20]
	v_div_fmas_f64 v[8:9], v[8:9], v[13:14], v[21:22]
	v_div_fixup_f64 v[6:7], v[8:9], v[4:5], v[6:7]
	v_fma_f64 v[6:7], v[6:7], v[6:7], 1.0
	v_cmp_gt_f64_e32 vcc, s[4:5], v[6:7]
	s_and_b64 s[4:5], vcc, exec
	s_cselect_b32 s4, 0x100, 0
	v_ldexp_f64 v[6:7], v[6:7], s4
	s_cselect_b32 s4, 0xffffff80, 0
	v_rsq_f64_e32 v[8:9], v[6:7]
	v_mul_f64 v[13:14], v[6:7], v[8:9]
	v_mul_f64 v[8:9], v[8:9], 0.5
	v_fma_f64 v[19:20], -v[8:9], v[13:14], 0.5
	v_fma_f64 v[13:14], v[13:14], v[19:20], v[13:14]
	v_fma_f64 v[8:9], v[8:9], v[19:20], v[8:9]
	v_fma_f64 v[19:20], -v[13:14], v[13:14], v[6:7]
	v_fma_f64 v[13:14], v[19:20], v[8:9], v[13:14]
	v_fma_f64 v[19:20], -v[13:14], v[13:14], v[6:7]
	v_fma_f64 v[8:9], v[19:20], v[8:9], v[13:14]
	v_mov_b32_e32 v13, 0x260
	v_cmp_class_f64_e32 vcc, v[6:7], v13
	v_ldexp_f64 v[8:9], v[8:9], s4
	v_cndmask_b32_e32 v7, v9, v7, vcc
	v_cndmask_b32_e32 v6, v8, v6, vcc
	v_mul_f64 v[8:9], v[4:5], v[6:7]
.LBB66_75:
	s_mov_b32 s4, 0
	s_brev_b32 s5, 8
	v_cmp_gt_f64_e32 vcc, s[4:5], v[8:9]
	s_and_b64 s[4:5], vcc, exec
	s_cselect_b32 s4, 0x100, 0
	v_ldexp_f64 v[4:5], v[8:9], s4
	s_cselect_b32 s4, 0xffffff80, 0
	v_rsq_f64_e32 v[6:7], v[4:5]
	v_mul_f64 v[8:9], v[4:5], v[6:7]
	v_mul_f64 v[6:7], v[6:7], 0.5
	v_fma_f64 v[13:14], -v[6:7], v[8:9], 0.5
	v_fma_f64 v[8:9], v[8:9], v[13:14], v[8:9]
	v_fma_f64 v[6:7], v[6:7], v[13:14], v[6:7]
	v_fma_f64 v[13:14], -v[8:9], v[8:9], v[4:5]
	v_fma_f64 v[8:9], v[13:14], v[6:7], v[8:9]
	v_fma_f64 v[13:14], -v[8:9], v[8:9], v[4:5]
	v_fma_f64 v[6:7], v[13:14], v[6:7], v[8:9]
	v_mov_b32_e32 v9, 0x260
	v_cmp_class_f64_e32 vcc, v[4:5], v9
	v_ldexp_f64 v[7:8], v[6:7], s4
	v_mov_b32_e32 v6, 0
	v_cndmask_b32_e32 v5, v8, v5, vcc
	v_cndmask_b32_e32 v4, v7, v4, vcc
	v_mov_b32_e32 v7, v6
	ds_write_b128 v6, v[4:7] offset:2624
.LBB66_76:
	s_or_b64 exec, exec, s[2:3]
	v_mov_b32_e32 v4, 0
	s_waitcnt lgkmcnt(0)
	ds_read_b128 v[4:7], v4 offset:2624
	v_mov_b32_e32 v8, 0x3ff00000
	s_waitcnt lgkmcnt(0)
	v_cmp_neq_f64_e32 vcc, 0, v[4:5]
	v_cmp_neq_f64_e64 s[2:3], 0, v[6:7]
	s_or_b64 vcc, vcc, s[2:3]
	v_cndmask_b32_e32 v5, v8, v5, vcc
	s_nor_b64 s[4:5], vcc, s[0:1]
	v_cndmask_b32_e32 v4, 0, v4, vcc
	v_cndmask_b32_e32 v7, 0, v7, vcc
	;; [unrolled: 1-line block ×3, first 2 shown]
	s_and_saveexec_b64 s[2:3], s[4:5]
	s_cbranch_execz .LBB66_80
; %bb.77:
	v_mbcnt_lo_u32_b32 v4, exec_lo, 0
	v_mbcnt_hi_u32_b32 v4, exec_hi, v4
	v_cmp_eq_u32_e32 vcc, 0, v4
	s_and_saveexec_b64 s[4:5], vcc
	s_cbranch_execz .LBB66_79
; %bb.78:
	v_mov_b32_e32 v4, 0
	v_mov_b32_e32 v5, s16
	global_atomic_smin v4, v5, s[14:15]
.LBB66_79:
	s_or_b64 exec, exec, s[4:5]
	v_mov_b32_e32 v6, 0
	v_mov_b32_e32 v4, 0
	;; [unrolled: 1-line block ×4, first 2 shown]
.LBB66_80:
	s_or_b64 exec, exec, s[2:3]
	v_cmp_lt_u32_e32 vcc, 2, v1
	s_and_saveexec_b64 s[2:3], vcc
	s_cbranch_execz .LBB66_82
; %bb.81:
	v_mul_f64 v[8:9], v[6:7], v[6:7]
	v_fma_f64 v[8:9], v[4:5], v[4:5], v[8:9]
	v_div_scale_f64 v[13:14], s[4:5], v[8:9], v[8:9], 1.0
	v_rcp_f64_e32 v[19:20], v[13:14]
	v_fma_f64 v[21:22], -v[13:14], v[19:20], 1.0
	v_fma_f64 v[19:20], v[19:20], v[21:22], v[19:20]
	v_div_scale_f64 v[21:22], vcc, 1.0, v[8:9], 1.0
	v_fma_f64 v[23:24], -v[13:14], v[19:20], 1.0
	v_fma_f64 v[27:28], v[19:20], v[23:24], v[19:20]
	v_mul_f64 v[29:30], v[21:22], v[27:28]
	v_fma_f64 v[13:14], -v[13:14], v[29:30], v[21:22]
	ds_read_b128 v[19:22], v11 offset:32
	ds_read_b128 v[23:26], v18 offset:32
	s_waitcnt lgkmcnt(0)
	v_add_f64 v[21:22], v[21:22], -v[25:26]
	v_add_f64 v[19:20], v[19:20], -v[23:24]
	v_div_fmas_f64 v[13:14], v[13:14], v[27:28], v[29:30]
	v_mul_f64 v[23:24], v[6:7], v[21:22]
	v_mul_f64 v[6:7], v[6:7], -v[19:20]
	v_fma_f64 v[19:20], v[19:20], v[4:5], v[23:24]
	v_fma_f64 v[6:7], v[21:22], v[4:5], v[6:7]
	v_div_fixup_f64 v[8:9], v[13:14], v[8:9], 1.0
	v_mul_f64 v[4:5], v[8:9], v[19:20]
	v_mul_f64 v[6:7], v[8:9], v[6:7]
	ds_write_b128 v11, v[4:7] offset:32
	s_waitcnt lgkmcnt(0)
	ds_read_b128 v[19:22], v12 offset:32
	ds_read_b128 v[23:26], v16
	s_waitcnt lgkmcnt(0)
	v_fma_f64 v[8:9], v[4:5], v[19:20], v[23:24]
	v_fma_f64 v[13:14], v[6:7], v[19:20], v[25:26]
	;; [unrolled: 1-line block ×3, first 2 shown]
	v_fma_f64 v[8:9], v[4:5], -v[21:22], v[13:14]
	ds_write_b128 v16, v[6:9]
.LBB66_82:
	s_or_b64 exec, exec, s[2:3]
	v_cmp_eq_u32_e32 vcc, 3, v1
	s_waitcnt lgkmcnt(0)
	s_and_saveexec_b64 s[2:3], vcc
	s_cbranch_execz .LBB66_89
; %bb.83:
	v_mov_b32_e32 v8, 0
	ds_read_b128 v[4:7], v8 offset:3936
	ds_read_b128 v[19:22], v8 offset:2784
	s_waitcnt lgkmcnt(0)
	v_add_f64 v[4:5], v[19:20], -v[4:5]
	v_add_f64 v[8:9], v[21:22], -v[6:7]
	v_cmp_gt_f64_e32 vcc, 0, v[4:5]
	v_xor_b32_e32 v6, 0x80000000, v5
	v_xor_b32_e32 v7, 0x80000000, v9
	v_cndmask_b32_e32 v5, v5, v6, vcc
	v_cmp_gt_f64_e32 vcc, 0, v[8:9]
	v_mov_b32_e32 v6, v8
	v_cndmask_b32_e32 v7, v9, v7, vcc
	v_cmp_gt_f64_e32 vcc, v[4:5], v[6:7]
	s_cbranch_vccnz .LBB66_86
; %bb.84:
	v_cmp_eq_f64_e32 vcc, 0, v[8:9]
	s_mov_b64 s[4:5], 0
	s_cbranch_vccnz .LBB66_157
; %bb.85:
	v_div_scale_f64 v[8:9], s[8:9], v[6:7], v[6:7], v[4:5]
	s_mov_b32 s8, 0
	s_brev_b32 s9, 8
	v_mov_b32_e32 v15, 0x260
	v_rcp_f64_e32 v[13:14], v[8:9]
	v_fma_f64 v[19:20], -v[8:9], v[13:14], 1.0
	v_fma_f64 v[13:14], v[13:14], v[19:20], v[13:14]
	v_div_scale_f64 v[19:20], vcc, v[4:5], v[6:7], v[4:5]
	v_fma_f64 v[21:22], -v[8:9], v[13:14], 1.0
	v_fma_f64 v[13:14], v[13:14], v[21:22], v[13:14]
	v_mul_f64 v[21:22], v[19:20], v[13:14]
	v_fma_f64 v[8:9], -v[8:9], v[21:22], v[19:20]
	v_div_fmas_f64 v[8:9], v[8:9], v[13:14], v[21:22]
	v_div_fixup_f64 v[8:9], v[8:9], v[6:7], v[4:5]
	v_fma_f64 v[8:9], v[8:9], v[8:9], 1.0
	v_cmp_gt_f64_e32 vcc, s[8:9], v[8:9]
	s_and_b64 s[8:9], vcc, exec
	s_cselect_b32 s8, 0x100, 0
	v_ldexp_f64 v[8:9], v[8:9], s8
	s_cselect_b32 s8, 0xffffff80, 0
	v_rsq_f64_e32 v[13:14], v[8:9]
	v_cmp_class_f64_e32 vcc, v[8:9], v15
	v_mul_f64 v[19:20], v[8:9], v[13:14]
	v_mul_f64 v[13:14], v[13:14], 0.5
	v_fma_f64 v[21:22], -v[13:14], v[19:20], 0.5
	v_fma_f64 v[19:20], v[19:20], v[21:22], v[19:20]
	v_fma_f64 v[13:14], v[13:14], v[21:22], v[13:14]
	v_fma_f64 v[21:22], -v[19:20], v[19:20], v[8:9]
	v_fma_f64 v[19:20], v[21:22], v[13:14], v[19:20]
	v_fma_f64 v[21:22], -v[19:20], v[19:20], v[8:9]
	v_fma_f64 v[13:14], v[21:22], v[13:14], v[19:20]
	v_ldexp_f64 v[13:14], v[13:14], s8
	v_cndmask_b32_e32 v9, v14, v9, vcc
	v_cndmask_b32_e32 v8, v13, v8, vcc
	v_mul_f64 v[8:9], v[6:7], v[8:9]
	s_andn2_b64 vcc, exec, s[4:5]
	s_cbranch_vccz .LBB66_87
	s_branch .LBB66_88
.LBB66_86:
                                        ; implicit-def: $vgpr8_vgpr9
.LBB66_87:
	v_div_scale_f64 v[8:9], s[4:5], v[4:5], v[4:5], v[6:7]
	s_mov_b32 s4, 0
	s_brev_b32 s5, 8
	v_rcp_f64_e32 v[13:14], v[8:9]
	v_fma_f64 v[19:20], -v[8:9], v[13:14], 1.0
	v_fma_f64 v[13:14], v[13:14], v[19:20], v[13:14]
	v_div_scale_f64 v[19:20], vcc, v[6:7], v[4:5], v[6:7]
	v_fma_f64 v[21:22], -v[8:9], v[13:14], 1.0
	v_fma_f64 v[13:14], v[13:14], v[21:22], v[13:14]
	v_mul_f64 v[21:22], v[19:20], v[13:14]
	v_fma_f64 v[8:9], -v[8:9], v[21:22], v[19:20]
	v_div_fmas_f64 v[8:9], v[8:9], v[13:14], v[21:22]
	v_div_fixup_f64 v[6:7], v[8:9], v[4:5], v[6:7]
	v_fma_f64 v[6:7], v[6:7], v[6:7], 1.0
	v_cmp_gt_f64_e32 vcc, s[4:5], v[6:7]
	s_and_b64 s[4:5], vcc, exec
	s_cselect_b32 s4, 0x100, 0
	v_ldexp_f64 v[6:7], v[6:7], s4
	s_cselect_b32 s4, 0xffffff80, 0
	v_rsq_f64_e32 v[8:9], v[6:7]
	v_mul_f64 v[13:14], v[6:7], v[8:9]
	v_mul_f64 v[8:9], v[8:9], 0.5
	v_fma_f64 v[19:20], -v[8:9], v[13:14], 0.5
	v_fma_f64 v[13:14], v[13:14], v[19:20], v[13:14]
	v_fma_f64 v[8:9], v[8:9], v[19:20], v[8:9]
	v_fma_f64 v[19:20], -v[13:14], v[13:14], v[6:7]
	v_fma_f64 v[13:14], v[19:20], v[8:9], v[13:14]
	v_fma_f64 v[19:20], -v[13:14], v[13:14], v[6:7]
	v_fma_f64 v[8:9], v[19:20], v[8:9], v[13:14]
	v_mov_b32_e32 v13, 0x260
	v_cmp_class_f64_e32 vcc, v[6:7], v13
	v_ldexp_f64 v[8:9], v[8:9], s4
	v_cndmask_b32_e32 v7, v9, v7, vcc
	v_cndmask_b32_e32 v6, v8, v6, vcc
	v_mul_f64 v[8:9], v[4:5], v[6:7]
.LBB66_88:
	s_mov_b32 s4, 0
	s_brev_b32 s5, 8
	v_cmp_gt_f64_e32 vcc, s[4:5], v[8:9]
	s_and_b64 s[4:5], vcc, exec
	s_cselect_b32 s4, 0x100, 0
	v_ldexp_f64 v[4:5], v[8:9], s4
	s_cselect_b32 s4, 0xffffff80, 0
	v_rsq_f64_e32 v[6:7], v[4:5]
	v_mul_f64 v[8:9], v[4:5], v[6:7]
	v_mul_f64 v[6:7], v[6:7], 0.5
	v_fma_f64 v[13:14], -v[6:7], v[8:9], 0.5
	v_fma_f64 v[8:9], v[8:9], v[13:14], v[8:9]
	v_fma_f64 v[6:7], v[6:7], v[13:14], v[6:7]
	v_fma_f64 v[13:14], -v[8:9], v[8:9], v[4:5]
	v_fma_f64 v[8:9], v[13:14], v[6:7], v[8:9]
	v_fma_f64 v[13:14], -v[8:9], v[8:9], v[4:5]
	v_fma_f64 v[6:7], v[13:14], v[6:7], v[8:9]
	v_mov_b32_e32 v9, 0x260
	v_cmp_class_f64_e32 vcc, v[4:5], v9
	v_ldexp_f64 v[7:8], v[6:7], s4
	v_mov_b32_e32 v6, 0
	v_cndmask_b32_e32 v5, v8, v5, vcc
	v_cndmask_b32_e32 v4, v7, v4, vcc
	v_mov_b32_e32 v7, v6
	ds_write_b128 v6, v[4:7] offset:2784
.LBB66_89:
	s_or_b64 exec, exec, s[2:3]
	v_mov_b32_e32 v4, 0
	s_waitcnt lgkmcnt(0)
	ds_read_b128 v[4:7], v4 offset:2784
	v_mov_b32_e32 v8, 0x3ff00000
	s_waitcnt lgkmcnt(0)
	v_cmp_neq_f64_e32 vcc, 0, v[4:5]
	v_cmp_neq_f64_e64 s[2:3], 0, v[6:7]
	s_or_b64 vcc, vcc, s[2:3]
	v_cndmask_b32_e32 v5, v8, v5, vcc
	s_nor_b64 s[4:5], vcc, s[0:1]
	v_cndmask_b32_e32 v4, 0, v4, vcc
	v_cndmask_b32_e32 v7, 0, v7, vcc
	;; [unrolled: 1-line block ×3, first 2 shown]
	s_and_saveexec_b64 s[2:3], s[4:5]
	s_cbranch_execz .LBB66_93
; %bb.90:
	v_mbcnt_lo_u32_b32 v4, exec_lo, 0
	v_mbcnt_hi_u32_b32 v4, exec_hi, v4
	v_cmp_eq_u32_e32 vcc, 0, v4
	s_and_saveexec_b64 s[4:5], vcc
	s_cbranch_execz .LBB66_92
; %bb.91:
	v_mov_b32_e32 v4, 0
	v_mov_b32_e32 v5, s16
	global_atomic_smin v4, v5, s[14:15]
.LBB66_92:
	s_or_b64 exec, exec, s[4:5]
	v_mov_b32_e32 v6, 0
	v_mov_b32_e32 v4, 0
	;; [unrolled: 1-line block ×4, first 2 shown]
.LBB66_93:
	s_or_b64 exec, exec, s[2:3]
	v_cmp_lt_u32_e32 vcc, 3, v1
	s_and_saveexec_b64 s[2:3], vcc
	s_cbranch_execz .LBB66_95
; %bb.94:
	v_mul_f64 v[8:9], v[6:7], v[6:7]
	v_fma_f64 v[8:9], v[4:5], v[4:5], v[8:9]
	v_div_scale_f64 v[13:14], s[4:5], v[8:9], v[8:9], 1.0
	v_rcp_f64_e32 v[19:20], v[13:14]
	v_fma_f64 v[21:22], -v[13:14], v[19:20], 1.0
	v_fma_f64 v[19:20], v[19:20], v[21:22], v[19:20]
	v_div_scale_f64 v[21:22], vcc, 1.0, v[8:9], 1.0
	v_fma_f64 v[23:24], -v[13:14], v[19:20], 1.0
	v_fma_f64 v[27:28], v[19:20], v[23:24], v[19:20]
	v_mul_f64 v[29:30], v[21:22], v[27:28]
	v_fma_f64 v[13:14], -v[13:14], v[29:30], v[21:22]
	ds_read_b128 v[19:22], v11 offset:48
	ds_read_b128 v[23:26], v18 offset:48
	s_waitcnt lgkmcnt(0)
	v_add_f64 v[21:22], v[21:22], -v[25:26]
	v_add_f64 v[19:20], v[19:20], -v[23:24]
	v_div_fmas_f64 v[13:14], v[13:14], v[27:28], v[29:30]
	v_mul_f64 v[23:24], v[6:7], v[21:22]
	v_mul_f64 v[6:7], v[6:7], -v[19:20]
	v_fma_f64 v[19:20], v[19:20], v[4:5], v[23:24]
	v_fma_f64 v[6:7], v[21:22], v[4:5], v[6:7]
	v_div_fixup_f64 v[8:9], v[13:14], v[8:9], 1.0
	v_mul_f64 v[4:5], v[8:9], v[19:20]
	v_mul_f64 v[6:7], v[8:9], v[6:7]
	ds_write_b128 v11, v[4:7] offset:48
	s_waitcnt lgkmcnt(0)
	ds_read_b128 v[19:22], v12 offset:48
	ds_read_b128 v[23:26], v16
	s_waitcnt lgkmcnt(0)
	v_fma_f64 v[8:9], v[4:5], v[19:20], v[23:24]
	v_fma_f64 v[13:14], v[6:7], v[19:20], v[25:26]
	;; [unrolled: 1-line block ×3, first 2 shown]
	v_fma_f64 v[8:9], v[4:5], -v[21:22], v[13:14]
	ds_write_b128 v16, v[6:9]
.LBB66_95:
	s_or_b64 exec, exec, s[2:3]
	v_cmp_eq_u32_e32 vcc, 4, v1
	s_waitcnt lgkmcnt(0)
	s_and_saveexec_b64 s[2:3], vcc
	s_cbranch_execz .LBB66_102
; %bb.96:
	v_mov_b32_e32 v8, 0
	ds_read_b128 v[4:7], v8 offset:4096
	ds_read_b128 v[19:22], v8 offset:2944
	s_waitcnt lgkmcnt(0)
	v_add_f64 v[4:5], v[19:20], -v[4:5]
	v_add_f64 v[8:9], v[21:22], -v[6:7]
	v_cmp_gt_f64_e32 vcc, 0, v[4:5]
	v_xor_b32_e32 v6, 0x80000000, v5
	v_xor_b32_e32 v7, 0x80000000, v9
	v_cndmask_b32_e32 v5, v5, v6, vcc
	v_cmp_gt_f64_e32 vcc, 0, v[8:9]
	v_mov_b32_e32 v6, v8
	v_cndmask_b32_e32 v7, v9, v7, vcc
	v_cmp_gt_f64_e32 vcc, v[4:5], v[6:7]
	s_cbranch_vccnz .LBB66_99
; %bb.97:
	v_cmp_eq_f64_e32 vcc, 0, v[8:9]
	s_mov_b64 s[4:5], 0
	s_cbranch_vccnz .LBB66_158
; %bb.98:
	v_div_scale_f64 v[8:9], s[8:9], v[6:7], v[6:7], v[4:5]
	s_mov_b32 s8, 0
	s_brev_b32 s9, 8
	v_mov_b32_e32 v15, 0x260
	v_rcp_f64_e32 v[13:14], v[8:9]
	v_fma_f64 v[19:20], -v[8:9], v[13:14], 1.0
	v_fma_f64 v[13:14], v[13:14], v[19:20], v[13:14]
	v_div_scale_f64 v[19:20], vcc, v[4:5], v[6:7], v[4:5]
	v_fma_f64 v[21:22], -v[8:9], v[13:14], 1.0
	v_fma_f64 v[13:14], v[13:14], v[21:22], v[13:14]
	v_mul_f64 v[21:22], v[19:20], v[13:14]
	v_fma_f64 v[8:9], -v[8:9], v[21:22], v[19:20]
	v_div_fmas_f64 v[8:9], v[8:9], v[13:14], v[21:22]
	v_div_fixup_f64 v[8:9], v[8:9], v[6:7], v[4:5]
	v_fma_f64 v[8:9], v[8:9], v[8:9], 1.0
	v_cmp_gt_f64_e32 vcc, s[8:9], v[8:9]
	s_and_b64 s[8:9], vcc, exec
	s_cselect_b32 s8, 0x100, 0
	v_ldexp_f64 v[8:9], v[8:9], s8
	s_cselect_b32 s8, 0xffffff80, 0
	v_rsq_f64_e32 v[13:14], v[8:9]
	v_cmp_class_f64_e32 vcc, v[8:9], v15
	v_mul_f64 v[19:20], v[8:9], v[13:14]
	v_mul_f64 v[13:14], v[13:14], 0.5
	v_fma_f64 v[21:22], -v[13:14], v[19:20], 0.5
	v_fma_f64 v[19:20], v[19:20], v[21:22], v[19:20]
	v_fma_f64 v[13:14], v[13:14], v[21:22], v[13:14]
	v_fma_f64 v[21:22], -v[19:20], v[19:20], v[8:9]
	v_fma_f64 v[19:20], v[21:22], v[13:14], v[19:20]
	v_fma_f64 v[21:22], -v[19:20], v[19:20], v[8:9]
	v_fma_f64 v[13:14], v[21:22], v[13:14], v[19:20]
	v_ldexp_f64 v[13:14], v[13:14], s8
	v_cndmask_b32_e32 v9, v14, v9, vcc
	v_cndmask_b32_e32 v8, v13, v8, vcc
	v_mul_f64 v[8:9], v[6:7], v[8:9]
	s_andn2_b64 vcc, exec, s[4:5]
	s_cbranch_vccz .LBB66_100
	s_branch .LBB66_101
.LBB66_99:
                                        ; implicit-def: $vgpr8_vgpr9
.LBB66_100:
	v_div_scale_f64 v[8:9], s[4:5], v[4:5], v[4:5], v[6:7]
	s_mov_b32 s4, 0
	s_brev_b32 s5, 8
	v_rcp_f64_e32 v[13:14], v[8:9]
	v_fma_f64 v[19:20], -v[8:9], v[13:14], 1.0
	v_fma_f64 v[13:14], v[13:14], v[19:20], v[13:14]
	v_div_scale_f64 v[19:20], vcc, v[6:7], v[4:5], v[6:7]
	v_fma_f64 v[21:22], -v[8:9], v[13:14], 1.0
	v_fma_f64 v[13:14], v[13:14], v[21:22], v[13:14]
	v_mul_f64 v[21:22], v[19:20], v[13:14]
	v_fma_f64 v[8:9], -v[8:9], v[21:22], v[19:20]
	v_div_fmas_f64 v[8:9], v[8:9], v[13:14], v[21:22]
	v_div_fixup_f64 v[6:7], v[8:9], v[4:5], v[6:7]
	v_fma_f64 v[6:7], v[6:7], v[6:7], 1.0
	v_cmp_gt_f64_e32 vcc, s[4:5], v[6:7]
	s_and_b64 s[4:5], vcc, exec
	s_cselect_b32 s4, 0x100, 0
	v_ldexp_f64 v[6:7], v[6:7], s4
	s_cselect_b32 s4, 0xffffff80, 0
	v_rsq_f64_e32 v[8:9], v[6:7]
	v_mul_f64 v[13:14], v[6:7], v[8:9]
	v_mul_f64 v[8:9], v[8:9], 0.5
	v_fma_f64 v[19:20], -v[8:9], v[13:14], 0.5
	v_fma_f64 v[13:14], v[13:14], v[19:20], v[13:14]
	v_fma_f64 v[8:9], v[8:9], v[19:20], v[8:9]
	v_fma_f64 v[19:20], -v[13:14], v[13:14], v[6:7]
	v_fma_f64 v[13:14], v[19:20], v[8:9], v[13:14]
	v_fma_f64 v[19:20], -v[13:14], v[13:14], v[6:7]
	v_fma_f64 v[8:9], v[19:20], v[8:9], v[13:14]
	v_mov_b32_e32 v13, 0x260
	v_cmp_class_f64_e32 vcc, v[6:7], v13
	v_ldexp_f64 v[8:9], v[8:9], s4
	v_cndmask_b32_e32 v7, v9, v7, vcc
	v_cndmask_b32_e32 v6, v8, v6, vcc
	v_mul_f64 v[8:9], v[4:5], v[6:7]
.LBB66_101:
	s_mov_b32 s4, 0
	s_brev_b32 s5, 8
	v_cmp_gt_f64_e32 vcc, s[4:5], v[8:9]
	s_and_b64 s[4:5], vcc, exec
	s_cselect_b32 s4, 0x100, 0
	v_ldexp_f64 v[4:5], v[8:9], s4
	s_cselect_b32 s4, 0xffffff80, 0
	v_rsq_f64_e32 v[6:7], v[4:5]
	v_mul_f64 v[8:9], v[4:5], v[6:7]
	v_mul_f64 v[6:7], v[6:7], 0.5
	v_fma_f64 v[13:14], -v[6:7], v[8:9], 0.5
	v_fma_f64 v[8:9], v[8:9], v[13:14], v[8:9]
	v_fma_f64 v[6:7], v[6:7], v[13:14], v[6:7]
	v_fma_f64 v[13:14], -v[8:9], v[8:9], v[4:5]
	v_fma_f64 v[8:9], v[13:14], v[6:7], v[8:9]
	v_fma_f64 v[13:14], -v[8:9], v[8:9], v[4:5]
	v_fma_f64 v[6:7], v[13:14], v[6:7], v[8:9]
	v_mov_b32_e32 v9, 0x260
	v_cmp_class_f64_e32 vcc, v[4:5], v9
	v_ldexp_f64 v[7:8], v[6:7], s4
	v_mov_b32_e32 v6, 0
	v_cndmask_b32_e32 v5, v8, v5, vcc
	v_cndmask_b32_e32 v4, v7, v4, vcc
	v_mov_b32_e32 v7, v6
	ds_write_b128 v6, v[4:7] offset:2944
.LBB66_102:
	s_or_b64 exec, exec, s[2:3]
	v_mov_b32_e32 v4, 0
	s_waitcnt lgkmcnt(0)
	ds_read_b128 v[4:7], v4 offset:2944
	v_mov_b32_e32 v8, 0x3ff00000
	s_waitcnt lgkmcnt(0)
	v_cmp_neq_f64_e32 vcc, 0, v[4:5]
	v_cmp_neq_f64_e64 s[2:3], 0, v[6:7]
	s_or_b64 vcc, vcc, s[2:3]
	v_cndmask_b32_e32 v5, v8, v5, vcc
	s_nor_b64 s[4:5], vcc, s[0:1]
	v_cndmask_b32_e32 v4, 0, v4, vcc
	v_cndmask_b32_e32 v7, 0, v7, vcc
	;; [unrolled: 1-line block ×3, first 2 shown]
	s_and_saveexec_b64 s[2:3], s[4:5]
	s_cbranch_execz .LBB66_106
; %bb.103:
	v_mbcnt_lo_u32_b32 v4, exec_lo, 0
	v_mbcnt_hi_u32_b32 v4, exec_hi, v4
	v_cmp_eq_u32_e32 vcc, 0, v4
	s_and_saveexec_b64 s[4:5], vcc
	s_cbranch_execz .LBB66_105
; %bb.104:
	v_mov_b32_e32 v4, 0
	v_mov_b32_e32 v5, s16
	global_atomic_smin v4, v5, s[14:15]
.LBB66_105:
	s_or_b64 exec, exec, s[4:5]
	v_mov_b32_e32 v6, 0
	v_mov_b32_e32 v4, 0
	v_mov_b32_e32 v7, 0
	v_mov_b32_e32 v5, 0x3ff00000
.LBB66_106:
	s_or_b64 exec, exec, s[2:3]
	v_cmp_lt_u32_e32 vcc, 4, v1
	s_and_saveexec_b64 s[2:3], vcc
	s_cbranch_execz .LBB66_108
; %bb.107:
	v_mul_f64 v[8:9], v[6:7], v[6:7]
	v_fma_f64 v[8:9], v[4:5], v[4:5], v[8:9]
	v_div_scale_f64 v[13:14], s[4:5], v[8:9], v[8:9], 1.0
	v_rcp_f64_e32 v[19:20], v[13:14]
	v_fma_f64 v[21:22], -v[13:14], v[19:20], 1.0
	v_fma_f64 v[19:20], v[19:20], v[21:22], v[19:20]
	v_div_scale_f64 v[21:22], vcc, 1.0, v[8:9], 1.0
	v_fma_f64 v[23:24], -v[13:14], v[19:20], 1.0
	v_fma_f64 v[27:28], v[19:20], v[23:24], v[19:20]
	v_mul_f64 v[29:30], v[21:22], v[27:28]
	v_fma_f64 v[13:14], -v[13:14], v[29:30], v[21:22]
	ds_read_b128 v[19:22], v11 offset:64
	ds_read_b128 v[23:26], v18 offset:64
	s_waitcnt lgkmcnt(0)
	v_add_f64 v[21:22], v[21:22], -v[25:26]
	v_add_f64 v[19:20], v[19:20], -v[23:24]
	v_div_fmas_f64 v[13:14], v[13:14], v[27:28], v[29:30]
	v_mul_f64 v[23:24], v[6:7], v[21:22]
	v_mul_f64 v[6:7], v[6:7], -v[19:20]
	v_fma_f64 v[19:20], v[19:20], v[4:5], v[23:24]
	v_fma_f64 v[6:7], v[21:22], v[4:5], v[6:7]
	v_div_fixup_f64 v[8:9], v[13:14], v[8:9], 1.0
	v_mul_f64 v[4:5], v[8:9], v[19:20]
	v_mul_f64 v[6:7], v[8:9], v[6:7]
	ds_write_b128 v11, v[4:7] offset:64
	s_waitcnt lgkmcnt(0)
	ds_read_b128 v[19:22], v12 offset:64
	ds_read_b128 v[23:26], v16
	s_waitcnt lgkmcnt(0)
	v_fma_f64 v[8:9], v[4:5], v[19:20], v[23:24]
	v_fma_f64 v[13:14], v[6:7], v[19:20], v[25:26]
	;; [unrolled: 1-line block ×3, first 2 shown]
	v_fma_f64 v[8:9], v[4:5], -v[21:22], v[13:14]
	ds_write_b128 v16, v[6:9]
.LBB66_108:
	s_or_b64 exec, exec, s[2:3]
	v_cmp_eq_u32_e32 vcc, 5, v1
	s_waitcnt lgkmcnt(0)
	s_and_saveexec_b64 s[2:3], vcc
	s_cbranch_execz .LBB66_115
; %bb.109:
	v_mov_b32_e32 v8, 0
	ds_read_b128 v[4:7], v8 offset:4256
	ds_read_b128 v[19:22], v8 offset:3104
	s_waitcnt lgkmcnt(0)
	v_add_f64 v[4:5], v[19:20], -v[4:5]
	v_add_f64 v[8:9], v[21:22], -v[6:7]
	v_cmp_gt_f64_e32 vcc, 0, v[4:5]
	v_xor_b32_e32 v6, 0x80000000, v5
	v_xor_b32_e32 v7, 0x80000000, v9
	v_cndmask_b32_e32 v5, v5, v6, vcc
	v_cmp_gt_f64_e32 vcc, 0, v[8:9]
	v_mov_b32_e32 v6, v8
	v_cndmask_b32_e32 v7, v9, v7, vcc
	v_cmp_gt_f64_e32 vcc, v[4:5], v[6:7]
	s_cbranch_vccnz .LBB66_112
; %bb.110:
	v_cmp_eq_f64_e32 vcc, 0, v[8:9]
	s_mov_b64 s[4:5], 0
	s_cbranch_vccnz .LBB66_159
; %bb.111:
	v_div_scale_f64 v[8:9], s[8:9], v[6:7], v[6:7], v[4:5]
	s_mov_b32 s8, 0
	s_brev_b32 s9, 8
	v_mov_b32_e32 v15, 0x260
	v_rcp_f64_e32 v[13:14], v[8:9]
	v_fma_f64 v[19:20], -v[8:9], v[13:14], 1.0
	v_fma_f64 v[13:14], v[13:14], v[19:20], v[13:14]
	v_div_scale_f64 v[19:20], vcc, v[4:5], v[6:7], v[4:5]
	v_fma_f64 v[21:22], -v[8:9], v[13:14], 1.0
	v_fma_f64 v[13:14], v[13:14], v[21:22], v[13:14]
	v_mul_f64 v[21:22], v[19:20], v[13:14]
	v_fma_f64 v[8:9], -v[8:9], v[21:22], v[19:20]
	v_div_fmas_f64 v[8:9], v[8:9], v[13:14], v[21:22]
	v_div_fixup_f64 v[8:9], v[8:9], v[6:7], v[4:5]
	v_fma_f64 v[8:9], v[8:9], v[8:9], 1.0
	v_cmp_gt_f64_e32 vcc, s[8:9], v[8:9]
	s_and_b64 s[8:9], vcc, exec
	s_cselect_b32 s8, 0x100, 0
	v_ldexp_f64 v[8:9], v[8:9], s8
	s_cselect_b32 s8, 0xffffff80, 0
	v_rsq_f64_e32 v[13:14], v[8:9]
	v_cmp_class_f64_e32 vcc, v[8:9], v15
	v_mul_f64 v[19:20], v[8:9], v[13:14]
	v_mul_f64 v[13:14], v[13:14], 0.5
	v_fma_f64 v[21:22], -v[13:14], v[19:20], 0.5
	v_fma_f64 v[19:20], v[19:20], v[21:22], v[19:20]
	v_fma_f64 v[13:14], v[13:14], v[21:22], v[13:14]
	v_fma_f64 v[21:22], -v[19:20], v[19:20], v[8:9]
	v_fma_f64 v[19:20], v[21:22], v[13:14], v[19:20]
	v_fma_f64 v[21:22], -v[19:20], v[19:20], v[8:9]
	v_fma_f64 v[13:14], v[21:22], v[13:14], v[19:20]
	v_ldexp_f64 v[13:14], v[13:14], s8
	v_cndmask_b32_e32 v9, v14, v9, vcc
	v_cndmask_b32_e32 v8, v13, v8, vcc
	v_mul_f64 v[8:9], v[6:7], v[8:9]
	s_andn2_b64 vcc, exec, s[4:5]
	s_cbranch_vccz .LBB66_113
	s_branch .LBB66_114
.LBB66_112:
                                        ; implicit-def: $vgpr8_vgpr9
.LBB66_113:
	v_div_scale_f64 v[8:9], s[4:5], v[4:5], v[4:5], v[6:7]
	s_mov_b32 s4, 0
	s_brev_b32 s5, 8
	v_rcp_f64_e32 v[13:14], v[8:9]
	v_fma_f64 v[19:20], -v[8:9], v[13:14], 1.0
	v_fma_f64 v[13:14], v[13:14], v[19:20], v[13:14]
	v_div_scale_f64 v[19:20], vcc, v[6:7], v[4:5], v[6:7]
	v_fma_f64 v[21:22], -v[8:9], v[13:14], 1.0
	v_fma_f64 v[13:14], v[13:14], v[21:22], v[13:14]
	v_mul_f64 v[21:22], v[19:20], v[13:14]
	v_fma_f64 v[8:9], -v[8:9], v[21:22], v[19:20]
	v_div_fmas_f64 v[8:9], v[8:9], v[13:14], v[21:22]
	v_div_fixup_f64 v[6:7], v[8:9], v[4:5], v[6:7]
	v_fma_f64 v[6:7], v[6:7], v[6:7], 1.0
	v_cmp_gt_f64_e32 vcc, s[4:5], v[6:7]
	s_and_b64 s[4:5], vcc, exec
	s_cselect_b32 s4, 0x100, 0
	v_ldexp_f64 v[6:7], v[6:7], s4
	s_cselect_b32 s4, 0xffffff80, 0
	v_rsq_f64_e32 v[8:9], v[6:7]
	v_mul_f64 v[13:14], v[6:7], v[8:9]
	v_mul_f64 v[8:9], v[8:9], 0.5
	v_fma_f64 v[19:20], -v[8:9], v[13:14], 0.5
	v_fma_f64 v[13:14], v[13:14], v[19:20], v[13:14]
	v_fma_f64 v[8:9], v[8:9], v[19:20], v[8:9]
	v_fma_f64 v[19:20], -v[13:14], v[13:14], v[6:7]
	v_fma_f64 v[13:14], v[19:20], v[8:9], v[13:14]
	v_fma_f64 v[19:20], -v[13:14], v[13:14], v[6:7]
	v_fma_f64 v[8:9], v[19:20], v[8:9], v[13:14]
	v_mov_b32_e32 v13, 0x260
	v_cmp_class_f64_e32 vcc, v[6:7], v13
	v_ldexp_f64 v[8:9], v[8:9], s4
	v_cndmask_b32_e32 v7, v9, v7, vcc
	v_cndmask_b32_e32 v6, v8, v6, vcc
	v_mul_f64 v[8:9], v[4:5], v[6:7]
.LBB66_114:
	s_mov_b32 s4, 0
	s_brev_b32 s5, 8
	v_cmp_gt_f64_e32 vcc, s[4:5], v[8:9]
	s_and_b64 s[4:5], vcc, exec
	s_cselect_b32 s4, 0x100, 0
	v_ldexp_f64 v[4:5], v[8:9], s4
	s_cselect_b32 s4, 0xffffff80, 0
	v_rsq_f64_e32 v[6:7], v[4:5]
	v_mul_f64 v[8:9], v[4:5], v[6:7]
	v_mul_f64 v[6:7], v[6:7], 0.5
	v_fma_f64 v[13:14], -v[6:7], v[8:9], 0.5
	v_fma_f64 v[8:9], v[8:9], v[13:14], v[8:9]
	v_fma_f64 v[6:7], v[6:7], v[13:14], v[6:7]
	v_fma_f64 v[13:14], -v[8:9], v[8:9], v[4:5]
	v_fma_f64 v[8:9], v[13:14], v[6:7], v[8:9]
	v_fma_f64 v[13:14], -v[8:9], v[8:9], v[4:5]
	v_fma_f64 v[6:7], v[13:14], v[6:7], v[8:9]
	v_mov_b32_e32 v9, 0x260
	v_cmp_class_f64_e32 vcc, v[4:5], v9
	v_ldexp_f64 v[7:8], v[6:7], s4
	v_mov_b32_e32 v6, 0
	v_cndmask_b32_e32 v5, v8, v5, vcc
	v_cndmask_b32_e32 v4, v7, v4, vcc
	v_mov_b32_e32 v7, v6
	ds_write_b128 v6, v[4:7] offset:3104
.LBB66_115:
	s_or_b64 exec, exec, s[2:3]
	v_mov_b32_e32 v4, 0
	s_waitcnt lgkmcnt(0)
	ds_read_b128 v[4:7], v4 offset:3104
	v_mov_b32_e32 v8, 0x3ff00000
	s_waitcnt lgkmcnt(0)
	v_cmp_neq_f64_e32 vcc, 0, v[4:5]
	v_cmp_neq_f64_e64 s[2:3], 0, v[6:7]
	s_or_b64 vcc, vcc, s[2:3]
	v_cndmask_b32_e32 v5, v8, v5, vcc
	s_nor_b64 s[4:5], vcc, s[0:1]
	v_cndmask_b32_e32 v4, 0, v4, vcc
	v_cndmask_b32_e32 v7, 0, v7, vcc
	;; [unrolled: 1-line block ×3, first 2 shown]
	s_and_saveexec_b64 s[2:3], s[4:5]
	s_cbranch_execz .LBB66_119
; %bb.116:
	v_mbcnt_lo_u32_b32 v4, exec_lo, 0
	v_mbcnt_hi_u32_b32 v4, exec_hi, v4
	v_cmp_eq_u32_e32 vcc, 0, v4
	s_and_saveexec_b64 s[4:5], vcc
	s_cbranch_execz .LBB66_118
; %bb.117:
	v_mov_b32_e32 v4, 0
	v_mov_b32_e32 v5, s16
	global_atomic_smin v4, v5, s[14:15]
.LBB66_118:
	s_or_b64 exec, exec, s[4:5]
	v_mov_b32_e32 v6, 0
	v_mov_b32_e32 v4, 0
	;; [unrolled: 1-line block ×4, first 2 shown]
.LBB66_119:
	s_or_b64 exec, exec, s[2:3]
	v_cmp_lt_u32_e32 vcc, 5, v1
	s_and_saveexec_b64 s[2:3], vcc
	s_cbranch_execz .LBB66_121
; %bb.120:
	v_mul_f64 v[8:9], v[6:7], v[6:7]
	v_fma_f64 v[8:9], v[4:5], v[4:5], v[8:9]
	v_div_scale_f64 v[13:14], s[4:5], v[8:9], v[8:9], 1.0
	v_rcp_f64_e32 v[19:20], v[13:14]
	v_fma_f64 v[21:22], -v[13:14], v[19:20], 1.0
	v_fma_f64 v[19:20], v[19:20], v[21:22], v[19:20]
	v_div_scale_f64 v[21:22], vcc, 1.0, v[8:9], 1.0
	v_fma_f64 v[23:24], -v[13:14], v[19:20], 1.0
	v_fma_f64 v[27:28], v[19:20], v[23:24], v[19:20]
	v_mul_f64 v[29:30], v[21:22], v[27:28]
	v_fma_f64 v[13:14], -v[13:14], v[29:30], v[21:22]
	ds_read_b128 v[19:22], v11 offset:80
	ds_read_b128 v[23:26], v18 offset:80
	s_waitcnt lgkmcnt(0)
	v_add_f64 v[21:22], v[21:22], -v[25:26]
	v_add_f64 v[19:20], v[19:20], -v[23:24]
	v_div_fmas_f64 v[13:14], v[13:14], v[27:28], v[29:30]
	v_mul_f64 v[23:24], v[6:7], v[21:22]
	v_mul_f64 v[6:7], v[6:7], -v[19:20]
	v_fma_f64 v[19:20], v[19:20], v[4:5], v[23:24]
	v_fma_f64 v[6:7], v[21:22], v[4:5], v[6:7]
	v_div_fixup_f64 v[8:9], v[13:14], v[8:9], 1.0
	v_mul_f64 v[4:5], v[8:9], v[19:20]
	v_mul_f64 v[6:7], v[8:9], v[6:7]
	ds_write_b128 v11, v[4:7] offset:80
	s_waitcnt lgkmcnt(0)
	ds_read_b128 v[19:22], v12 offset:80
	ds_read_b128 v[23:26], v16
	s_waitcnt lgkmcnt(0)
	v_fma_f64 v[8:9], v[4:5], v[19:20], v[23:24]
	v_fma_f64 v[13:14], v[6:7], v[19:20], v[25:26]
	;; [unrolled: 1-line block ×3, first 2 shown]
	v_fma_f64 v[8:9], v[4:5], -v[21:22], v[13:14]
	ds_write_b128 v16, v[6:9]
.LBB66_121:
	s_or_b64 exec, exec, s[2:3]
	v_cmp_eq_u32_e32 vcc, 6, v1
	s_waitcnt lgkmcnt(0)
	s_and_saveexec_b64 s[2:3], vcc
	s_cbranch_execz .LBB66_128
; %bb.122:
	v_mov_b32_e32 v8, 0
	ds_read_b128 v[4:7], v8 offset:4416
	ds_read_b128 v[19:22], v8 offset:3264
	s_waitcnt lgkmcnt(0)
	v_add_f64 v[4:5], v[19:20], -v[4:5]
	v_add_f64 v[8:9], v[21:22], -v[6:7]
	v_cmp_gt_f64_e32 vcc, 0, v[4:5]
	v_xor_b32_e32 v6, 0x80000000, v5
	v_xor_b32_e32 v7, 0x80000000, v9
	v_cndmask_b32_e32 v5, v5, v6, vcc
	v_cmp_gt_f64_e32 vcc, 0, v[8:9]
	v_mov_b32_e32 v6, v8
	v_cndmask_b32_e32 v7, v9, v7, vcc
	v_cmp_gt_f64_e32 vcc, v[4:5], v[6:7]
	s_cbranch_vccnz .LBB66_125
; %bb.123:
	v_cmp_eq_f64_e32 vcc, 0, v[8:9]
	s_mov_b64 s[4:5], 0
	s_cbranch_vccnz .LBB66_160
; %bb.124:
	v_div_scale_f64 v[8:9], s[8:9], v[6:7], v[6:7], v[4:5]
	s_mov_b32 s8, 0
	s_brev_b32 s9, 8
	v_mov_b32_e32 v15, 0x260
	v_rcp_f64_e32 v[13:14], v[8:9]
	v_fma_f64 v[19:20], -v[8:9], v[13:14], 1.0
	v_fma_f64 v[13:14], v[13:14], v[19:20], v[13:14]
	v_div_scale_f64 v[19:20], vcc, v[4:5], v[6:7], v[4:5]
	v_fma_f64 v[21:22], -v[8:9], v[13:14], 1.0
	v_fma_f64 v[13:14], v[13:14], v[21:22], v[13:14]
	v_mul_f64 v[21:22], v[19:20], v[13:14]
	v_fma_f64 v[8:9], -v[8:9], v[21:22], v[19:20]
	v_div_fmas_f64 v[8:9], v[8:9], v[13:14], v[21:22]
	v_div_fixup_f64 v[8:9], v[8:9], v[6:7], v[4:5]
	v_fma_f64 v[8:9], v[8:9], v[8:9], 1.0
	v_cmp_gt_f64_e32 vcc, s[8:9], v[8:9]
	s_and_b64 s[8:9], vcc, exec
	s_cselect_b32 s8, 0x100, 0
	v_ldexp_f64 v[8:9], v[8:9], s8
	s_cselect_b32 s8, 0xffffff80, 0
	v_rsq_f64_e32 v[13:14], v[8:9]
	v_cmp_class_f64_e32 vcc, v[8:9], v15
	v_mul_f64 v[19:20], v[8:9], v[13:14]
	v_mul_f64 v[13:14], v[13:14], 0.5
	v_fma_f64 v[21:22], -v[13:14], v[19:20], 0.5
	v_fma_f64 v[19:20], v[19:20], v[21:22], v[19:20]
	v_fma_f64 v[13:14], v[13:14], v[21:22], v[13:14]
	v_fma_f64 v[21:22], -v[19:20], v[19:20], v[8:9]
	v_fma_f64 v[19:20], v[21:22], v[13:14], v[19:20]
	v_fma_f64 v[21:22], -v[19:20], v[19:20], v[8:9]
	v_fma_f64 v[13:14], v[21:22], v[13:14], v[19:20]
	v_ldexp_f64 v[13:14], v[13:14], s8
	v_cndmask_b32_e32 v9, v14, v9, vcc
	v_cndmask_b32_e32 v8, v13, v8, vcc
	v_mul_f64 v[8:9], v[6:7], v[8:9]
	s_andn2_b64 vcc, exec, s[4:5]
	s_cbranch_vccz .LBB66_126
	s_branch .LBB66_127
.LBB66_125:
                                        ; implicit-def: $vgpr8_vgpr9
.LBB66_126:
	v_div_scale_f64 v[8:9], s[4:5], v[4:5], v[4:5], v[6:7]
	s_mov_b32 s4, 0
	s_brev_b32 s5, 8
	v_rcp_f64_e32 v[13:14], v[8:9]
	v_fma_f64 v[19:20], -v[8:9], v[13:14], 1.0
	v_fma_f64 v[13:14], v[13:14], v[19:20], v[13:14]
	v_div_scale_f64 v[19:20], vcc, v[6:7], v[4:5], v[6:7]
	v_fma_f64 v[21:22], -v[8:9], v[13:14], 1.0
	v_fma_f64 v[13:14], v[13:14], v[21:22], v[13:14]
	v_mul_f64 v[21:22], v[19:20], v[13:14]
	v_fma_f64 v[8:9], -v[8:9], v[21:22], v[19:20]
	v_div_fmas_f64 v[8:9], v[8:9], v[13:14], v[21:22]
	v_div_fixup_f64 v[6:7], v[8:9], v[4:5], v[6:7]
	v_fma_f64 v[6:7], v[6:7], v[6:7], 1.0
	v_cmp_gt_f64_e32 vcc, s[4:5], v[6:7]
	s_and_b64 s[4:5], vcc, exec
	s_cselect_b32 s4, 0x100, 0
	v_ldexp_f64 v[6:7], v[6:7], s4
	s_cselect_b32 s4, 0xffffff80, 0
	v_rsq_f64_e32 v[8:9], v[6:7]
	v_mul_f64 v[13:14], v[6:7], v[8:9]
	v_mul_f64 v[8:9], v[8:9], 0.5
	v_fma_f64 v[19:20], -v[8:9], v[13:14], 0.5
	v_fma_f64 v[13:14], v[13:14], v[19:20], v[13:14]
	v_fma_f64 v[8:9], v[8:9], v[19:20], v[8:9]
	v_fma_f64 v[19:20], -v[13:14], v[13:14], v[6:7]
	v_fma_f64 v[13:14], v[19:20], v[8:9], v[13:14]
	v_fma_f64 v[19:20], -v[13:14], v[13:14], v[6:7]
	v_fma_f64 v[8:9], v[19:20], v[8:9], v[13:14]
	v_mov_b32_e32 v13, 0x260
	v_cmp_class_f64_e32 vcc, v[6:7], v13
	v_ldexp_f64 v[8:9], v[8:9], s4
	v_cndmask_b32_e32 v7, v9, v7, vcc
	v_cndmask_b32_e32 v6, v8, v6, vcc
	v_mul_f64 v[8:9], v[4:5], v[6:7]
.LBB66_127:
	s_mov_b32 s4, 0
	s_brev_b32 s5, 8
	v_cmp_gt_f64_e32 vcc, s[4:5], v[8:9]
	s_and_b64 s[4:5], vcc, exec
	s_cselect_b32 s4, 0x100, 0
	v_ldexp_f64 v[4:5], v[8:9], s4
	s_cselect_b32 s4, 0xffffff80, 0
	v_rsq_f64_e32 v[6:7], v[4:5]
	v_mul_f64 v[8:9], v[4:5], v[6:7]
	v_mul_f64 v[6:7], v[6:7], 0.5
	v_fma_f64 v[13:14], -v[6:7], v[8:9], 0.5
	v_fma_f64 v[8:9], v[8:9], v[13:14], v[8:9]
	v_fma_f64 v[6:7], v[6:7], v[13:14], v[6:7]
	v_fma_f64 v[13:14], -v[8:9], v[8:9], v[4:5]
	v_fma_f64 v[8:9], v[13:14], v[6:7], v[8:9]
	v_fma_f64 v[13:14], -v[8:9], v[8:9], v[4:5]
	v_fma_f64 v[6:7], v[13:14], v[6:7], v[8:9]
	v_mov_b32_e32 v9, 0x260
	v_cmp_class_f64_e32 vcc, v[4:5], v9
	v_ldexp_f64 v[7:8], v[6:7], s4
	v_mov_b32_e32 v6, 0
	v_cndmask_b32_e32 v5, v8, v5, vcc
	v_cndmask_b32_e32 v4, v7, v4, vcc
	v_mov_b32_e32 v7, v6
	ds_write_b128 v6, v[4:7] offset:3264
.LBB66_128:
	s_or_b64 exec, exec, s[2:3]
	v_mov_b32_e32 v4, 0
	s_waitcnt lgkmcnt(0)
	ds_read_b128 v[4:7], v4 offset:3264
	v_mov_b32_e32 v8, 0x3ff00000
	s_waitcnt lgkmcnt(0)
	v_cmp_neq_f64_e32 vcc, 0, v[4:5]
	v_cmp_neq_f64_e64 s[2:3], 0, v[6:7]
	s_or_b64 vcc, vcc, s[2:3]
	v_cndmask_b32_e32 v5, v8, v5, vcc
	s_nor_b64 s[4:5], vcc, s[0:1]
	v_cndmask_b32_e32 v4, 0, v4, vcc
	v_cndmask_b32_e32 v7, 0, v7, vcc
	;; [unrolled: 1-line block ×3, first 2 shown]
	s_and_saveexec_b64 s[2:3], s[4:5]
	s_cbranch_execz .LBB66_132
; %bb.129:
	v_mbcnt_lo_u32_b32 v4, exec_lo, 0
	v_mbcnt_hi_u32_b32 v4, exec_hi, v4
	v_cmp_eq_u32_e32 vcc, 0, v4
	s_and_saveexec_b64 s[4:5], vcc
	s_cbranch_execz .LBB66_131
; %bb.130:
	v_mov_b32_e32 v4, 0
	v_mov_b32_e32 v5, s16
	global_atomic_smin v4, v5, s[14:15]
.LBB66_131:
	s_or_b64 exec, exec, s[4:5]
	v_mov_b32_e32 v6, 0
	v_mov_b32_e32 v4, 0
	;; [unrolled: 1-line block ×4, first 2 shown]
.LBB66_132:
	s_or_b64 exec, exec, s[2:3]
	v_cmp_lt_u32_e32 vcc, 6, v1
	s_and_saveexec_b64 s[2:3], vcc
	s_cbranch_execz .LBB66_134
; %bb.133:
	v_mul_f64 v[8:9], v[6:7], v[6:7]
	v_fma_f64 v[8:9], v[4:5], v[4:5], v[8:9]
	v_div_scale_f64 v[13:14], s[4:5], v[8:9], v[8:9], 1.0
	v_rcp_f64_e32 v[19:20], v[13:14]
	v_fma_f64 v[21:22], -v[13:14], v[19:20], 1.0
	v_fma_f64 v[19:20], v[19:20], v[21:22], v[19:20]
	v_div_scale_f64 v[21:22], vcc, 1.0, v[8:9], 1.0
	v_fma_f64 v[23:24], -v[13:14], v[19:20], 1.0
	v_fma_f64 v[27:28], v[19:20], v[23:24], v[19:20]
	v_mul_f64 v[29:30], v[21:22], v[27:28]
	v_fma_f64 v[13:14], -v[13:14], v[29:30], v[21:22]
	ds_read_b128 v[19:22], v11 offset:96
	ds_read_b128 v[23:26], v18 offset:96
	s_waitcnt lgkmcnt(0)
	v_add_f64 v[21:22], v[21:22], -v[25:26]
	v_add_f64 v[19:20], v[19:20], -v[23:24]
	v_div_fmas_f64 v[13:14], v[13:14], v[27:28], v[29:30]
	v_mul_f64 v[23:24], v[6:7], v[21:22]
	v_mul_f64 v[6:7], v[6:7], -v[19:20]
	v_fma_f64 v[19:20], v[19:20], v[4:5], v[23:24]
	v_fma_f64 v[6:7], v[21:22], v[4:5], v[6:7]
	v_div_fixup_f64 v[8:9], v[13:14], v[8:9], 1.0
	v_mul_f64 v[4:5], v[8:9], v[19:20]
	v_mul_f64 v[6:7], v[8:9], v[6:7]
	ds_write_b128 v11, v[4:7] offset:96
	s_waitcnt lgkmcnt(0)
	ds_read_b128 v[19:22], v12 offset:96
	ds_read_b128 v[23:26], v16
	s_waitcnt lgkmcnt(0)
	v_fma_f64 v[8:9], v[4:5], v[19:20], v[23:24]
	v_fma_f64 v[13:14], v[6:7], v[19:20], v[25:26]
	;; [unrolled: 1-line block ×3, first 2 shown]
	v_fma_f64 v[8:9], v[4:5], -v[21:22], v[13:14]
	ds_write_b128 v16, v[6:9]
.LBB66_134:
	s_or_b64 exec, exec, s[2:3]
	v_cmp_eq_u32_e32 vcc, 7, v1
	s_waitcnt lgkmcnt(0)
	s_and_saveexec_b64 s[2:3], vcc
	s_cbranch_execz .LBB66_141
; %bb.135:
	v_mov_b32_e32 v8, 0
	ds_read_b128 v[4:7], v8 offset:4576
	ds_read_b128 v[19:22], v8 offset:3424
	s_waitcnt lgkmcnt(0)
	v_add_f64 v[4:5], v[19:20], -v[4:5]
	v_add_f64 v[8:9], v[21:22], -v[6:7]
	v_cmp_gt_f64_e32 vcc, 0, v[4:5]
	v_xor_b32_e32 v6, 0x80000000, v5
	v_xor_b32_e32 v7, 0x80000000, v9
	v_cndmask_b32_e32 v5, v5, v6, vcc
	v_cmp_gt_f64_e32 vcc, 0, v[8:9]
	v_mov_b32_e32 v6, v8
	v_cndmask_b32_e32 v7, v9, v7, vcc
	v_cmp_gt_f64_e32 vcc, v[4:5], v[6:7]
	s_cbranch_vccnz .LBB66_138
; %bb.136:
	v_cmp_eq_f64_e32 vcc, 0, v[8:9]
	s_mov_b64 s[4:5], 0
	s_cbranch_vccnz .LBB66_161
; %bb.137:
	v_div_scale_f64 v[8:9], s[8:9], v[6:7], v[6:7], v[4:5]
	s_mov_b32 s8, 0
	s_brev_b32 s9, 8
	v_mov_b32_e32 v15, 0x260
	v_rcp_f64_e32 v[13:14], v[8:9]
	v_fma_f64 v[19:20], -v[8:9], v[13:14], 1.0
	v_fma_f64 v[13:14], v[13:14], v[19:20], v[13:14]
	v_div_scale_f64 v[19:20], vcc, v[4:5], v[6:7], v[4:5]
	v_fma_f64 v[21:22], -v[8:9], v[13:14], 1.0
	v_fma_f64 v[13:14], v[13:14], v[21:22], v[13:14]
	v_mul_f64 v[21:22], v[19:20], v[13:14]
	v_fma_f64 v[8:9], -v[8:9], v[21:22], v[19:20]
	v_div_fmas_f64 v[8:9], v[8:9], v[13:14], v[21:22]
	v_div_fixup_f64 v[8:9], v[8:9], v[6:7], v[4:5]
	v_fma_f64 v[8:9], v[8:9], v[8:9], 1.0
	v_cmp_gt_f64_e32 vcc, s[8:9], v[8:9]
	s_and_b64 s[8:9], vcc, exec
	s_cselect_b32 s8, 0x100, 0
	v_ldexp_f64 v[8:9], v[8:9], s8
	s_cselect_b32 s8, 0xffffff80, 0
	v_rsq_f64_e32 v[13:14], v[8:9]
	v_cmp_class_f64_e32 vcc, v[8:9], v15
	v_mul_f64 v[19:20], v[8:9], v[13:14]
	v_mul_f64 v[13:14], v[13:14], 0.5
	v_fma_f64 v[21:22], -v[13:14], v[19:20], 0.5
	v_fma_f64 v[19:20], v[19:20], v[21:22], v[19:20]
	v_fma_f64 v[13:14], v[13:14], v[21:22], v[13:14]
	v_fma_f64 v[21:22], -v[19:20], v[19:20], v[8:9]
	v_fma_f64 v[19:20], v[21:22], v[13:14], v[19:20]
	v_fma_f64 v[21:22], -v[19:20], v[19:20], v[8:9]
	v_fma_f64 v[13:14], v[21:22], v[13:14], v[19:20]
	v_ldexp_f64 v[13:14], v[13:14], s8
	v_cndmask_b32_e32 v9, v14, v9, vcc
	v_cndmask_b32_e32 v8, v13, v8, vcc
	v_mul_f64 v[8:9], v[6:7], v[8:9]
	s_andn2_b64 vcc, exec, s[4:5]
	s_cbranch_vccz .LBB66_139
	s_branch .LBB66_140
.LBB66_138:
                                        ; implicit-def: $vgpr8_vgpr9
.LBB66_139:
	v_div_scale_f64 v[8:9], s[4:5], v[4:5], v[4:5], v[6:7]
	s_mov_b32 s4, 0
	s_brev_b32 s5, 8
	v_rcp_f64_e32 v[13:14], v[8:9]
	v_fma_f64 v[19:20], -v[8:9], v[13:14], 1.0
	v_fma_f64 v[13:14], v[13:14], v[19:20], v[13:14]
	v_div_scale_f64 v[19:20], vcc, v[6:7], v[4:5], v[6:7]
	v_fma_f64 v[21:22], -v[8:9], v[13:14], 1.0
	v_fma_f64 v[13:14], v[13:14], v[21:22], v[13:14]
	v_mul_f64 v[21:22], v[19:20], v[13:14]
	v_fma_f64 v[8:9], -v[8:9], v[21:22], v[19:20]
	v_div_fmas_f64 v[8:9], v[8:9], v[13:14], v[21:22]
	v_div_fixup_f64 v[6:7], v[8:9], v[4:5], v[6:7]
	v_fma_f64 v[6:7], v[6:7], v[6:7], 1.0
	v_cmp_gt_f64_e32 vcc, s[4:5], v[6:7]
	s_and_b64 s[4:5], vcc, exec
	s_cselect_b32 s4, 0x100, 0
	v_ldexp_f64 v[6:7], v[6:7], s4
	s_cselect_b32 s4, 0xffffff80, 0
	v_rsq_f64_e32 v[8:9], v[6:7]
	v_mul_f64 v[13:14], v[6:7], v[8:9]
	v_mul_f64 v[8:9], v[8:9], 0.5
	v_fma_f64 v[19:20], -v[8:9], v[13:14], 0.5
	v_fma_f64 v[13:14], v[13:14], v[19:20], v[13:14]
	v_fma_f64 v[8:9], v[8:9], v[19:20], v[8:9]
	v_fma_f64 v[19:20], -v[13:14], v[13:14], v[6:7]
	v_fma_f64 v[13:14], v[19:20], v[8:9], v[13:14]
	v_fma_f64 v[19:20], -v[13:14], v[13:14], v[6:7]
	v_fma_f64 v[8:9], v[19:20], v[8:9], v[13:14]
	v_mov_b32_e32 v13, 0x260
	v_cmp_class_f64_e32 vcc, v[6:7], v13
	v_ldexp_f64 v[8:9], v[8:9], s4
	v_cndmask_b32_e32 v7, v9, v7, vcc
	v_cndmask_b32_e32 v6, v8, v6, vcc
	v_mul_f64 v[8:9], v[4:5], v[6:7]
.LBB66_140:
	s_mov_b32 s4, 0
	s_brev_b32 s5, 8
	v_cmp_gt_f64_e32 vcc, s[4:5], v[8:9]
	s_and_b64 s[4:5], vcc, exec
	s_cselect_b32 s4, 0x100, 0
	v_ldexp_f64 v[4:5], v[8:9], s4
	s_cselect_b32 s4, 0xffffff80, 0
	v_rsq_f64_e32 v[6:7], v[4:5]
	v_mul_f64 v[8:9], v[4:5], v[6:7]
	v_mul_f64 v[6:7], v[6:7], 0.5
	v_fma_f64 v[13:14], -v[6:7], v[8:9], 0.5
	v_fma_f64 v[8:9], v[8:9], v[13:14], v[8:9]
	v_fma_f64 v[6:7], v[6:7], v[13:14], v[6:7]
	v_fma_f64 v[13:14], -v[8:9], v[8:9], v[4:5]
	v_fma_f64 v[8:9], v[13:14], v[6:7], v[8:9]
	v_fma_f64 v[13:14], -v[8:9], v[8:9], v[4:5]
	v_fma_f64 v[6:7], v[13:14], v[6:7], v[8:9]
	v_mov_b32_e32 v9, 0x260
	v_cmp_class_f64_e32 vcc, v[4:5], v9
	v_ldexp_f64 v[7:8], v[6:7], s4
	v_mov_b32_e32 v6, 0
	v_cndmask_b32_e32 v5, v8, v5, vcc
	v_cndmask_b32_e32 v4, v7, v4, vcc
	v_mov_b32_e32 v7, v6
	ds_write_b128 v6, v[4:7] offset:3424
.LBB66_141:
	s_or_b64 exec, exec, s[2:3]
	v_mov_b32_e32 v4, 0
	s_waitcnt lgkmcnt(0)
	ds_read_b128 v[4:7], v4 offset:3424
	v_mov_b32_e32 v8, 0x3ff00000
	s_waitcnt lgkmcnt(0)
	v_cmp_neq_f64_e32 vcc, 0, v[4:5]
	v_cmp_neq_f64_e64 s[2:3], 0, v[6:7]
	s_or_b64 vcc, vcc, s[2:3]
	v_cndmask_b32_e32 v5, v8, v5, vcc
	s_nor_b64 s[2:3], vcc, s[0:1]
	v_cndmask_b32_e32 v4, 0, v4, vcc
	v_cndmask_b32_e32 v7, 0, v7, vcc
	;; [unrolled: 1-line block ×3, first 2 shown]
	s_and_saveexec_b64 s[0:1], s[2:3]
	s_cbranch_execz .LBB66_145
; %bb.142:
	v_mbcnt_lo_u32_b32 v4, exec_lo, 0
	v_mbcnt_hi_u32_b32 v4, exec_hi, v4
	v_cmp_eq_u32_e32 vcc, 0, v4
	s_and_saveexec_b64 s[2:3], vcc
	s_cbranch_execz .LBB66_144
; %bb.143:
	v_mov_b32_e32 v4, 0
	v_mov_b32_e32 v5, s16
	global_atomic_smin v4, v5, s[14:15]
.LBB66_144:
	s_or_b64 exec, exec, s[2:3]
	v_mov_b32_e32 v6, 0
	v_mov_b32_e32 v4, 0
	;; [unrolled: 1-line block ×4, first 2 shown]
.LBB66_145:
	s_or_b64 exec, exec, s[0:1]
	v_cmp_lt_u32_e32 vcc, 7, v1
	s_and_saveexec_b64 s[0:1], vcc
	s_cbranch_execz .LBB66_147
; %bb.146:
	v_mul_f64 v[8:9], v[6:7], v[6:7]
	v_fma_f64 v[8:9], v[4:5], v[4:5], v[8:9]
	v_div_scale_f64 v[13:14], s[2:3], v[8:9], v[8:9], 1.0
	v_rcp_f64_e32 v[19:20], v[13:14]
	v_fma_f64 v[21:22], -v[13:14], v[19:20], 1.0
	v_fma_f64 v[19:20], v[19:20], v[21:22], v[19:20]
	v_div_scale_f64 v[21:22], vcc, 1.0, v[8:9], 1.0
	v_fma_f64 v[23:24], -v[13:14], v[19:20], 1.0
	v_fma_f64 v[27:28], v[19:20], v[23:24], v[19:20]
	v_mul_f64 v[29:30], v[21:22], v[27:28]
	v_fma_f64 v[13:14], -v[13:14], v[29:30], v[21:22]
	ds_read_b128 v[19:22], v11 offset:112
	ds_read_b128 v[23:26], v18 offset:112
	s_waitcnt lgkmcnt(0)
	v_add_f64 v[21:22], v[21:22], -v[25:26]
	v_add_f64 v[18:19], v[19:20], -v[23:24]
	v_div_fmas_f64 v[13:14], v[13:14], v[27:28], v[29:30]
	v_mul_f64 v[23:24], v[6:7], v[21:22]
	v_mul_f64 v[6:7], v[6:7], -v[18:19]
	v_fma_f64 v[18:19], v[18:19], v[4:5], v[23:24]
	v_fma_f64 v[6:7], v[21:22], v[4:5], v[6:7]
	v_div_fixup_f64 v[8:9], v[13:14], v[8:9], 1.0
	v_mul_f64 v[4:5], v[8:9], v[18:19]
	v_mul_f64 v[6:7], v[8:9], v[6:7]
	ds_write_b128 v11, v[4:7] offset:112
	s_waitcnt lgkmcnt(0)
	ds_read_b128 v[11:14], v12 offset:112
	ds_read_b128 v[18:21], v16
	s_waitcnt lgkmcnt(0)
	v_fma_f64 v[8:9], v[4:5], v[11:12], v[18:19]
	v_fma_f64 v[11:12], v[6:7], v[11:12], v[20:21]
	;; [unrolled: 1-line block ×3, first 2 shown]
	v_fma_f64 v[8:9], v[4:5], -v[13:14], v[11:12]
	ds_write_b128 v16, v[6:9]
.LBB66_147:
	s_or_b64 exec, exec, s[0:1]
	s_waitcnt lgkmcnt(0)
	ds_read2_b64 v[4:7], v10 offset1:1
	v_cmp_eq_u32_e32 vcc, 0, v17
	s_waitcnt lgkmcnt(0)
	global_store_dwordx4 v[2:3], v[4:7], off
	s_and_saveexec_b64 s[0:1], vcc
	s_cbranch_execz .LBB66_149
; %bb.148:
	s_add_u32 s2, s10, s6
	s_addc_u32 s3, s11, s7
	v_mov_b32_e32 v2, 0
	v_mov_b32_e32 v3, 1
	s_waitcnt vmcnt(0)
	global_store_dword v2, v3, s[2:3]
.LBB66_149:
	s_or_b64 exec, exec, s[0:1]
	s_branch .LBB66_7
.LBB66_150:
	v_or_b32_e32 v0, v0, v1
	v_cmp_eq_u32_e32 vcc, 0, v0
	s_and_saveexec_b64 s[0:1], vcc
	s_cbranch_execz .LBB66_7
; %bb.151:
	v_mbcnt_lo_u32_b32 v0, exec_lo, 0
	v_mbcnt_hi_u32_b32 v0, exec_hi, v0
	v_cmp_eq_u32_e32 vcc, 0, v0
	s_and_saveexec_b64 s[0:1], vcc
	s_cbranch_execz .LBB66_153
; %bb.152:
	s_add_i32 s2, s12, s13
	v_mov_b32_e32 v0, 0
	v_mov_b32_e32 v1, s2
	global_atomic_smin v0, v1, s[14:15]
.LBB66_153:
	s_or_b64 exec, exec, s[0:1]
	s_add_u32 s0, s10, s6
	s_addc_u32 s1, s11, s7
	v_mov_b32_e32 v0, 0
	v_mov_b32_e32 v1, 1
	s_waitcnt vmcnt(0)
	global_store_dword v0, v1, s[0:1]
	s_endpgm
.LBB66_154:
	v_mov_b32_e32 v8, 0
	v_mov_b32_e32 v9, 0
	s_andn2_b64 vcc, exec, s[4:5]
	s_cbranch_vccz .LBB66_48
	s_branch .LBB66_49
.LBB66_155:
	v_mov_b32_e32 v8, 0
	v_mov_b32_e32 v9, 0
	s_andn2_b64 vcc, exec, s[4:5]
	s_cbranch_vccz .LBB66_61
	s_branch .LBB66_62
.LBB66_156:
	v_mov_b32_e32 v8, 0
	v_mov_b32_e32 v9, 0
	s_andn2_b64 vcc, exec, s[4:5]
	s_cbranch_vccz .LBB66_74
	s_branch .LBB66_75
.LBB66_157:
	v_mov_b32_e32 v8, 0
	v_mov_b32_e32 v9, 0
	s_andn2_b64 vcc, exec, s[4:5]
	s_cbranch_vccz .LBB66_87
	s_branch .LBB66_88
.LBB66_158:
	v_mov_b32_e32 v8, 0
	v_mov_b32_e32 v9, 0
	s_andn2_b64 vcc, exec, s[4:5]
	s_cbranch_vccz .LBB66_100
	s_branch .LBB66_101
.LBB66_159:
	v_mov_b32_e32 v8, 0
	v_mov_b32_e32 v9, 0
	s_andn2_b64 vcc, exec, s[4:5]
	s_cbranch_vccz .LBB66_113
	s_branch .LBB66_114
.LBB66_160:
	v_mov_b32_e32 v8, 0
	v_mov_b32_e32 v9, 0
	s_andn2_b64 vcc, exec, s[4:5]
	s_cbranch_vccz .LBB66_126
	s_branch .LBB66_127
.LBB66_161:
	v_mov_b32_e32 v8, 0
	v_mov_b32_e32 v9, 0
	s_andn2_b64 vcc, exec, s[4:5]
	s_cbranch_vccz .LBB66_139
	s_branch .LBB66_140
	.section	.rodata,"a",@progbits
	.p2align	6, 0x0
	.amdhsa_kernel _ZN9rocsparseL26bsric0_2_8_unrolled_kernelILi64ELi32ELi8E21rocsparse_complex_numIdEEEv20rocsparse_direction_iiPKiS5_PT2_S5_PiS5_S8_21rocsparse_index_base_
		.amdhsa_group_segment_fixed_size 4992
		.amdhsa_private_segment_fixed_size 0
		.amdhsa_kernarg_size 76
		.amdhsa_user_sgpr_count 6
		.amdhsa_user_sgpr_private_segment_buffer 1
		.amdhsa_user_sgpr_dispatch_ptr 0
		.amdhsa_user_sgpr_queue_ptr 0
		.amdhsa_user_sgpr_kernarg_segment_ptr 1
		.amdhsa_user_sgpr_dispatch_id 0
		.amdhsa_user_sgpr_flat_scratch_init 0
		.amdhsa_user_sgpr_private_segment_size 0
		.amdhsa_uses_dynamic_stack 0
		.amdhsa_system_sgpr_private_segment_wavefront_offset 0
		.amdhsa_system_sgpr_workgroup_id_x 1
		.amdhsa_system_sgpr_workgroup_id_y 0
		.amdhsa_system_sgpr_workgroup_id_z 0
		.amdhsa_system_sgpr_workgroup_info 0
		.amdhsa_system_vgpr_workitem_id 1
		.amdhsa_next_free_vgpr 60
		.amdhsa_next_free_sgpr 98
		.amdhsa_reserve_vcc 1
		.amdhsa_reserve_flat_scratch 0
		.amdhsa_float_round_mode_32 0
		.amdhsa_float_round_mode_16_64 0
		.amdhsa_float_denorm_mode_32 3
		.amdhsa_float_denorm_mode_16_64 3
		.amdhsa_dx10_clamp 1
		.amdhsa_ieee_mode 1
		.amdhsa_fp16_overflow 0
		.amdhsa_exception_fp_ieee_invalid_op 0
		.amdhsa_exception_fp_denorm_src 0
		.amdhsa_exception_fp_ieee_div_zero 0
		.amdhsa_exception_fp_ieee_overflow 0
		.amdhsa_exception_fp_ieee_underflow 0
		.amdhsa_exception_fp_ieee_inexact 0
		.amdhsa_exception_int_div_zero 0
	.end_amdhsa_kernel
	.section	.text._ZN9rocsparseL26bsric0_2_8_unrolled_kernelILi64ELi32ELi8E21rocsparse_complex_numIdEEEv20rocsparse_direction_iiPKiS5_PT2_S5_PiS5_S8_21rocsparse_index_base_,"axG",@progbits,_ZN9rocsparseL26bsric0_2_8_unrolled_kernelILi64ELi32ELi8E21rocsparse_complex_numIdEEEv20rocsparse_direction_iiPKiS5_PT2_S5_PiS5_S8_21rocsparse_index_base_,comdat
.Lfunc_end66:
	.size	_ZN9rocsparseL26bsric0_2_8_unrolled_kernelILi64ELi32ELi8E21rocsparse_complex_numIdEEEv20rocsparse_direction_iiPKiS5_PT2_S5_PiS5_S8_21rocsparse_index_base_, .Lfunc_end66-_ZN9rocsparseL26bsric0_2_8_unrolled_kernelILi64ELi32ELi8E21rocsparse_complex_numIdEEEv20rocsparse_direction_iiPKiS5_PT2_S5_PiS5_S8_21rocsparse_index_base_
                                        ; -- End function
	.set _ZN9rocsparseL26bsric0_2_8_unrolled_kernelILi64ELi32ELi8E21rocsparse_complex_numIdEEEv20rocsparse_direction_iiPKiS5_PT2_S5_PiS5_S8_21rocsparse_index_base_.num_vgpr, 60
	.set _ZN9rocsparseL26bsric0_2_8_unrolled_kernelILi64ELi32ELi8E21rocsparse_complex_numIdEEEv20rocsparse_direction_iiPKiS5_PT2_S5_PiS5_S8_21rocsparse_index_base_.num_agpr, 0
	.set _ZN9rocsparseL26bsric0_2_8_unrolled_kernelILi64ELi32ELi8E21rocsparse_complex_numIdEEEv20rocsparse_direction_iiPKiS5_PT2_S5_PiS5_S8_21rocsparse_index_base_.numbered_sgpr, 40
	.set _ZN9rocsparseL26bsric0_2_8_unrolled_kernelILi64ELi32ELi8E21rocsparse_complex_numIdEEEv20rocsparse_direction_iiPKiS5_PT2_S5_PiS5_S8_21rocsparse_index_base_.num_named_barrier, 0
	.set _ZN9rocsparseL26bsric0_2_8_unrolled_kernelILi64ELi32ELi8E21rocsparse_complex_numIdEEEv20rocsparse_direction_iiPKiS5_PT2_S5_PiS5_S8_21rocsparse_index_base_.private_seg_size, 0
	.set _ZN9rocsparseL26bsric0_2_8_unrolled_kernelILi64ELi32ELi8E21rocsparse_complex_numIdEEEv20rocsparse_direction_iiPKiS5_PT2_S5_PiS5_S8_21rocsparse_index_base_.uses_vcc, 1
	.set _ZN9rocsparseL26bsric0_2_8_unrolled_kernelILi64ELi32ELi8E21rocsparse_complex_numIdEEEv20rocsparse_direction_iiPKiS5_PT2_S5_PiS5_S8_21rocsparse_index_base_.uses_flat_scratch, 0
	.set _ZN9rocsparseL26bsric0_2_8_unrolled_kernelILi64ELi32ELi8E21rocsparse_complex_numIdEEEv20rocsparse_direction_iiPKiS5_PT2_S5_PiS5_S8_21rocsparse_index_base_.has_dyn_sized_stack, 0
	.set _ZN9rocsparseL26bsric0_2_8_unrolled_kernelILi64ELi32ELi8E21rocsparse_complex_numIdEEEv20rocsparse_direction_iiPKiS5_PT2_S5_PiS5_S8_21rocsparse_index_base_.has_recursion, 0
	.set _ZN9rocsparseL26bsric0_2_8_unrolled_kernelILi64ELi32ELi8E21rocsparse_complex_numIdEEEv20rocsparse_direction_iiPKiS5_PT2_S5_PiS5_S8_21rocsparse_index_base_.has_indirect_call, 0
	.section	.AMDGPU.csdata,"",@progbits
; Kernel info:
; codeLenInByte = 13092
; TotalNumSgprs: 44
; NumVgprs: 60
; ScratchSize: 0
; MemoryBound: 1
; FloatMode: 240
; IeeeMode: 1
; LDSByteSize: 4992 bytes/workgroup (compile time only)
; SGPRBlocks: 12
; VGPRBlocks: 14
; NumSGPRsForWavesPerEU: 102
; NumVGPRsForWavesPerEU: 60
; Occupancy: 4
; WaveLimiterHint : 1
; COMPUTE_PGM_RSRC2:SCRATCH_EN: 0
; COMPUTE_PGM_RSRC2:USER_SGPR: 6
; COMPUTE_PGM_RSRC2:TRAP_HANDLER: 0
; COMPUTE_PGM_RSRC2:TGID_X_EN: 1
; COMPUTE_PGM_RSRC2:TGID_Y_EN: 0
; COMPUTE_PGM_RSRC2:TGID_Z_EN: 0
; COMPUTE_PGM_RSRC2:TIDIG_COMP_CNT: 1
	.section	.text._ZN9rocsparseL18bsric0_9_16_kernelILi64ELi32ELi16E21rocsparse_complex_numIdEEEv20rocsparse_direction_iiPKiS5_PT2_S5_PiS5_S8_21rocsparse_index_base_,"axG",@progbits,_ZN9rocsparseL18bsric0_9_16_kernelILi64ELi32ELi16E21rocsparse_complex_numIdEEEv20rocsparse_direction_iiPKiS5_PT2_S5_PiS5_S8_21rocsparse_index_base_,comdat
	.globl	_ZN9rocsparseL18bsric0_9_16_kernelILi64ELi32ELi16E21rocsparse_complex_numIdEEEv20rocsparse_direction_iiPKiS5_PT2_S5_PiS5_S8_21rocsparse_index_base_ ; -- Begin function _ZN9rocsparseL18bsric0_9_16_kernelILi64ELi32ELi16E21rocsparse_complex_numIdEEEv20rocsparse_direction_iiPKiS5_PT2_S5_PiS5_S8_21rocsparse_index_base_
	.p2align	8
	.type	_ZN9rocsparseL18bsric0_9_16_kernelILi64ELi32ELi16E21rocsparse_complex_numIdEEEv20rocsparse_direction_iiPKiS5_PT2_S5_PiS5_S8_21rocsparse_index_base_,@function
_ZN9rocsparseL18bsric0_9_16_kernelILi64ELi32ELi16E21rocsparse_complex_numIdEEEv20rocsparse_direction_iiPKiS5_PT2_S5_PiS5_S8_21rocsparse_index_base_: ; @_ZN9rocsparseL18bsric0_9_16_kernelILi64ELi32ELi16E21rocsparse_complex_numIdEEEv20rocsparse_direction_iiPKiS5_PT2_S5_PiS5_S8_21rocsparse_index_base_
; %bb.0:
	s_load_dwordx8 s[8:15], s[4:5], 0x28
	s_mov_b32 s7, 0
	s_lshl_b64 s[0:1], s[6:7], 2
	s_waitcnt lgkmcnt(0)
	s_add_u32 s0, s12, s0
	s_addc_u32 s1, s13, s1
	s_load_dword s20, s[0:1], 0x0
	s_waitcnt lgkmcnt(0)
	s_ashr_i32 s21, s20, 31
	s_lshl_b64 s[12:13], s[20:21], 2
	s_add_u32 s0, s8, s12
	s_addc_u32 s1, s9, s13
	s_load_dword s33, s[0:1], 0x0
	s_load_dword s21, s[4:5], 0x48
	s_waitcnt lgkmcnt(0)
	s_cmp_lg_u32 s33, -1
	s_cbranch_scc0 .LBB67_134
; %bb.1:
	s_load_dwordx4 s[16:19], s[4:5], 0x10
	s_load_dwordx2 s[22:23], s[4:5], 0x20
	v_lshlrev_b32_e32 v2, 2, v1
	v_lshlrev_b32_e32 v20, 4, v1
	s_waitcnt lgkmcnt(0)
	s_add_u32 s0, s16, s12
	s_addc_u32 s1, s17, s13
	s_load_dword s0, s[0:1], 0x0
	s_waitcnt lgkmcnt(0)
	s_sub_i32 s46, s0, s21
	v_add3_u32 v2, v2, v0, s46
	v_cmp_ge_i32_e32 vcc, s33, v2
	s_and_saveexec_b64 s[0:1], vcc
	s_cbranch_execz .LBB67_4
; %bb.2:
	v_lshlrev_b32_e32 v3, 2, v0
	s_movk_i32 s2, 0x4500
	v_add3_u32 v4, v20, v3, s2
	s_mov_b64 s[2:3], 0
	v_mov_b32_e32 v5, s19
.LBB67_3:                               ; =>This Inner Loop Header: Depth=1
	v_ashrrev_i32_e32 v3, 31, v2
	v_lshlrev_b64 v[6:7], 2, v[2:3]
	v_add_u32_e32 v2, 64, v2
	v_add_co_u32_e32 v6, vcc, s18, v6
	v_addc_co_u32_e32 v7, vcc, v5, v7, vcc
	global_load_dword v3, v[6:7], off
	v_cmp_lt_i32_e32 vcc, s33, v2
	s_or_b64 s[2:3], vcc, s[2:3]
	s_waitcnt vmcnt(0)
	v_subrev_u32_e32 v3, s21, v3
	ds_write_b32 v4, v3
	v_add_u32_e32 v4, 0x100, v4
	s_andn2_b64 exec, exec, s[2:3]
	s_cbranch_execnz .LBB67_3
.LBB67_4:
	s_or_b64 exec, exec, s[0:1]
	v_cmp_gt_u32_e32 vcc, 16, v0
	v_lshlrev_b32_e32 v19, 4, v0
	s_and_saveexec_b64 s[0:1], vcc
	s_cbranch_execz .LBB67_7
; %bb.5:
	v_mul_u32_u24_e32 v2, 0x110, v1
	s_movk_i32 s2, 0x3300
	v_add3_u32 v7, v2, v19, s2
	v_mov_b32_e32 v2, 0
	v_add_u32_e32 v6, -4, v0
	s_mov_b64 s[2:3], 0
	v_mov_b32_e32 v3, v2
	v_mov_b32_e32 v4, v2
	;; [unrolled: 1-line block ×3, first 2 shown]
.LBB67_6:                               ; =>This Inner Loop Header: Depth=1
	v_add_u32_e32 v6, 4, v6
	v_cmp_lt_u32_e32 vcc, 11, v6
	ds_write_b128 v7, v[2:5]
	s_or_b64 s[2:3], vcc, s[2:3]
	v_add_u32_e32 v7, 64, v7
	s_andn2_b64 exec, exec, s[2:3]
	s_cbranch_execnz .LBB67_6
.LBB67_7:
	s_or_b64 exec, exec, s[0:1]
	s_load_dword s44, s[4:5], 0x8
	s_load_dword s45, s[4:5], 0x0
	s_cmp_ge_i32 s46, s33
	s_waitcnt lgkmcnt(0)
	v_cmp_gt_i32_e64 s[0:1], s44, v0
	s_cbranch_scc1 .LBB67_89
; %bb.8:
	s_movk_i32 s6, 0x110
	v_mov_b32_e32 v3, 0x1100
	v_mad_u32_u24 v22, v1, s6, v3
	v_or_b32_e32 v3, v0, v1
	s_mul_i32 s7, s44, s46
	v_cmp_ne_u32_e64 s[4:5], 0, v3
	v_add_u32_e32 v3, s7, v1
	v_mul_lo_u32 v23, s44, v1
	v_mul_lo_u32 v27, s44, v3
	;; [unrolled: 1-line block ×3, first 2 shown]
	s_cmp_lg_u32 s45, 0
	s_cselect_b64 s[24:25], -1, 0
	v_mov_b32_e32 v2, 0x2200
	s_cmp_gt_i32 s44, 0
	v_mad_u32_u24 v24, v1, s6, v19
	v_cmp_gt_i32_e64 s[2:3], s44, v1
	v_mad_u32_u24 v21, v1, s6, v2
	s_mul_i32 s47, s44, s44
	s_cselect_b64 s[26:27], -1, 0
	v_add_u32_e32 v25, 0x1100, v24
	s_lshl_b32 s48, s44, 2
	v_add_u32_e32 v28, 0x3300, v24
	v_mad_u32_u24 v29, v0, s6, v2
	v_add_u32_e32 v30, 0x2200, v24
	v_mov_b32_e32 v2, 0
	v_mov_b32_e32 v31, 0x3ff00000
	s_mov_b32 s28, s46
	s_branch .LBB67_10
.LBB67_9:                               ;   in Loop: Header=BB67_10 Depth=1
	s_or_b64 exec, exec, s[6:7]
	s_add_i32 s28, s28, 1
	s_cmp_ge_i32 s28, s33
	s_waitcnt vmcnt(0)
	buffer_wbinvl1_vol
	v_add_u32_e32 v27, s47, v27
	s_cselect_b64 s[6:7], -1, 0
	s_and_b64 vcc, exec, s[6:7]
	s_cbranch_vccnz .LBB67_89
.LBB67_10:                              ; =>This Loop Header: Depth=1
                                        ;     Child Loop BB67_14 Depth 2
                                        ;     Child Loop BB67_26 Depth 2
	;; [unrolled: 1-line block ×5, first 2 shown]
                                        ;       Child Loop BB67_56 Depth 3
                                        ;     Child Loop BB67_70 Depth 2
                                        ;       Child Loop BB67_75 Depth 3
                                        ;       Child Loop BB67_78 Depth 3
                                        ;     Child Loop BB67_84 Depth 2
	s_ashr_i32 s29, s28, 31
	s_lshl_b64 s[6:7], s[28:29], 2
	s_add_u32 s6, s18, s6
	s_addc_u32 s7, s19, s7
	s_load_dword s49, s[6:7], 0x0
	s_waitcnt lgkmcnt(0)
	s_sub_i32 s30, s49, s21
	s_ashr_i32 s31, s30, 31
	s_lshl_b64 s[6:7], s[30:31], 2
	s_add_u32 s34, s8, s6
	s_addc_u32 s35, s9, s7
	s_load_dword s31, s[34:35], 0x0
	s_waitcnt lgkmcnt(0)
	s_cmp_eq_u32 s31, -1
	s_cbranch_scc1 .LBB67_88
; %bb.11:                               ;   in Loop: Header=BB67_10 Depth=1
	s_add_u32 s34, s16, s6
	s_addc_u32 s35, s17, s7
	s_load_dword s50, s[34:35], 0x0
	s_mul_i32 s29, s28, s44
	s_and_saveexec_b64 s[34:35], s[0:1]
	s_cbranch_execz .LBB67_24
; %bb.12:                               ;   in Loop: Header=BB67_10 Depth=1
	s_mov_b64 s[36:37], 0
	v_mov_b32_e32 v9, v25
	v_mov_b32_e32 v10, v0
	s_branch .LBB67_14
.LBB67_13:                              ;   in Loop: Header=BB67_14 Depth=2
	s_or_b64 exec, exec, s[40:41]
	v_add_u32_e32 v10, 4, v10
	s_waitcnt vmcnt(0)
	ds_write_b128 v9, v[3:6] offset:4352
	v_mov_b32_e32 v3, v2
	v_mov_b32_e32 v4, v2
	;; [unrolled: 1-line block ×3, first 2 shown]
	v_cmp_le_i32_e32 vcc, s44, v10
	ds_write_b128 v9, v[2:5]
	s_or_b64 s[36:37], vcc, s[36:37]
	v_add_u32_e32 v9, 64, v9
	s_andn2_b64 exec, exec, s[36:37]
	s_cbranch_execz .LBB67_24
.LBB67_14:                              ;   Parent Loop BB67_10 Depth=1
                                        ; =>  This Inner Loop Header: Depth=2
	s_and_b64 vcc, exec, s[24:25]
	s_cbranch_vccz .LBB67_18
; %bb.15:                               ;   in Loop: Header=BB67_14 Depth=2
	s_mov_b64 s[40:41], 0
	s_mov_b64 s[38:39], 0
                                        ; implicit-def: $vgpr7
	s_and_saveexec_b64 s[42:43], s[2:3]
	s_xor_b64 s[42:43], exec, s[42:43]
; %bb.16:                               ;   in Loop: Header=BB67_14 Depth=2
	v_add_u32_e32 v3, s29, v10
	s_mov_b64 s[38:39], exec
	v_mad_u64_u32 v[7:8], s[52:53], v3, s44, v[1:2]
; %bb.17:                               ;   in Loop: Header=BB67_14 Depth=2
	s_or_b64 exec, exec, s[42:43]
	s_and_b64 vcc, exec, s[40:41]
	s_cbranch_vccnz .LBB67_19
	s_branch .LBB67_22
.LBB67_18:                              ;   in Loop: Header=BB67_14 Depth=2
	s_mov_b64 s[38:39], 0
                                        ; implicit-def: $vgpr7
	s_cbranch_execz .LBB67_22
.LBB67_19:                              ;   in Loop: Header=BB67_14 Depth=2
                                        ; implicit-def: $vgpr7
	s_and_saveexec_b64 s[40:41], s[2:3]
; %bb.20:                               ;   in Loop: Header=BB67_14 Depth=2
	v_add_u32_e32 v7, v27, v10
	s_or_b64 s[38:39], s[38:39], exec
; %bb.21:                               ;   in Loop: Header=BB67_14 Depth=2
	s_or_b64 exec, exec, s[40:41]
.LBB67_22:                              ;   in Loop: Header=BB67_14 Depth=2
	v_mov_b32_e32 v3, 0
	v_mov_b32_e32 v5, 0
	;; [unrolled: 1-line block ×4, first 2 shown]
	s_and_saveexec_b64 s[40:41], s[38:39]
	s_cbranch_execz .LBB67_13
; %bb.23:                               ;   in Loop: Header=BB67_14 Depth=2
	v_ashrrev_i32_e32 v8, 31, v7
	v_lshlrev_b64 v[3:4], 4, v[7:8]
	v_mov_b32_e32 v5, s23
	v_add_co_u32_e32 v3, vcc, s22, v3
	v_addc_co_u32_e32 v4, vcc, v5, v4, vcc
	global_load_dwordx4 v[3:6], v[3:4], off
	s_branch .LBB67_13
.LBB67_24:                              ;   in Loop: Header=BB67_10 Depth=1
	s_or_b64 exec, exec, s[34:35]
	ds_read_b32 v3, v2 offset:17664
	s_waitcnt lgkmcnt(0)
	s_sub_i32 s34, s50, s21
	s_cmp_le_i32 s34, s31
	s_cselect_b64 s[36:37], -1, 0
	s_mov_b32 s40, 0
	v_cmp_ge_i32_e32 vcc, s30, v3
	s_and_b64 s[36:37], s[36:37], vcc
	s_andn2_b64 vcc, exec, s[36:37]
	s_cbranch_vccnz .LBB67_36
; %bb.25:                               ;   in Loop: Header=BB67_10 Depth=1
	s_mov_b32 s38, 0
	s_mov_b32 s39, 0
.LBB67_26:                              ;   Parent Loop BB67_10 Depth=1
                                        ; =>  This Inner Loop Header: Depth=2
	s_ashr_i32 s35, s34, 31
	s_lshl_b64 s[36:37], s[34:35], 2
	s_add_u32 s36, s18, s36
	s_addc_u32 s37, s19, s37
	s_load_dword s35, s[36:37], 0x0
	s_lshl_b32 s36, s39, 2
	v_mov_b32_e32 v3, s36
	ds_read_b32 v3, v3 offset:17664
	s_mov_b64 s[36:37], -1
	s_waitcnt lgkmcnt(0)
	s_sub_i32 s43, s35, s21
                                        ; implicit-def: $sgpr40
                                        ; implicit-def: $sgpr42
                                        ; implicit-def: $sgpr41
	v_cmp_ge_i32_e32 vcc, s43, v3
	v_readfirstlane_b32 s35, v3
	s_cbranch_vccz .LBB67_32
; %bb.27:                               ;   in Loop: Header=BB67_26 Depth=2
	s_cmp_le_i32 s43, s35
                                        ; implicit-def: $sgpr40
                                        ; implicit-def: $sgpr42
                                        ; implicit-def: $sgpr41
	s_cbranch_scc0 .LBB67_29
; %bb.28:                               ;   in Loop: Header=BB67_26 Depth=2
	s_add_i32 s36, s39, s46
	s_mul_i32 s36, s36, s47
	s_lshl_b32 s37, s38, 2
	v_mov_b32_e32 v3, s37
	v_mov_b32_e32 v4, s36
	s_mul_i32 s36, s34, s47
	v_mov_b32_e32 v5, s36
	v_add_u32_e32 v3, 0x4400, v3
	ds_write2_b32 v3, v5, v4 offset1:32
	s_add_i32 s41, s39, 1
	s_add_i32 s42, s34, 1
	;; [unrolled: 1-line block ×3, first 2 shown]
	s_mov_b64 s[36:37], 0
.LBB67_29:                              ;   in Loop: Header=BB67_26 Depth=2
	s_andn2_b64 vcc, exec, s[36:37]
	s_cbranch_vccnz .LBB67_31
; %bb.30:                               ;   in Loop: Header=BB67_26 Depth=2
	s_add_i32 s41, s39, 1
	s_mov_b32 s40, s38
	s_mov_b32 s42, s34
.LBB67_31:                              ;   in Loop: Header=BB67_26 Depth=2
	s_mov_b64 s[36:37], 0
.LBB67_32:                              ;   in Loop: Header=BB67_26 Depth=2
	s_andn2_b64 vcc, exec, s[36:37]
	s_cbranch_vccnz .LBB67_34
; %bb.33:                               ;   in Loop: Header=BB67_26 Depth=2
	s_add_i32 s42, s34, 1
	s_mov_b32 s41, s39
	s_mov_b32 s40, s38
.LBB67_34:                              ;   in Loop: Header=BB67_26 Depth=2
	s_cmp_le_i32 s42, s31
	s_cselect_b64 s[36:37], -1, 0
	s_cmp_le_i32 s35, s30
	s_cselect_b64 s[34:35], -1, 0
	s_and_b64 s[34:35], s[36:37], s[34:35]
	s_and_b64 vcc, exec, s[34:35]
	s_cbranch_vccz .LBB67_36
; %bb.35:                               ;   in Loop: Header=BB67_26 Depth=2
	s_mov_b32 s38, s40
	s_mov_b32 s34, s42
	;; [unrolled: 1-line block ×3, first 2 shown]
	s_branch .LBB67_26
.LBB67_36:                              ;   in Loop: Header=BB67_10 Depth=1
	s_add_u32 s6, s10, s6
	s_addc_u32 s7, s11, s7
	s_waitcnt lgkmcnt(0)
.LBB67_37:                              ;   Parent Loop BB67_10 Depth=1
                                        ; =>  This Inner Loop Header: Depth=2
	global_load_dword v3, v2, s[6:7] glc
	s_waitcnt vmcnt(0)
	v_cmp_eq_u32_e32 vcc, 0, v3
	s_cbranch_vccnz .LBB67_37
; %bb.38:                               ;   in Loop: Header=BB67_10 Depth=1
	buffer_wbinvl1_vol
	s_and_saveexec_b64 s[6:7], s[0:1]
	s_cbranch_execz .LBB67_51
; %bb.39:                               ;   in Loop: Header=BB67_10 Depth=1
	s_mul_i32 s41, s31, s44
	v_add_u32_e32 v3, s41, v1
	v_mul_lo_u32 v9, v3, s44
	s_mov_b64 s[30:31], 0
	v_mov_b32_e32 v10, v24
	v_mov_b32_e32 v11, v0
	s_branch .LBB67_41
.LBB67_40:                              ;   in Loop: Header=BB67_41 Depth=2
	s_or_b64 exec, exec, s[36:37]
	v_add_u32_e32 v11, 4, v11
	v_cmp_le_i32_e32 vcc, s44, v11
	s_waitcnt vmcnt(0)
	ds_write_b128 v10, v[3:6]
	s_or_b64 s[30:31], vcc, s[30:31]
	v_add_u32_e32 v10, 64, v10
	s_andn2_b64 exec, exec, s[30:31]
	s_cbranch_execz .LBB67_51
.LBB67_41:                              ;   Parent Loop BB67_10 Depth=1
                                        ; =>  This Inner Loop Header: Depth=2
	s_and_b64 vcc, exec, s[24:25]
	s_cbranch_vccz .LBB67_45
; %bb.42:                               ;   in Loop: Header=BB67_41 Depth=2
	s_mov_b64 s[36:37], 0
	s_mov_b64 s[34:35], 0
                                        ; implicit-def: $vgpr7
	s_and_saveexec_b64 s[38:39], s[2:3]
	s_xor_b64 s[38:39], exec, s[38:39]
; %bb.43:                               ;   in Loop: Header=BB67_41 Depth=2
	v_add_u32_e32 v3, s41, v11
	s_mov_b64 s[34:35], exec
	v_mad_u64_u32 v[7:8], s[42:43], v3, s44, v[1:2]
; %bb.44:                               ;   in Loop: Header=BB67_41 Depth=2
	s_or_b64 exec, exec, s[38:39]
	s_and_b64 vcc, exec, s[36:37]
	s_cbranch_vccnz .LBB67_46
	s_branch .LBB67_49
.LBB67_45:                              ;   in Loop: Header=BB67_41 Depth=2
	s_mov_b64 s[34:35], 0
                                        ; implicit-def: $vgpr7
	s_cbranch_execz .LBB67_49
.LBB67_46:                              ;   in Loop: Header=BB67_41 Depth=2
                                        ; implicit-def: $vgpr7
	s_and_saveexec_b64 s[36:37], s[2:3]
; %bb.47:                               ;   in Loop: Header=BB67_41 Depth=2
	v_add_u32_e32 v7, v9, v11
	s_or_b64 s[34:35], s[34:35], exec
; %bb.48:                               ;   in Loop: Header=BB67_41 Depth=2
	s_or_b64 exec, exec, s[36:37]
.LBB67_49:                              ;   in Loop: Header=BB67_41 Depth=2
	v_mov_b32_e32 v3, 0
	v_mov_b32_e32 v5, 0
	;; [unrolled: 1-line block ×4, first 2 shown]
	s_and_saveexec_b64 s[36:37], s[34:35]
	s_cbranch_execz .LBB67_40
; %bb.50:                               ;   in Loop: Header=BB67_41 Depth=2
	v_ashrrev_i32_e32 v8, 31, v7
	v_lshlrev_b64 v[3:4], 4, v[7:8]
	v_mov_b32_e32 v5, s23
	v_add_co_u32_e32 v3, vcc, s22, v3
	v_addc_co_u32_e32 v4, vcc, v5, v4, vcc
	global_load_dwordx4 v[3:6], v[3:4], off
	s_branch .LBB67_40
.LBB67_51:                              ;   in Loop: Header=BB67_10 Depth=1
	s_or_b64 exec, exec, s[6:7]
	s_cmp_lt_i32 s40, 2
	s_cbranch_scc1 .LBB67_67
; %bb.52:                               ;   in Loop: Header=BB67_10 Depth=1
	s_add_i32 s36, s40, -2
	s_mov_b32 s37, 0
	s_branch .LBB67_54
.LBB67_53:                              ;   in Loop: Header=BB67_54 Depth=2
	s_or_b64 exec, exec, s[6:7]
	s_add_i32 s6, s37, 1
	s_cmp_eq_u32 s37, s36
	s_mov_b32 s37, s6
	s_cbranch_scc1 .LBB67_67
.LBB67_54:                              ;   Parent Loop BB67_10 Depth=1
                                        ; =>  This Loop Header: Depth=2
                                        ;       Child Loop BB67_56 Depth 3
	s_and_saveexec_b64 s[6:7], s[0:1]
	s_cbranch_execz .LBB67_53
; %bb.55:                               ;   in Loop: Header=BB67_54 Depth=2
	s_lshl_b32 s30, s37, 2
	v_mov_b32_e32 v3, s30
	v_add_u32_e32 v3, 0x4400, v3
	ds_read2_b32 v[3:4], v3 offset1:32
	s_mov_b64 s[30:31], 0
	v_mov_b32_e32 v36, v0
	s_waitcnt lgkmcnt(0)
	v_add_u32_e32 v32, v4, v23
	v_add_u32_e32 v33, v1, v4
	;; [unrolled: 1-line block ×4, first 2 shown]
.LBB67_56:                              ;   Parent Loop BB67_10 Depth=1
                                        ;     Parent Loop BB67_54 Depth=2
                                        ; =>    This Inner Loop Header: Depth=3
	v_mov_b32_e32 v15, 0
	v_mov_b32_e32 v17, 0
	;; [unrolled: 1-line block ×3, first 2 shown]
	s_mov_b32 s38, 0
	v_mov_b32_e32 v11, v34
	v_mov_b32_e32 v18, 0
	;; [unrolled: 1-line block ×3, first 2 shown]
	s_and_b64 vcc, exec, s[24:25]
	s_cbranch_vccnz .LBB67_59
	s_branch .LBB67_58
.LBB67_57:                              ;   in Loop: Header=BB67_56 Depth=3
	v_mov_b32_e32 v16, v4
	v_mov_b32_e32 v18, v6
	;; [unrolled: 1-line block ×4, first 2 shown]
	s_and_b64 vcc, exec, s[24:25]
	s_cbranch_vccnz .LBB67_59
.LBB67_58:                              ;   in Loop: Header=BB67_56 Depth=3
                                        ; implicit-def: $vgpr3_vgpr4
                                        ; implicit-def: $vgpr5_vgpr6
	s_cbranch_execz .LBB67_65
	s_branch .LBB67_62
.LBB67_59:                              ;   in Loop: Header=BB67_56 Depth=3
	v_ashrrev_i32_e32 v12, 31, v11
	v_lshlrev_b64 v[3:4], 4, v[11:12]
	v_mov_b32_e32 v5, s23
	v_add_co_u32_e32 v3, vcc, s22, v3
	v_addc_co_u32_e32 v4, vcc, v5, v4, vcc
	global_load_dwordx4 v[3:6], v[3:4], off
	v_mov_b32_e32 v7, 0
	v_mov_b32_e32 v9, 0
	;; [unrolled: 1-line block ×4, first 2 shown]
	s_and_saveexec_b64 s[34:35], s[2:3]
	s_cbranch_execz .LBB67_61
; %bb.60:                               ;   in Loop: Header=BB67_56 Depth=3
	v_ashrrev_i32_e32 v14, 31, v13
	v_lshlrev_b64 v[7:8], 4, v[13:14]
	v_mov_b32_e32 v9, s23
	v_add_co_u32_e32 v7, vcc, s22, v7
	v_addc_co_u32_e32 v8, vcc, v9, v8, vcc
	global_load_dwordx4 v[7:10], v[7:8], off
.LBB67_61:                              ;   in Loop: Header=BB67_56 Depth=3
	s_or_b64 exec, exec, s[34:35]
	s_waitcnt vmcnt(0)
	v_fma_f64 v[37:38], v[3:4], v[7:8], v[17:18]
	v_fma_f64 v[7:8], v[5:6], v[7:8], v[15:16]
	;; [unrolled: 1-line block ×3, first 2 shown]
	v_fma_f64 v[3:4], v[3:4], -v[9:10], v[7:8]
	s_branch .LBB67_65
.LBB67_62:                              ;   in Loop: Header=BB67_56 Depth=3
	v_add_u32_e32 v3, s38, v35
	v_ashrrev_i32_e32 v4, 31, v3
	v_lshlrev_b64 v[3:4], 4, v[3:4]
	v_mov_b32_e32 v5, s23
	v_add_co_u32_e32 v3, vcc, s22, v3
	v_addc_co_u32_e32 v4, vcc, v5, v4, vcc
	global_load_dwordx4 v[3:6], v[3:4], off
	v_mov_b32_e32 v7, 0
	v_mov_b32_e32 v9, 0
	;; [unrolled: 1-line block ×4, first 2 shown]
	s_and_saveexec_b64 s[34:35], s[2:3]
	s_cbranch_execz .LBB67_64
; %bb.63:                               ;   in Loop: Header=BB67_56 Depth=3
	v_add_u32_e32 v7, s38, v32
	v_ashrrev_i32_e32 v8, 31, v7
	v_lshlrev_b64 v[7:8], 4, v[7:8]
	v_mov_b32_e32 v9, s23
	v_add_co_u32_e32 v7, vcc, s22, v7
	v_addc_co_u32_e32 v8, vcc, v9, v8, vcc
	global_load_dwordx4 v[7:10], v[7:8], off
.LBB67_64:                              ;   in Loop: Header=BB67_56 Depth=3
	s_or_b64 exec, exec, s[34:35]
	s_waitcnt vmcnt(0)
	v_fma_f64 v[17:18], v[3:4], v[7:8], v[17:18]
	v_fma_f64 v[7:8], v[5:6], v[7:8], v[15:16]
	;; [unrolled: 1-line block ×3, first 2 shown]
	v_fma_f64 v[3:4], v[3:4], -v[9:10], v[7:8]
.LBB67_65:                              ;   in Loop: Header=BB67_56 Depth=3
	s_add_i32 s38, s38, 1
	v_add_u32_e32 v13, s44, v13
	s_cmp_eq_u32 s44, s38
	v_add_u32_e32 v11, s44, v11
	s_cbranch_scc0 .LBB67_57
; %bb.66:                               ;   in Loop: Header=BB67_56 Depth=3
	v_lshl_add_u32 v11, v36, 4, v22
	ds_read_b128 v[7:10], v11
	v_add_u32_e32 v36, 4, v36
	v_cmp_le_i32_e32 vcc, s44, v36
	v_add_u32_e32 v34, 4, v34
	s_or_b64 s[30:31], vcc, s[30:31]
	s_waitcnt lgkmcnt(0)
	v_add_f64 v[5:6], v[5:6], v[7:8]
	v_add_f64 v[7:8], v[3:4], v[9:10]
	v_add_u32_e32 v35, s48, v35
	ds_write_b128 v11, v[5:8]
	s_andn2_b64 exec, exec, s[30:31]
	s_cbranch_execnz .LBB67_56
	s_branch .LBB67_53
.LBB67_67:                              ;   in Loop: Header=BB67_10 Depth=1
	s_andn2_b64 vcc, exec, s[26:27]
	s_waitcnt lgkmcnt(0)
	s_cbranch_vccnz .LBB67_79
; %bb.68:                               ;   in Loop: Header=BB67_10 Depth=1
	s_mov_b32 s34, 0
	v_mov_b32_e32 v15, v29
	s_mov_b32 s35, 0
	s_branch .LBB67_70
.LBB67_69:                              ;   in Loop: Header=BB67_70 Depth=2
	s_or_b64 exec, exec, s[6:7]
	s_add_i32 s35, s35, 1
	s_addk_i32 s34, 0x110
	s_cmp_eq_u32 s35, s44
	v_add_u32_e32 v15, 16, v15
	s_waitcnt lgkmcnt(0)
	s_cbranch_scc1 .LBB67_79
.LBB67_70:                              ;   Parent Loop BB67_10 Depth=1
                                        ; =>  This Loop Header: Depth=2
                                        ;       Child Loop BB67_75 Depth 3
                                        ;       Child Loop BB67_78 Depth 3
	s_lshl_b32 s30, s35, 4
	s_mul_i32 s6, s35, 0x110
	s_add_i32 s6, s6, s30
	v_mov_b32_e32 v3, s6
	ds_read_b128 v[7:10], v3
	v_add_u32_e32 v16, s30, v21
	ds_read_b128 v[3:6], v16
	s_waitcnt lgkmcnt(1)
	v_cmp_neq_f64_e32 vcc, 0, v[7:8]
	v_cmp_neq_f64_e64 s[6:7], 0, v[9:10]
	s_or_b64 vcc, vcc, s[6:7]
	v_cndmask_b32_e32 v12, v31, v8, vcc
	s_nor_b64 s[30:31], vcc, s[4:5]
	v_cndmask_b32_e32 v11, 0, v7, vcc
	v_cndmask_b32_e32 v14, 0, v10, vcc
	v_cndmask_b32_e32 v13, 0, v9, vcc
	s_and_saveexec_b64 s[6:7], s[30:31]
	s_cbranch_execz .LBB67_74
; %bb.71:                               ;   in Loop: Header=BB67_70 Depth=2
	v_mbcnt_lo_u32_b32 v7, exec_lo, 0
	v_mbcnt_hi_u32_b32 v7, exec_hi, v7
	v_cmp_eq_u32_e32 vcc, 0, v7
	s_and_saveexec_b64 s[30:31], vcc
	s_cbranch_execz .LBB67_73
; %bb.72:                               ;   in Loop: Header=BB67_70 Depth=2
	v_mov_b32_e32 v7, s49
	global_atomic_smin v2, v7, s[14:15]
.LBB67_73:                              ;   in Loop: Header=BB67_70 Depth=2
	s_or_b64 exec, exec, s[30:31]
	v_mov_b32_e32 v13, 0
	v_mov_b32_e32 v11, 0
	;; [unrolled: 1-line block ×4, first 2 shown]
.LBB67_74:                              ;   in Loop: Header=BB67_70 Depth=2
	s_or_b64 exec, exec, s[6:7]
	v_lshl_add_u32 v7, s35, 4, v22
	ds_read_b128 v[7:10], v7
	s_cmp_eq_u32 s35, 0
	v_mov_b32_e32 v17, v21
	s_mov_b32 s6, s34
	s_mov_b32 s7, s35
	s_cbranch_scc1 .LBB67_76
.LBB67_75:                              ;   Parent Loop BB67_10 Depth=1
                                        ;     Parent Loop BB67_70 Depth=2
                                        ; =>    This Inner Loop Header: Depth=3
	v_mov_b32_e32 v18, s6
	ds_read_b128 v[32:35], v17
	ds_read_b128 v[36:39], v18
	s_add_i32 s7, s7, -1
	s_add_i32 s6, s6, 16
	s_cmp_eq_u32 s7, 0
	v_add_u32_e32 v17, 16, v17
	s_waitcnt lgkmcnt(0)
	v_fma_f64 v[7:8], v[36:37], v[32:33], v[7:8]
	v_fma_f64 v[9:10], v[38:39], v[32:33], v[9:10]
	;; [unrolled: 1-line block ×3, first 2 shown]
	v_fma_f64 v[9:10], v[36:37], -v[34:35], v[9:10]
	s_cbranch_scc0 .LBB67_75
.LBB67_76:                              ;   in Loop: Header=BB67_70 Depth=2
	v_mul_f64 v[17:18], v[13:14], v[13:14]
	s_waitcnt lgkmcnt(0)
	v_add_f64 v[5:6], v[5:6], -v[9:10]
	v_add_f64 v[3:4], v[3:4], -v[7:8]
	v_fma_f64 v[17:18], v[11:12], v[11:12], v[17:18]
	v_mul_f64 v[7:8], v[13:14], v[5:6]
	v_mul_f64 v[13:14], v[13:14], -v[3:4]
	v_div_scale_f64 v[32:33], s[6:7], v[17:18], v[17:18], 1.0
	v_fma_f64 v[3:4], v[3:4], v[11:12], v[7:8]
	v_fma_f64 v[5:6], v[5:6], v[11:12], v[13:14]
	v_rcp_f64_e32 v[34:35], v[32:33]
	v_fma_f64 v[36:37], -v[32:33], v[34:35], 1.0
	v_fma_f64 v[34:35], v[34:35], v[36:37], v[34:35]
	v_div_scale_f64 v[36:37], vcc, 1.0, v[17:18], 1.0
	v_fma_f64 v[38:39], -v[32:33], v[34:35], 1.0
	v_fma_f64 v[34:35], v[34:35], v[38:39], v[34:35]
	v_mul_f64 v[38:39], v[36:37], v[34:35]
	v_fma_f64 v[32:33], -v[32:33], v[38:39], v[36:37]
	v_div_fmas_f64 v[9:10], v[32:33], v[34:35], v[38:39]
	v_div_fixup_f64 v[7:8], v[9:10], v[17:18], 1.0
	v_mul_f64 v[3:4], v[7:8], v[3:4]
	v_mul_f64 v[5:6], v[7:8], v[5:6]
	ds_write_b128 v16, v[3:6]
	s_waitcnt lgkmcnt(0)
	s_and_saveexec_b64 s[6:7], s[0:1]
	s_cbranch_execz .LBB67_69
; %bb.77:                               ;   in Loop: Header=BB67_70 Depth=2
	s_mov_b64 s[30:31], 0
	v_mov_b32_e32 v7, v15
	v_mov_b32_e32 v8, v28
	;; [unrolled: 1-line block ×3, first 2 shown]
.LBB67_78:                              ;   Parent Loop BB67_10 Depth=1
                                        ;     Parent Loop BB67_70 Depth=2
                                        ; =>    This Inner Loop Header: Depth=3
	ds_read_b128 v[10:13], v7
	ds_read_b128 v[32:35], v8
	v_add_u32_e32 v9, 4, v9
	v_cmp_le_i32_e32 vcc, s44, v9
	s_or_b64 s[30:31], vcc, s[30:31]
	v_add_u32_e32 v7, 0x440, v7
	s_waitcnt lgkmcnt(0)
	v_fma_f64 v[16:17], v[3:4], v[10:11], v[32:33]
	v_fma_f64 v[32:33], v[5:6], v[10:11], v[34:35]
	;; [unrolled: 1-line block ×3, first 2 shown]
	v_fma_f64 v[12:13], v[3:4], -v[12:13], v[32:33]
	ds_write_b128 v8, v[10:13]
	v_add_u32_e32 v8, 64, v8
	s_andn2_b64 exec, exec, s[30:31]
	s_cbranch_execnz .LBB67_78
	s_branch .LBB67_69
.LBB67_79:                              ;   in Loop: Header=BB67_10 Depth=1
	s_and_saveexec_b64 s[6:7], s[0:1]
	s_cbranch_execz .LBB67_9
; %bb.80:                               ;   in Loop: Header=BB67_10 Depth=1
	s_mov_b64 s[30:31], 0
	v_mov_b32_e32 v5, v30
	v_mov_b32_e32 v6, v0
	s_branch .LBB67_84
.LBB67_81:                              ;   in Loop: Header=BB67_84 Depth=2
	v_add_u32_e32 v3, v27, v6
.LBB67_82:                              ;   in Loop: Header=BB67_84 Depth=2
	v_ashrrev_i32_e32 v4, 31, v3
	ds_read2_b64 v[7:10], v5 offset1:1
	v_lshlrev_b64 v[3:4], 4, v[3:4]
	v_mov_b32_e32 v11, s23
	v_add_co_u32_e32 v3, vcc, s22, v3
	v_addc_co_u32_e32 v4, vcc, v11, v4, vcc
	s_waitcnt lgkmcnt(0)
	global_store_dwordx4 v[3:4], v[7:10], off
.LBB67_83:                              ;   in Loop: Header=BB67_84 Depth=2
	s_or_b64 exec, exec, s[34:35]
	v_add_u32_e32 v6, 4, v6
	v_cmp_le_i32_e32 vcc, s44, v6
	s_or_b64 s[30:31], vcc, s[30:31]
	v_add_u32_e32 v5, 64, v5
	s_andn2_b64 exec, exec, s[30:31]
	s_cbranch_execz .LBB67_9
.LBB67_84:                              ;   Parent Loop BB67_10 Depth=1
                                        ; =>  This Inner Loop Header: Depth=2
	s_and_saveexec_b64 s[34:35], s[2:3]
	s_cbranch_execz .LBB67_83
; %bb.85:                               ;   in Loop: Header=BB67_84 Depth=2
	s_and_b64 vcc, exec, s[24:25]
	s_cbranch_vccz .LBB67_87
; %bb.86:                               ;   in Loop: Header=BB67_84 Depth=2
	v_add_u32_e32 v3, s29, v6
	v_mad_u64_u32 v[3:4], s[36:37], v3, s44, v[1:2]
	s_cbranch_execnz .LBB67_82
	s_branch .LBB67_81
.LBB67_87:                              ;   in Loop: Header=BB67_84 Depth=2
                                        ; implicit-def: $vgpr3
	s_branch .LBB67_81
.LBB67_88:                              ;   in Loop: Header=BB67_10 Depth=1
                                        ; implicit-def: $sgpr28
                                        ; implicit-def: $vgpr27
	s_cbranch_execz .LBB67_10
.LBB67_89:
	v_cmp_gt_i32_e64 s[0:1], s44, v0
	s_and_saveexec_b64 s[4:5], s[0:1]
	s_cbranch_execz .LBB67_102
; %bb.90:
	s_mul_i32 s26, s33, s44
	v_add_u32_e32 v2, s26, v1
	v_mul_lo_u32 v8, v2, s44
	s_cmp_lg_u32 s45, 0
	v_mul_u32_u24_e32 v2, 0x110, v1
	s_movk_i32 s8, 0x2200
	s_cselect_b64 s[6:7], -1, 0
	v_cmp_gt_i32_e64 s[2:3], s44, v1
	v_add3_u32 v9, v2, v19, s8
	s_mov_b64 s[8:9], 0
	v_mov_b32_e32 v10, v0
	s_branch .LBB67_92
.LBB67_91:                              ;   in Loop: Header=BB67_92 Depth=1
	s_or_b64 exec, exec, s[18:19]
	v_add_u32_e32 v10, 4, v10
	v_cmp_le_i32_e32 vcc, s44, v10
	s_waitcnt vmcnt(0)
	ds_write_b128 v9, v[2:5]
	s_or_b64 s[8:9], vcc, s[8:9]
	v_add_u32_e32 v9, 64, v9
	s_andn2_b64 exec, exec, s[8:9]
	s_cbranch_execz .LBB67_102
.LBB67_92:                              ; =>This Inner Loop Header: Depth=1
	s_and_b64 vcc, exec, s[6:7]
	s_cbranch_vccz .LBB67_96
; %bb.93:                               ;   in Loop: Header=BB67_92 Depth=1
	s_mov_b64 s[18:19], 0
	s_mov_b64 s[16:17], 0
                                        ; implicit-def: $vgpr6
	s_and_saveexec_b64 s[24:25], s[2:3]
	s_xor_b64 s[24:25], exec, s[24:25]
; %bb.94:                               ;   in Loop: Header=BB67_92 Depth=1
	v_add_u32_e32 v2, s26, v10
	s_mov_b64 s[16:17], exec
	v_mad_u64_u32 v[6:7], s[28:29], v2, s44, v[1:2]
; %bb.95:                               ;   in Loop: Header=BB67_92 Depth=1
	s_or_b64 exec, exec, s[24:25]
	s_and_b64 vcc, exec, s[18:19]
	s_cbranch_vccnz .LBB67_97
	s_branch .LBB67_100
.LBB67_96:                              ;   in Loop: Header=BB67_92 Depth=1
	s_mov_b64 s[16:17], 0
                                        ; implicit-def: $vgpr6
	s_cbranch_execz .LBB67_100
.LBB67_97:                              ;   in Loop: Header=BB67_92 Depth=1
                                        ; implicit-def: $vgpr6
	s_and_saveexec_b64 s[18:19], s[2:3]
; %bb.98:                               ;   in Loop: Header=BB67_92 Depth=1
	v_add_u32_e32 v6, v8, v10
	s_or_b64 s[16:17], s[16:17], exec
; %bb.99:                               ;   in Loop: Header=BB67_92 Depth=1
	s_or_b64 exec, exec, s[18:19]
.LBB67_100:                             ;   in Loop: Header=BB67_92 Depth=1
	v_mov_b32_e32 v2, 0
	v_mov_b32_e32 v4, 0
	;; [unrolled: 1-line block ×4, first 2 shown]
	s_and_saveexec_b64 s[18:19], s[16:17]
	s_cbranch_execz .LBB67_91
; %bb.101:                              ;   in Loop: Header=BB67_92 Depth=1
	v_ashrrev_i32_e32 v7, 31, v6
	v_lshlrev_b64 v[2:3], 4, v[6:7]
	v_mov_b32_e32 v4, s23
	v_add_co_u32_e32 v2, vcc, s22, v2
	v_addc_co_u32_e32 v3, vcc, v4, v3, vcc
	global_load_dwordx4 v[2:5], v[2:3], off
	s_branch .LBB67_91
.LBB67_102:
	s_or_b64 exec, exec, s[4:5]
	s_cmp_lt_i32 s44, 1
	s_waitcnt lgkmcnt(0)
	s_cbranch_scc1 .LBB67_121
; %bb.103:
	v_or_b32_e32 v4, v0, v1
	s_movk_i32 s4, 0x110
	v_mov_b32_e32 v2, 0x2200
	v_cmp_ne_u32_e64 s[2:3], 0, v4
	v_mov_b32_e32 v4, 0x3300
	v_mad_u32_u24 v11, v1, s4, v2
	v_mul_u32_u24_e32 v3, 0x110, v1
	s_movk_i32 s5, 0x3300
	v_mad_u32_u24 v12, v1, s4, v4
	s_mov_b32 s6, 0
	s_mov_b32 s18, 0
	s_add_i32 s19, s20, s21
	v_add_u32_e32 v13, v11, v20
	v_add_u32_e32 v14, v12, v20
	v_add3_u32 v15, v3, v19, s5
	v_mad_u32_u24 v16, v0, s4, v2
	s_brev_b32 s7, 8
	v_mov_b32_e32 v17, 0x260
	v_mov_b32_e32 v4, 0
	;; [unrolled: 1-line block ×5, first 2 shown]
	s_branch .LBB67_105
.LBB67_104:                             ;   in Loop: Header=BB67_105 Depth=1
	s_or_b64 exec, exec, s[4:5]
	s_add_i32 s18, s18, 1
	s_cmp_eq_u32 s18, s44
	v_add_u32_e32 v16, 16, v16
	s_waitcnt lgkmcnt(0)
	s_cbranch_scc1 .LBB67_121
.LBB67_105:                             ; =>This Loop Header: Depth=1
                                        ;     Child Loop BB67_120 Depth 2
	v_cmp_eq_u32_e32 vcc, s18, v1
	s_and_saveexec_b64 s[4:5], vcc
	s_cbranch_execz .LBB67_113
; %bb.106:                              ;   in Loop: Header=BB67_105 Depth=1
	ds_read_b128 v[5:8], v14
	ds_read_b128 v[22:25], v13
	s_waitcnt lgkmcnt(0)
	v_add_f64 v[2:3], v[22:23], -v[5:6]
	v_add_f64 v[9:10], v[24:25], -v[7:8]
                                        ; implicit-def: $vgpr7_vgpr8
	v_cmp_gt_f64_e32 vcc, 0, v[2:3]
	v_xor_b32_e32 v5, 0x80000000, v3
	v_xor_b32_e32 v6, 0x80000000, v10
	v_cndmask_b32_e32 v3, v3, v5, vcc
	v_cmp_gt_f64_e32 vcc, 0, v[9:10]
	v_mov_b32_e32 v5, v9
	v_cndmask_b32_e32 v6, v10, v6, vcc
	v_cmp_ngt_f64_e32 vcc, v[2:3], v[5:6]
	s_and_saveexec_b64 s[8:9], vcc
	s_xor_b64 s[8:9], exec, s[8:9]
	s_cbranch_execz .LBB67_110
; %bb.107:                              ;   in Loop: Header=BB67_105 Depth=1
	v_cmp_neq_f64_e32 vcc, 0, v[9:10]
	v_mov_b32_e32 v7, 0
	v_mov_b32_e32 v8, 0
	s_and_saveexec_b64 s[16:17], vcc
	s_cbranch_execz .LBB67_109
; %bb.108:                              ;   in Loop: Header=BB67_105 Depth=1
	v_div_scale_f64 v[7:8], s[24:25], v[5:6], v[5:6], v[2:3]
	v_rcp_f64_e32 v[9:10], v[7:8]
	v_fma_f64 v[22:23], -v[7:8], v[9:10], 1.0
	v_fma_f64 v[9:10], v[9:10], v[22:23], v[9:10]
	v_div_scale_f64 v[22:23], vcc, v[2:3], v[5:6], v[2:3]
	v_fma_f64 v[24:25], -v[7:8], v[9:10], 1.0
	v_fma_f64 v[9:10], v[9:10], v[24:25], v[9:10]
	v_mul_f64 v[24:25], v[22:23], v[9:10]
	v_fma_f64 v[7:8], -v[7:8], v[24:25], v[22:23]
	v_div_fmas_f64 v[7:8], v[7:8], v[9:10], v[24:25]
	v_div_fixup_f64 v[2:3], v[7:8], v[5:6], v[2:3]
	v_fma_f64 v[2:3], v[2:3], v[2:3], 1.0
	v_cmp_gt_f64_e32 vcc, s[6:7], v[2:3]
	v_cndmask_b32_e32 v7, 0, v20, vcc
	v_ldexp_f64 v[2:3], v[2:3], v7
	v_rsq_f64_e32 v[7:8], v[2:3]
	v_mul_f64 v[9:10], v[2:3], v[7:8]
	v_mul_f64 v[7:8], v[7:8], 0.5
	v_fma_f64 v[22:23], -v[7:8], v[9:10], 0.5
	v_fma_f64 v[9:10], v[9:10], v[22:23], v[9:10]
	v_fma_f64 v[7:8], v[7:8], v[22:23], v[7:8]
	v_fma_f64 v[22:23], -v[9:10], v[9:10], v[2:3]
	v_fma_f64 v[9:10], v[22:23], v[7:8], v[9:10]
	v_fma_f64 v[22:23], -v[9:10], v[9:10], v[2:3]
	v_fma_f64 v[7:8], v[22:23], v[7:8], v[9:10]
	v_cndmask_b32_e32 v9, 0, v21, vcc
	v_cmp_class_f64_e32 vcc, v[2:3], v17
	v_ldexp_f64 v[7:8], v[7:8], v9
	v_cndmask_b32_e32 v3, v8, v3, vcc
	v_cndmask_b32_e32 v2, v7, v2, vcc
	v_mul_f64 v[7:8], v[5:6], v[2:3]
.LBB67_109:                             ;   in Loop: Header=BB67_105 Depth=1
	s_or_b64 exec, exec, s[16:17]
                                        ; implicit-def: $vgpr2_vgpr3
                                        ; implicit-def: $vgpr5_vgpr6
.LBB67_110:                             ;   in Loop: Header=BB67_105 Depth=1
	s_andn2_saveexec_b64 s[8:9], s[8:9]
	s_cbranch_execz .LBB67_112
; %bb.111:                              ;   in Loop: Header=BB67_105 Depth=1
	v_div_scale_f64 v[7:8], s[16:17], v[2:3], v[2:3], v[5:6]
	v_rcp_f64_e32 v[9:10], v[7:8]
	v_fma_f64 v[22:23], -v[7:8], v[9:10], 1.0
	v_fma_f64 v[9:10], v[9:10], v[22:23], v[9:10]
	v_div_scale_f64 v[22:23], vcc, v[5:6], v[2:3], v[5:6]
	v_fma_f64 v[24:25], -v[7:8], v[9:10], 1.0
	v_fma_f64 v[9:10], v[9:10], v[24:25], v[9:10]
	v_mul_f64 v[24:25], v[22:23], v[9:10]
	v_fma_f64 v[7:8], -v[7:8], v[24:25], v[22:23]
	v_div_fmas_f64 v[7:8], v[7:8], v[9:10], v[24:25]
	v_div_fixup_f64 v[5:6], v[7:8], v[2:3], v[5:6]
	v_fma_f64 v[5:6], v[5:6], v[5:6], 1.0
	v_cmp_gt_f64_e32 vcc, s[6:7], v[5:6]
	v_cndmask_b32_e32 v7, 0, v20, vcc
	v_ldexp_f64 v[5:6], v[5:6], v7
	v_rsq_f64_e32 v[7:8], v[5:6]
	v_mul_f64 v[9:10], v[5:6], v[7:8]
	v_mul_f64 v[7:8], v[7:8], 0.5
	v_fma_f64 v[22:23], -v[7:8], v[9:10], 0.5
	v_fma_f64 v[9:10], v[9:10], v[22:23], v[9:10]
	v_fma_f64 v[7:8], v[7:8], v[22:23], v[7:8]
	v_fma_f64 v[22:23], -v[9:10], v[9:10], v[5:6]
	v_fma_f64 v[9:10], v[22:23], v[7:8], v[9:10]
	v_fma_f64 v[22:23], -v[9:10], v[9:10], v[5:6]
	v_fma_f64 v[7:8], v[22:23], v[7:8], v[9:10]
	v_cndmask_b32_e32 v9, 0, v21, vcc
	v_cmp_class_f64_e32 vcc, v[5:6], v17
	v_ldexp_f64 v[7:8], v[7:8], v9
	v_cndmask_b32_e32 v6, v8, v6, vcc
	v_cndmask_b32_e32 v5, v7, v5, vcc
	v_mul_f64 v[7:8], v[2:3], v[5:6]
.LBB67_112:                             ;   in Loop: Header=BB67_105 Depth=1
	s_or_b64 exec, exec, s[8:9]
	v_cmp_gt_f64_e32 vcc, s[6:7], v[7:8]
	v_cndmask_b32_e32 v2, 0, v20, vcc
	v_ldexp_f64 v[2:3], v[7:8], v2
	v_rsq_f64_e32 v[5:6], v[2:3]
	v_mul_f64 v[7:8], v[2:3], v[5:6]
	v_mul_f64 v[5:6], v[5:6], 0.5
	v_fma_f64 v[9:10], -v[5:6], v[7:8], 0.5
	v_fma_f64 v[7:8], v[7:8], v[9:10], v[7:8]
	v_fma_f64 v[5:6], v[5:6], v[9:10], v[5:6]
	v_fma_f64 v[9:10], -v[7:8], v[7:8], v[2:3]
	v_fma_f64 v[7:8], v[9:10], v[5:6], v[7:8]
	v_fma_f64 v[9:10], -v[7:8], v[7:8], v[2:3]
	v_fma_f64 v[5:6], v[9:10], v[5:6], v[7:8]
	v_cndmask_b32_e32 v7, 0, v21, vcc
	v_cmp_class_f64_e32 vcc, v[2:3], v17
	v_ldexp_f64 v[5:6], v[5:6], v7
	v_cndmask_b32_e32 v3, v6, v3, vcc
	v_cndmask_b32_e32 v2, v5, v2, vcc
	v_mov_b32_e32 v5, v4
	ds_write_b128 v13, v[2:5]
.LBB67_113:                             ;   in Loop: Header=BB67_105 Depth=1
	s_or_b64 exec, exec, s[4:5]
	s_lshl_b32 s8, s18, 4
	s_mul_i32 s4, s18, 0x110
	s_add_i32 s4, s4, s8
	v_mov_b32_e32 v2, s4
	s_waitcnt lgkmcnt(0)
	ds_read_b128 v[23:26], v2 offset:8704
	v_add_u32_e32 v22, s8, v11
	ds_read_b128 v[5:8], v22
	s_waitcnt lgkmcnt(1)
	v_cmp_neq_f64_e32 vcc, 0, v[23:24]
	v_cmp_neq_f64_e64 s[4:5], 0, v[25:26]
	s_or_b64 vcc, vcc, s[4:5]
	v_cndmask_b32_e32 v3, 0, v26, vcc
	s_nor_b64 s[8:9], vcc, s[2:3]
	v_cndmask_b32_e32 v2, 0, v25, vcc
	v_cndmask_b32_e32 v10, v18, v24, vcc
	;; [unrolled: 1-line block ×3, first 2 shown]
	s_and_saveexec_b64 s[4:5], s[8:9]
	s_cbranch_execz .LBB67_117
; %bb.114:                              ;   in Loop: Header=BB67_105 Depth=1
	v_mbcnt_lo_u32_b32 v2, exec_lo, 0
	v_mbcnt_hi_u32_b32 v2, exec_hi, v2
	v_cmp_eq_u32_e32 vcc, 0, v2
	s_and_saveexec_b64 s[8:9], vcc
	s_cbranch_execz .LBB67_116
; %bb.115:                              ;   in Loop: Header=BB67_105 Depth=1
	v_mov_b32_e32 v2, s19
	global_atomic_smin v4, v2, s[14:15]
.LBB67_116:                             ;   in Loop: Header=BB67_105 Depth=1
	s_or_b64 exec, exec, s[8:9]
	v_mov_b32_e32 v9, 0
	v_mov_b32_e32 v2, 0
	;; [unrolled: 1-line block ×4, first 2 shown]
.LBB67_117:                             ;   in Loop: Header=BB67_105 Depth=1
	s_or_b64 exec, exec, s[4:5]
	v_cmp_lt_u32_e32 vcc, s18, v1
	s_and_saveexec_b64 s[4:5], vcc
	s_cbranch_execz .LBB67_104
; %bb.118:                              ;   in Loop: Header=BB67_105 Depth=1
	v_mul_f64 v[23:24], v[2:3], v[2:3]
	v_fma_f64 v[27:28], v[9:10], v[9:10], v[23:24]
	v_div_scale_f64 v[23:24], s[8:9], v[27:28], v[27:28], 1.0
	v_rcp_f64_e32 v[25:26], v[23:24]
	v_fma_f64 v[29:30], -v[23:24], v[25:26], 1.0
	v_fma_f64 v[25:26], v[25:26], v[29:30], v[25:26]
	v_div_scale_f64 v[29:30], vcc, 1.0, v[27:28], 1.0
	v_fma_f64 v[31:32], -v[23:24], v[25:26], 1.0
	v_fma_f64 v[31:32], v[25:26], v[31:32], v[25:26]
	v_lshl_add_u32 v25, s18, 4, v12
	v_mul_f64 v[33:34], v[29:30], v[31:32]
	v_fma_f64 v[29:30], -v[23:24], v[33:34], v[29:30]
	ds_read_b128 v[23:26], v25
	s_waitcnt lgkmcnt(0)
	v_add_f64 v[7:8], v[7:8], -v[25:26]
	v_add_f64 v[5:6], v[5:6], -v[23:24]
	v_div_fmas_f64 v[25:26], v[29:30], v[31:32], v[33:34]
	v_mul_f64 v[23:24], v[2:3], v[7:8]
	v_mul_f64 v[2:3], v[2:3], -v[5:6]
	v_fma_f64 v[5:6], v[5:6], v[9:10], v[23:24]
	v_fma_f64 v[2:3], v[7:8], v[9:10], v[2:3]
	v_div_fixup_f64 v[23:24], v[25:26], v[27:28], 1.0
	v_mul_f64 v[5:6], v[23:24], v[5:6]
	v_mul_f64 v[7:8], v[23:24], v[2:3]
	ds_write_b128 v22, v[5:8]
	s_waitcnt lgkmcnt(0)
	s_and_b64 exec, exec, s[0:1]
	s_cbranch_execz .LBB67_104
; %bb.119:                              ;   in Loop: Header=BB67_105 Depth=1
	s_mov_b64 s[8:9], 0
	v_mov_b32_e32 v2, v16
	v_mov_b32_e32 v3, v15
	;; [unrolled: 1-line block ×3, first 2 shown]
.LBB67_120:                             ;   Parent Loop BB67_105 Depth=1
                                        ; =>  This Inner Loop Header: Depth=2
	ds_read_b128 v[22:25], v2
	ds_read_b128 v[26:29], v3
	v_add_u32_e32 v9, 4, v9
	v_cmp_le_i32_e32 vcc, s44, v9
	s_or_b64 s[8:9], vcc, s[8:9]
	v_add_u32_e32 v2, 0x440, v2
	s_waitcnt lgkmcnt(0)
	v_fma_f64 v[26:27], v[5:6], v[22:23], v[26:27]
	v_fma_f64 v[28:29], v[7:8], v[22:23], v[28:29]
	;; [unrolled: 1-line block ×3, first 2 shown]
	v_fma_f64 v[24:25], v[5:6], -v[24:25], v[28:29]
	ds_write_b128 v3, v[22:25]
	v_add_u32_e32 v3, 64, v3
	s_andn2_b64 exec, exec, s[8:9]
	s_cbranch_execnz .LBB67_120
	s_branch .LBB67_104
.LBB67_121:
	s_and_saveexec_b64 s[2:3], s[0:1]
	s_cbranch_execz .LBB67_130
; %bb.122:
	s_mul_i32 s33, s33, s44
	v_add_u32_e32 v2, s33, v1
	v_mul_lo_u32 v4, v2, s44
	s_cmp_lg_u32 s45, 0
	v_mul_u32_u24_e32 v2, 0x110, v1
	s_movk_i32 s6, 0x2200
	v_cmp_gt_i32_e64 s[0:1], s44, v1
	s_cselect_b64 s[4:5], -1, 0
	v_add3_u32 v5, v2, v19, s6
	s_mov_b64 s[6:7], 0
	v_mov_b32_e32 v6, v0
	s_branch .LBB67_126
.LBB67_123:                             ;   in Loop: Header=BB67_126 Depth=1
	v_add_u32_e32 v2, v4, v6
.LBB67_124:                             ;   in Loop: Header=BB67_126 Depth=1
	v_ashrrev_i32_e32 v3, 31, v2
	ds_read2_b64 v[7:10], v5 offset1:1
	v_lshlrev_b64 v[2:3], 4, v[2:3]
	v_mov_b32_e32 v11, s23
	v_add_co_u32_e32 v2, vcc, s22, v2
	v_addc_co_u32_e32 v3, vcc, v11, v3, vcc
	s_waitcnt lgkmcnt(0)
	global_store_dwordx4 v[2:3], v[7:10], off
.LBB67_125:                             ;   in Loop: Header=BB67_126 Depth=1
	s_or_b64 exec, exec, s[8:9]
	v_add_u32_e32 v6, 4, v6
	v_cmp_le_i32_e32 vcc, s44, v6
	s_or_b64 s[6:7], vcc, s[6:7]
	v_add_u32_e32 v5, 64, v5
	s_andn2_b64 exec, exec, s[6:7]
	s_cbranch_execz .LBB67_130
.LBB67_126:                             ; =>This Inner Loop Header: Depth=1
	s_and_saveexec_b64 s[8:9], s[0:1]
	s_cbranch_execz .LBB67_125
; %bb.127:                              ;   in Loop: Header=BB67_126 Depth=1
	s_and_b64 vcc, exec, s[4:5]
	s_cbranch_vccz .LBB67_129
; %bb.128:                              ;   in Loop: Header=BB67_126 Depth=1
	v_add_u32_e32 v2, s33, v6
	v_mad_u64_u32 v[2:3], s[16:17], v2, s44, v[1:2]
	s_cbranch_execnz .LBB67_124
	s_branch .LBB67_123
.LBB67_129:                             ;   in Loop: Header=BB67_126 Depth=1
                                        ; implicit-def: $vgpr2
	s_branch .LBB67_123
.LBB67_130:
	s_or_b64 exec, exec, s[2:3]
	v_or_b32_e32 v2, v0, v1
	v_cmp_eq_u32_e32 vcc, 0, v2
	s_and_saveexec_b64 s[0:1], vcc
	s_cbranch_execz .LBB67_132
; %bb.131:
	s_add_u32 s2, s10, s12
	s_addc_u32 s3, s11, s13
	v_mov_b32_e32 v2, 0
	v_mov_b32_e32 v3, 1
	s_waitcnt vmcnt(0)
	global_store_dword v2, v3, s[2:3]
.LBB67_132:
	s_or_b64 exec, exec, s[0:1]
.LBB67_133:
	s_endpgm
.LBB67_134:
	s_cbranch_execz .LBB67_133
; %bb.135:
	v_or_b32_e32 v0, v0, v1
	v_cmp_eq_u32_e32 vcc, 0, v0
	s_and_saveexec_b64 s[0:1], vcc
	s_cbranch_execz .LBB67_133
; %bb.136:
	v_mbcnt_lo_u32_b32 v0, exec_lo, 0
	v_mbcnt_hi_u32_b32 v0, exec_hi, v0
	v_cmp_eq_u32_e32 vcc, 0, v0
	s_and_saveexec_b64 s[0:1], vcc
	s_cbranch_execz .LBB67_138
; %bb.137:
	s_add_i32 s2, s20, s21
	v_mov_b32_e32 v0, 0
	v_mov_b32_e32 v1, s2
	global_atomic_smin v0, v1, s[14:15]
.LBB67_138:
	s_or_b64 exec, exec, s[0:1]
	s_add_u32 s0, s10, s12
	s_addc_u32 s1, s11, s13
	v_mov_b32_e32 v0, 0
	v_mov_b32_e32 v1, 1
	s_waitcnt vmcnt(0)
	global_store_dword v0, v1, s[0:1]
	s_endpgm
	.section	.rodata,"a",@progbits
	.p2align	6, 0x0
	.amdhsa_kernel _ZN9rocsparseL18bsric0_9_16_kernelILi64ELi32ELi16E21rocsparse_complex_numIdEEEv20rocsparse_direction_iiPKiS5_PT2_S5_PiS5_S8_21rocsparse_index_base_
		.amdhsa_group_segment_fixed_size 17792
		.amdhsa_private_segment_fixed_size 0
		.amdhsa_kernarg_size 76
		.amdhsa_user_sgpr_count 6
		.amdhsa_user_sgpr_private_segment_buffer 1
		.amdhsa_user_sgpr_dispatch_ptr 0
		.amdhsa_user_sgpr_queue_ptr 0
		.amdhsa_user_sgpr_kernarg_segment_ptr 1
		.amdhsa_user_sgpr_dispatch_id 0
		.amdhsa_user_sgpr_flat_scratch_init 0
		.amdhsa_user_sgpr_private_segment_size 0
		.amdhsa_uses_dynamic_stack 0
		.amdhsa_system_sgpr_private_segment_wavefront_offset 0
		.amdhsa_system_sgpr_workgroup_id_x 1
		.amdhsa_system_sgpr_workgroup_id_y 0
		.amdhsa_system_sgpr_workgroup_id_z 0
		.amdhsa_system_sgpr_workgroup_info 0
		.amdhsa_system_vgpr_workitem_id 1
		.amdhsa_next_free_vgpr 129
		.amdhsa_next_free_sgpr 98
		.amdhsa_reserve_vcc 1
		.amdhsa_reserve_flat_scratch 0
		.amdhsa_float_round_mode_32 0
		.amdhsa_float_round_mode_16_64 0
		.amdhsa_float_denorm_mode_32 3
		.amdhsa_float_denorm_mode_16_64 3
		.amdhsa_dx10_clamp 1
		.amdhsa_ieee_mode 1
		.amdhsa_fp16_overflow 0
		.amdhsa_exception_fp_ieee_invalid_op 0
		.amdhsa_exception_fp_denorm_src 0
		.amdhsa_exception_fp_ieee_div_zero 0
		.amdhsa_exception_fp_ieee_overflow 0
		.amdhsa_exception_fp_ieee_underflow 0
		.amdhsa_exception_fp_ieee_inexact 0
		.amdhsa_exception_int_div_zero 0
	.end_amdhsa_kernel
	.section	.text._ZN9rocsparseL18bsric0_9_16_kernelILi64ELi32ELi16E21rocsparse_complex_numIdEEEv20rocsparse_direction_iiPKiS5_PT2_S5_PiS5_S8_21rocsparse_index_base_,"axG",@progbits,_ZN9rocsparseL18bsric0_9_16_kernelILi64ELi32ELi16E21rocsparse_complex_numIdEEEv20rocsparse_direction_iiPKiS5_PT2_S5_PiS5_S8_21rocsparse_index_base_,comdat
.Lfunc_end67:
	.size	_ZN9rocsparseL18bsric0_9_16_kernelILi64ELi32ELi16E21rocsparse_complex_numIdEEEv20rocsparse_direction_iiPKiS5_PT2_S5_PiS5_S8_21rocsparse_index_base_, .Lfunc_end67-_ZN9rocsparseL18bsric0_9_16_kernelILi64ELi32ELi16E21rocsparse_complex_numIdEEEv20rocsparse_direction_iiPKiS5_PT2_S5_PiS5_S8_21rocsparse_index_base_
                                        ; -- End function
	.set _ZN9rocsparseL18bsric0_9_16_kernelILi64ELi32ELi16E21rocsparse_complex_numIdEEEv20rocsparse_direction_iiPKiS5_PT2_S5_PiS5_S8_21rocsparse_index_base_.num_vgpr, 40
	.set _ZN9rocsparseL18bsric0_9_16_kernelILi64ELi32ELi16E21rocsparse_complex_numIdEEEv20rocsparse_direction_iiPKiS5_PT2_S5_PiS5_S8_21rocsparse_index_base_.num_agpr, 0
	.set _ZN9rocsparseL18bsric0_9_16_kernelILi64ELi32ELi16E21rocsparse_complex_numIdEEEv20rocsparse_direction_iiPKiS5_PT2_S5_PiS5_S8_21rocsparse_index_base_.numbered_sgpr, 54
	.set _ZN9rocsparseL18bsric0_9_16_kernelILi64ELi32ELi16E21rocsparse_complex_numIdEEEv20rocsparse_direction_iiPKiS5_PT2_S5_PiS5_S8_21rocsparse_index_base_.num_named_barrier, 0
	.set _ZN9rocsparseL18bsric0_9_16_kernelILi64ELi32ELi16E21rocsparse_complex_numIdEEEv20rocsparse_direction_iiPKiS5_PT2_S5_PiS5_S8_21rocsparse_index_base_.private_seg_size, 0
	.set _ZN9rocsparseL18bsric0_9_16_kernelILi64ELi32ELi16E21rocsparse_complex_numIdEEEv20rocsparse_direction_iiPKiS5_PT2_S5_PiS5_S8_21rocsparse_index_base_.uses_vcc, 1
	.set _ZN9rocsparseL18bsric0_9_16_kernelILi64ELi32ELi16E21rocsparse_complex_numIdEEEv20rocsparse_direction_iiPKiS5_PT2_S5_PiS5_S8_21rocsparse_index_base_.uses_flat_scratch, 0
	.set _ZN9rocsparseL18bsric0_9_16_kernelILi64ELi32ELi16E21rocsparse_complex_numIdEEEv20rocsparse_direction_iiPKiS5_PT2_S5_PiS5_S8_21rocsparse_index_base_.has_dyn_sized_stack, 0
	.set _ZN9rocsparseL18bsric0_9_16_kernelILi64ELi32ELi16E21rocsparse_complex_numIdEEEv20rocsparse_direction_iiPKiS5_PT2_S5_PiS5_S8_21rocsparse_index_base_.has_recursion, 0
	.set _ZN9rocsparseL18bsric0_9_16_kernelILi64ELi32ELi16E21rocsparse_complex_numIdEEEv20rocsparse_direction_iiPKiS5_PT2_S5_PiS5_S8_21rocsparse_index_base_.has_indirect_call, 0
	.section	.AMDGPU.csdata,"",@progbits
; Kernel info:
; codeLenInByte = 4732
; TotalNumSgprs: 58
; NumVgprs: 40
; ScratchSize: 0
; MemoryBound: 1
; FloatMode: 240
; IeeeMode: 1
; LDSByteSize: 17792 bytes/workgroup (compile time only)
; SGPRBlocks: 12
; VGPRBlocks: 32
; NumSGPRsForWavesPerEU: 102
; NumVGPRsForWavesPerEU: 129
; Occupancy: 1
; WaveLimiterHint : 1
; COMPUTE_PGM_RSRC2:SCRATCH_EN: 0
; COMPUTE_PGM_RSRC2:USER_SGPR: 6
; COMPUTE_PGM_RSRC2:TRAP_HANDLER: 0
; COMPUTE_PGM_RSRC2:TGID_X_EN: 1
; COMPUTE_PGM_RSRC2:TGID_Y_EN: 0
; COMPUTE_PGM_RSRC2:TGID_Z_EN: 0
; COMPUTE_PGM_RSRC2:TIDIG_COMP_CNT: 1
	.section	.text._ZN9rocsparseL19bsric0_17_32_kernelILi64ELi32ELi32E21rocsparse_complex_numIdEEEv20rocsparse_direction_iiPKiS5_PT2_S5_PiS5_S8_21rocsparse_index_base_,"axG",@progbits,_ZN9rocsparseL19bsric0_17_32_kernelILi64ELi32ELi32E21rocsparse_complex_numIdEEEv20rocsparse_direction_iiPKiS5_PT2_S5_PiS5_S8_21rocsparse_index_base_,comdat
	.globl	_ZN9rocsparseL19bsric0_17_32_kernelILi64ELi32ELi32E21rocsparse_complex_numIdEEEv20rocsparse_direction_iiPKiS5_PT2_S5_PiS5_S8_21rocsparse_index_base_ ; -- Begin function _ZN9rocsparseL19bsric0_17_32_kernelILi64ELi32ELi32E21rocsparse_complex_numIdEEEv20rocsparse_direction_iiPKiS5_PT2_S5_PiS5_S8_21rocsparse_index_base_
	.p2align	8
	.type	_ZN9rocsparseL19bsric0_17_32_kernelILi64ELi32ELi32E21rocsparse_complex_numIdEEEv20rocsparse_direction_iiPKiS5_PT2_S5_PiS5_S8_21rocsparse_index_base_,@function
_ZN9rocsparseL19bsric0_17_32_kernelILi64ELi32ELi32E21rocsparse_complex_numIdEEEv20rocsparse_direction_iiPKiS5_PT2_S5_PiS5_S8_21rocsparse_index_base_: ; @_ZN9rocsparseL19bsric0_17_32_kernelILi64ELi32ELi32E21rocsparse_complex_numIdEEEv20rocsparse_direction_iiPKiS5_PT2_S5_PiS5_S8_21rocsparse_index_base_
; %bb.0:
	s_load_dwordx8 s[8:15], s[4:5], 0x28
	s_mov_b32 s7, 0
	s_lshl_b64 s[0:1], s[6:7], 2
	s_waitcnt lgkmcnt(0)
	s_add_u32 s0, s12, s0
	s_addc_u32 s1, s13, s1
	s_load_dword s20, s[0:1], 0x0
	s_waitcnt lgkmcnt(0)
	s_ashr_i32 s21, s20, 31
	s_lshl_b64 s[12:13], s[20:21], 2
	s_add_u32 s0, s8, s12
	s_addc_u32 s1, s9, s13
	s_load_dword s33, s[0:1], 0x0
	s_load_dword s21, s[4:5], 0x48
	s_waitcnt lgkmcnt(0)
	s_cmp_lg_u32 s33, -1
	s_cbranch_scc0 .LBB68_124
; %bb.1:
	s_load_dwordx4 s[16:19], s[4:5], 0x10
	s_load_dwordx2 s[22:23], s[4:5], 0x20
	v_lshlrev_b32_e32 v2, 1, v1
	s_waitcnt lgkmcnt(0)
	s_add_u32 s0, s16, s12
	s_addc_u32 s1, s17, s13
	s_load_dword s0, s[0:1], 0x0
	s_waitcnt lgkmcnt(0)
	s_sub_i32 s48, s0, s21
	v_add3_u32 v2, v2, v0, s48
	v_cmp_ge_i32_e32 vcc, s33, v2
	s_and_saveexec_b64 s[0:1], vcc
	s_cbranch_execz .LBB68_4
; %bb.2:
	v_lshlrev_b32_e32 v3, 3, v1
	v_lshlrev_b32_e32 v4, 2, v0
	s_mov_b32 s2, 0xc700
	v_add3_u32 v4, v3, v4, s2
	s_mov_b64 s[2:3], 0
	v_mov_b32_e32 v5, s19
.LBB68_3:                               ; =>This Inner Loop Header: Depth=1
	v_ashrrev_i32_e32 v3, 31, v2
	v_lshlrev_b64 v[6:7], 2, v[2:3]
	v_add_u32_e32 v2, 64, v2
	v_add_co_u32_e32 v6, vcc, s18, v6
	v_addc_co_u32_e32 v7, vcc, v5, v7, vcc
	global_load_dword v3, v[6:7], off
	v_cmp_lt_i32_e32 vcc, s33, v2
	s_or_b64 s[2:3], vcc, s[2:3]
	s_waitcnt vmcnt(0)
	v_subrev_u32_e32 v3, s21, v3
	ds_write_b32 v4, v3
	v_add_u32_e32 v4, 0x100, v4
	s_andn2_b64 exec, exec, s[2:3]
	s_cbranch_execnz .LBB68_3
.LBB68_4:
	s_or_b64 exec, exec, s[0:1]
	v_cmp_gt_u32_e32 vcc, 32, v0
	v_lshlrev_b32_e32 v19, 4, v0
	s_and_saveexec_b64 s[0:1], vcc
	s_cbranch_execz .LBB68_7
; %bb.5:
	v_mul_u32_u24_e32 v2, 0x210, v1
	s_mov_b32 s2, 0x8400
	v_add3_u32 v7, v2, v19, s2
	v_mov_b32_e32 v2, 0
	v_add_u32_e32 v6, -2, v0
	s_mov_b64 s[2:3], 0
	v_mov_b32_e32 v3, v2
	v_mov_b32_e32 v4, v2
	;; [unrolled: 1-line block ×3, first 2 shown]
.LBB68_6:                               ; =>This Inner Loop Header: Depth=1
	v_add_u32_e32 v6, 2, v6
	v_cmp_lt_u32_e32 vcc, 29, v6
	ds_write_b128 v7, v[2:5]
	s_or_b64 s[2:3], vcc, s[2:3]
	v_add_u32_e32 v7, 32, v7
	s_andn2_b64 exec, exec, s[2:3]
	s_cbranch_execnz .LBB68_6
.LBB68_7:
	s_or_b64 exec, exec, s[0:1]
	s_load_dword s46, s[4:5], 0x8
	s_load_dword s47, s[4:5], 0x0
	s_cmp_ge_i32 s48, s33
	s_waitcnt lgkmcnt(0)
	v_cmp_gt_i32_e64 s[0:1], s46, v0
	s_cbranch_scc1 .LBB68_79
; %bb.8:
	v_or_b32_e32 v3, v0, v1
	s_mul_i32 s7, s46, s48
	v_cmp_ne_u32_e64 s[4:5], 0, v3
	v_add_u32_e32 v3, s7, v1
	s_cmp_eq_u32 s47, 0
	v_mul_lo_u32 v22, s46, v1
	v_mul_lo_u32 v25, s46, v3
	;; [unrolled: 1-line block ×3, first 2 shown]
	s_cselect_b64 s[24:25], -1, 0
	s_cmp_lg_u32 s47, 0
	s_movk_i32 s6, 0x210
	s_cselect_b64 s[26:27], -1, 0
	v_mov_b32_e32 v2, 0x4200
	s_cmp_gt_i32 s46, 0
	v_mad_u32_u24 v23, v1, s6, v19
	s_mul_i32 s49, s46, s46
	v_cmp_gt_i32_e64 s[2:3], s46, v1
	v_mul_u32_u24_e32 v20, 0x210, v1
	v_mad_u32_u24 v21, v1, s6, v2
	s_cselect_b64 s[28:29], -1, 0
	s_lshl_b32 s50, s46, 1
	v_add_u32_e32 v26, 0x8400, v23
	v_mad_u32_u24 v27, v0, s6, v2
	v_add_u32_e32 v28, 0x4200, v23
	v_mov_b32_e32 v2, 0
	v_mov_b32_e32 v29, 0x3ff00000
	s_mov_b32 s30, s48
	s_branch .LBB68_10
.LBB68_9:                               ;   in Loop: Header=BB68_10 Depth=1
	s_or_b64 exec, exec, s[6:7]
	s_add_i32 s30, s30, 1
	s_cmp_ge_i32 s30, s33
	s_waitcnt vmcnt(0)
	buffer_wbinvl1_vol
	v_add_u32_e32 v25, s49, v25
	s_cselect_b64 s[6:7], -1, 0
	s_and_b64 vcc, exec, s[6:7]
	s_cbranch_vccnz .LBB68_79
.LBB68_10:                              ; =>This Loop Header: Depth=1
                                        ;     Child Loop BB68_14 Depth 2
                                        ;     Child Loop BB68_26 Depth 2
	;; [unrolled: 1-line block ×4, first 2 shown]
                                        ;       Child Loop BB68_43 Depth 3
                                        ;         Child Loop BB68_48 Depth 4
                                        ;     Child Loop BB68_57 Depth 2
                                        ;       Child Loop BB68_64 Depth 3
                                        ;       Child Loop BB68_68 Depth 3
                                        ;     Child Loop BB68_73 Depth 2
	s_ashr_i32 s31, s30, 31
	s_lshl_b64 s[6:7], s[30:31], 2
	s_add_u32 s6, s18, s6
	s_addc_u32 s7, s19, s7
	s_load_dword s51, s[6:7], 0x0
	s_waitcnt lgkmcnt(0)
	s_sub_i32 s34, s51, s21
	s_ashr_i32 s35, s34, 31
	s_lshl_b64 s[6:7], s[34:35], 2
	s_add_u32 s36, s8, s6
	s_addc_u32 s37, s9, s7
	s_load_dword s52, s[36:37], 0x0
	s_waitcnt lgkmcnt(0)
	s_cmp_eq_u32 s52, -1
	s_cbranch_scc1 .LBB68_78
; %bb.11:                               ;   in Loop: Header=BB68_10 Depth=1
	s_add_u32 s36, s16, s6
	s_addc_u32 s37, s17, s7
	s_load_dword s35, s[36:37], 0x0
	s_mul_i32 s31, s30, s46
	s_and_saveexec_b64 s[36:37], s[0:1]
	s_cbranch_execz .LBB68_24
; %bb.12:                               ;   in Loop: Header=BB68_10 Depth=1
	s_mov_b64 s[38:39], 0
	v_mov_b32_e32 v9, v23
	v_mov_b32_e32 v10, v0
	s_branch .LBB68_14
.LBB68_13:                              ;   in Loop: Header=BB68_14 Depth=2
	s_or_b64 exec, exec, s[42:43]
	v_add_u32_e32 v10, 2, v10
	s_waitcnt vmcnt(0)
	ds_write_b128 v9, v[3:6] offset:16896
	v_mov_b32_e32 v3, v2
	v_mov_b32_e32 v4, v2
	;; [unrolled: 1-line block ×3, first 2 shown]
	v_cmp_le_i32_e32 vcc, s46, v10
	ds_write_b128 v9, v[2:5]
	s_or_b64 s[38:39], vcc, s[38:39]
	v_add_u32_e32 v9, 32, v9
	s_andn2_b64 exec, exec, s[38:39]
	s_cbranch_execz .LBB68_24
.LBB68_14:                              ;   Parent Loop BB68_10 Depth=1
                                        ; =>  This Inner Loop Header: Depth=2
	s_mov_b64 s[42:43], -1
	s_and_b64 vcc, exec, s[26:27]
	s_mov_b64 s[40:41], 0
                                        ; implicit-def: $vgpr7
	s_cbranch_vccz .LBB68_18
; %bb.15:                               ;   in Loop: Header=BB68_14 Depth=2
	s_mov_b64 s[42:43], 0
                                        ; implicit-def: $vgpr7
	s_and_saveexec_b64 s[44:45], s[2:3]
	s_xor_b64 s[44:45], exec, s[44:45]
; %bb.16:                               ;   in Loop: Header=BB68_14 Depth=2
	v_add_u32_e32 v3, s31, v10
	v_mad_u64_u32 v[7:8], s[54:55], v3, s46, v[1:2]
	s_mov_b64 s[40:41], exec
; %bb.17:                               ;   in Loop: Header=BB68_14 Depth=2
	s_or_b64 exec, exec, s[44:45]
.LBB68_18:                              ;   in Loop: Header=BB68_14 Depth=2
	s_and_b64 vcc, exec, s[42:43]
	s_cbranch_vccz .LBB68_22
; %bb.19:                               ;   in Loop: Header=BB68_14 Depth=2
                                        ; implicit-def: $vgpr7
	s_and_saveexec_b64 s[42:43], s[2:3]
; %bb.20:                               ;   in Loop: Header=BB68_14 Depth=2
	v_add_u32_e32 v7, v25, v10
	s_or_b64 s[40:41], s[40:41], exec
; %bb.21:                               ;   in Loop: Header=BB68_14 Depth=2
	s_or_b64 exec, exec, s[42:43]
.LBB68_22:                              ;   in Loop: Header=BB68_14 Depth=2
	v_mov_b32_e32 v3, 0
	v_mov_b32_e32 v5, 0
	;; [unrolled: 1-line block ×4, first 2 shown]
	s_and_saveexec_b64 s[42:43], s[40:41]
	s_cbranch_execz .LBB68_13
; %bb.23:                               ;   in Loop: Header=BB68_14 Depth=2
	v_ashrrev_i32_e32 v8, 31, v7
	v_lshlrev_b64 v[3:4], 4, v[7:8]
	v_mov_b32_e32 v5, s23
	v_add_co_u32_e32 v3, vcc, s22, v3
	v_addc_co_u32_e32 v4, vcc, v5, v4, vcc
	global_load_dwordx4 v[3:6], v[3:4], off
	s_branch .LBB68_13
.LBB68_24:                              ;   in Loop: Header=BB68_10 Depth=1
	s_or_b64 exec, exec, s[36:37]
	ds_read_b32 v3, v2 offset:50944
	s_waitcnt lgkmcnt(0)
	s_sub_i32 s36, s35, s21
	s_cmp_le_i32 s36, s52
	s_cselect_b64 s[38:39], -1, 0
	s_mov_b32 s37, 0
	v_cmp_ge_i32_e32 vcc, s34, v3
	s_and_b64 s[38:39], s[38:39], vcc
	s_andn2_b64 vcc, exec, s[38:39]
	s_cbranch_vccnz .LBB68_36
; %bb.25:                               ;   in Loop: Header=BB68_10 Depth=1
	s_mov_b32 s35, 0
	s_mov_b32 s40, 0
.LBB68_26:                              ;   Parent Loop BB68_10 Depth=1
                                        ; =>  This Inner Loop Header: Depth=2
	s_ashr_i32 s37, s36, 31
	s_lshl_b64 s[38:39], s[36:37], 2
	s_add_u32 s38, s18, s38
	s_addc_u32 s39, s19, s39
	s_load_dword s37, s[38:39], 0x0
	s_lshl_b32 s38, s40, 2
	v_mov_b32_e32 v3, s38
	ds_read_b32 v3, v3 offset:50944
	s_mov_b64 s[38:39], -1
	s_waitcnt lgkmcnt(0)
	s_sub_i32 s44, s37, s21
                                        ; implicit-def: $sgpr37
                                        ; implicit-def: $sgpr43
                                        ; implicit-def: $sgpr42
	v_cmp_ge_i32_e32 vcc, s44, v3
	v_readfirstlane_b32 s41, v3
	s_cbranch_vccz .LBB68_32
; %bb.27:                               ;   in Loop: Header=BB68_26 Depth=2
	s_cmp_le_i32 s44, s41
                                        ; implicit-def: $sgpr37
                                        ; implicit-def: $sgpr43
                                        ; implicit-def: $sgpr42
	s_cbranch_scc0 .LBB68_29
; %bb.28:                               ;   in Loop: Header=BB68_26 Depth=2
	s_add_i32 s37, s40, s48
	s_mul_i32 s37, s37, s49
	s_lshl_b32 s38, s35, 2
	v_mov_b32_e32 v3, s38
	v_mov_b32_e32 v4, s37
	s_mul_i32 s37, s36, s49
	v_mov_b32_e32 v5, s37
	v_add_u32_e32 v3, 0xc400, v3
	ds_write2_b32 v3, v5, v4 offset0:128 offset1:160
	s_add_i32 s42, s40, 1
	s_add_i32 s43, s36, 1
	;; [unrolled: 1-line block ×3, first 2 shown]
	s_mov_b64 s[38:39], 0
.LBB68_29:                              ;   in Loop: Header=BB68_26 Depth=2
	s_andn2_b64 vcc, exec, s[38:39]
	s_cbranch_vccnz .LBB68_31
; %bb.30:                               ;   in Loop: Header=BB68_26 Depth=2
	s_add_i32 s42, s40, 1
	s_mov_b32 s37, s35
	s_mov_b32 s43, s36
.LBB68_31:                              ;   in Loop: Header=BB68_26 Depth=2
	s_mov_b64 s[38:39], 0
.LBB68_32:                              ;   in Loop: Header=BB68_26 Depth=2
	s_andn2_b64 vcc, exec, s[38:39]
	s_cbranch_vccnz .LBB68_34
; %bb.33:                               ;   in Loop: Header=BB68_26 Depth=2
	s_add_i32 s43, s36, 1
	s_mov_b32 s42, s40
	s_mov_b32 s37, s35
.LBB68_34:                              ;   in Loop: Header=BB68_26 Depth=2
	s_cmp_le_i32 s43, s52
	s_cselect_b64 s[38:39], -1, 0
	s_cmp_le_i32 s41, s34
	s_cselect_b64 s[40:41], -1, 0
	s_and_b64 s[38:39], s[38:39], s[40:41]
	s_and_b64 vcc, exec, s[38:39]
	s_cbranch_vccz .LBB68_36
; %bb.35:                               ;   in Loop: Header=BB68_26 Depth=2
	s_mov_b32 s35, s37
	s_mov_b32 s36, s43
	;; [unrolled: 1-line block ×3, first 2 shown]
	s_branch .LBB68_26
.LBB68_36:                              ;   in Loop: Header=BB68_10 Depth=1
	s_add_u32 s6, s10, s6
	s_addc_u32 s7, s11, s7
	s_waitcnt lgkmcnt(0)
.LBB68_37:                              ;   Parent Loop BB68_10 Depth=1
                                        ; =>  This Inner Loop Header: Depth=2
	global_load_dword v3, v2, s[6:7] glc
	s_waitcnt vmcnt(0)
	v_cmp_eq_u32_e32 vcc, 0, v3
	s_cbranch_vccnz .LBB68_37
; %bb.38:                               ;   in Loop: Header=BB68_10 Depth=1
	s_cmp_lt_i32 s37, 2
	buffer_wbinvl1_vol
	s_cbranch_scc1 .LBB68_54
; %bb.39:                               ;   in Loop: Header=BB68_10 Depth=1
	s_add_i32 s38, s37, -2
	s_mov_b32 s39, 0
	s_branch .LBB68_41
.LBB68_40:                              ;   in Loop: Header=BB68_41 Depth=2
	s_or_b64 exec, exec, s[6:7]
	s_add_i32 s6, s39, 1
	s_cmp_eq_u32 s39, s38
	s_mov_b32 s39, s6
	s_cbranch_scc1 .LBB68_54
.LBB68_41:                              ;   Parent Loop BB68_10 Depth=1
                                        ; =>  This Loop Header: Depth=2
                                        ;       Child Loop BB68_43 Depth 3
                                        ;         Child Loop BB68_48 Depth 4
	s_and_saveexec_b64 s[6:7], s[0:1]
	s_cbranch_execz .LBB68_40
; %bb.42:                               ;   in Loop: Header=BB68_41 Depth=2
	s_lshl_b32 s34, s39, 2
	v_mov_b32_e32 v3, s34
	v_add_u32_e32 v3, 0xc400, v3
	ds_read2_b32 v[3:4], v3 offset0:128 offset1:160
	s_mov_b64 s[34:35], 0
	v_mov_b32_e32 v34, v0
	s_waitcnt lgkmcnt(0)
	v_add_u32_e32 v30, v4, v22
	v_add_u32_e32 v31, v1, v4
	;; [unrolled: 1-line block ×4, first 2 shown]
.LBB68_43:                              ;   Parent Loop BB68_10 Depth=1
                                        ;     Parent Loop BB68_41 Depth=2
                                        ; =>    This Loop Header: Depth=3
                                        ;         Child Loop BB68_48 Depth 4
	v_mov_b32_e32 v15, 0
	v_mov_b32_e32 v17, 0
	;; [unrolled: 1-line block ×3, first 2 shown]
	s_mov_b32 s40, 0
	v_mov_b32_e32 v11, v32
	v_mov_b32_e32 v18, 0
	;; [unrolled: 1-line block ×3, first 2 shown]
	s_mov_b64 s[36:37], -1
	s_and_b64 vcc, exec, s[26:27]
                                        ; implicit-def: $vgpr3_vgpr4
                                        ; implicit-def: $vgpr5_vgpr6
	s_cbranch_vccz .LBB68_48
	s_branch .LBB68_45
.LBB68_44:                              ;   in Loop: Header=BB68_48 Depth=4
	v_mov_b32_e32 v16, v4
	v_mov_b32_e32 v18, v6
	;; [unrolled: 1-line block ×4, first 2 shown]
	s_mov_b64 s[36:37], -1
	s_and_b64 vcc, exec, s[26:27]
                                        ; implicit-def: $vgpr3_vgpr4
                                        ; implicit-def: $vgpr5_vgpr6
	s_cbranch_vccz .LBB68_48
.LBB68_45:                              ;   in Loop: Header=BB68_43 Depth=3
	v_ashrrev_i32_e32 v12, 31, v11
	v_lshlrev_b64 v[3:4], 4, v[11:12]
	v_mov_b32_e32 v5, s23
	v_add_co_u32_e32 v3, vcc, s22, v3
	v_addc_co_u32_e32 v4, vcc, v5, v4, vcc
	global_load_dwordx4 v[3:6], v[3:4], off
	v_mov_b32_e32 v7, 0
	v_mov_b32_e32 v9, 0
	;; [unrolled: 1-line block ×4, first 2 shown]
	s_and_saveexec_b64 s[36:37], s[2:3]
	s_cbranch_execz .LBB68_47
; %bb.46:                               ;   in Loop: Header=BB68_43 Depth=3
	v_ashrrev_i32_e32 v14, 31, v13
	v_lshlrev_b64 v[7:8], 4, v[13:14]
	v_mov_b32_e32 v9, s23
	v_add_co_u32_e32 v7, vcc, s22, v7
	v_addc_co_u32_e32 v8, vcc, v9, v8, vcc
	global_load_dwordx4 v[7:10], v[7:8], off
.LBB68_47:                              ;   in Loop: Header=BB68_43 Depth=3
	s_or_b64 exec, exec, s[36:37]
	s_waitcnt vmcnt(0)
	v_fma_f64 v[35:36], v[3:4], v[7:8], v[17:18]
	v_fma_f64 v[7:8], v[5:6], v[7:8], v[15:16]
	s_mov_b64 s[36:37], 0
	v_fma_f64 v[5:6], v[5:6], v[9:10], v[35:36]
	v_fma_f64 v[3:4], v[3:4], -v[9:10], v[7:8]
.LBB68_48:                              ;   Parent Loop BB68_10 Depth=1
                                        ;     Parent Loop BB68_41 Depth=2
                                        ;       Parent Loop BB68_43 Depth=3
                                        ; =>      This Inner Loop Header: Depth=4
	s_and_b64 vcc, exec, s[36:37]
	s_cbranch_vccz .LBB68_52
; %bb.49:                               ;   in Loop: Header=BB68_48 Depth=4
	v_add_u32_e32 v3, s40, v33
	v_ashrrev_i32_e32 v4, 31, v3
	v_lshlrev_b64 v[3:4], 4, v[3:4]
	v_mov_b32_e32 v5, s23
	v_add_co_u32_e32 v3, vcc, s22, v3
	v_addc_co_u32_e32 v4, vcc, v5, v4, vcc
	global_load_dwordx4 v[3:6], v[3:4], off
	v_mov_b32_e32 v7, 0
	v_mov_b32_e32 v9, 0
	v_mov_b32_e32 v8, 0
	v_mov_b32_e32 v10, 0
	s_and_saveexec_b64 s[36:37], s[2:3]
	s_cbranch_execz .LBB68_51
; %bb.50:                               ;   in Loop: Header=BB68_48 Depth=4
	v_add_u32_e32 v7, s40, v30
	v_ashrrev_i32_e32 v8, 31, v7
	v_lshlrev_b64 v[7:8], 4, v[7:8]
	v_mov_b32_e32 v9, s23
	v_add_co_u32_e32 v7, vcc, s22, v7
	v_addc_co_u32_e32 v8, vcc, v9, v8, vcc
	global_load_dwordx4 v[7:10], v[7:8], off
.LBB68_51:                              ;   in Loop: Header=BB68_48 Depth=4
	s_or_b64 exec, exec, s[36:37]
	s_waitcnt vmcnt(0)
	v_fma_f64 v[17:18], v[3:4], v[7:8], v[17:18]
	v_fma_f64 v[7:8], v[5:6], v[7:8], v[15:16]
	;; [unrolled: 1-line block ×3, first 2 shown]
	v_fma_f64 v[3:4], v[3:4], -v[9:10], v[7:8]
.LBB68_52:                              ;   in Loop: Header=BB68_48 Depth=4
	s_add_i32 s40, s40, 1
	v_add_u32_e32 v13, s46, v13
	s_cmp_eq_u32 s46, s40
	v_add_u32_e32 v11, s46, v11
	s_cbranch_scc0 .LBB68_44
; %bb.53:                               ;   in Loop: Header=BB68_43 Depth=3
	v_lshl_add_u32 v11, v34, 4, v20
	ds_read_b128 v[7:10], v11
	v_add_u32_e32 v34, 2, v34
	v_cmp_le_i32_e32 vcc, s46, v34
	v_add_u32_e32 v32, 2, v32
	s_or_b64 s[34:35], vcc, s[34:35]
	s_waitcnt lgkmcnt(0)
	v_add_f64 v[5:6], v[5:6], v[7:8]
	v_add_f64 v[7:8], v[3:4], v[9:10]
	v_add_u32_e32 v33, s50, v33
	ds_write_b128 v11, v[5:8]
	s_andn2_b64 exec, exec, s[34:35]
	s_cbranch_execnz .LBB68_43
	s_branch .LBB68_40
.LBB68_54:                              ;   in Loop: Header=BB68_10 Depth=1
	s_andn2_b64 vcc, exec, s[28:29]
	s_waitcnt lgkmcnt(0)
	s_cbranch_vccnz .LBB68_69
; %bb.55:                               ;   in Loop: Header=BB68_10 Depth=1
	s_mul_i32 s36, s49, s52
	s_mov_b32 s37, 0
	v_mov_b32_e32 v15, v27
	s_mov_b32 s38, s36
	s_branch .LBB68_57
.LBB68_56:                              ;   in Loop: Header=BB68_57 Depth=2
	s_or_b64 exec, exec, s[6:7]
	s_add_i32 s37, s37, 1
	s_add_i32 s38, s38, 1
	s_cmp_eq_u32 s37, s46
	v_add_u32_e32 v15, 16, v15
	s_waitcnt lgkmcnt(0)
	s_cbranch_scc1 .LBB68_69
.LBB68_57:                              ;   Parent Loop BB68_10 Depth=1
                                        ; =>  This Loop Header: Depth=2
                                        ;       Child Loop BB68_64 Depth 3
                                        ;       Child Loop BB68_68 Depth 3
	s_mul_i32 s39, s37, s46
	s_add_i32 s39, s39, s36
	s_add_i32 s6, s39, s37
	s_ashr_i32 s7, s6, 31
	s_lshl_b64 s[6:7], s[6:7], 4
	s_add_u32 s6, s22, s6
	s_addc_u32 s7, s23, s7
	global_load_dwordx4 v[7:10], v2, s[6:7]
	v_lshl_add_u32 v16, s37, 4, v21
	ds_read_b128 v[3:6], v16
	s_waitcnt vmcnt(0)
	v_cmp_neq_f64_e32 vcc, 0, v[7:8]
	v_cmp_neq_f64_e64 s[6:7], 0, v[9:10]
	s_or_b64 vcc, vcc, s[6:7]
	v_cndmask_b32_e32 v12, v29, v8, vcc
	s_nor_b64 s[34:35], vcc, s[4:5]
	v_cndmask_b32_e32 v11, 0, v7, vcc
	v_cndmask_b32_e32 v14, 0, v10, vcc
	;; [unrolled: 1-line block ×3, first 2 shown]
	s_and_saveexec_b64 s[6:7], s[34:35]
	s_cbranch_execz .LBB68_61
; %bb.58:                               ;   in Loop: Header=BB68_57 Depth=2
	v_mbcnt_lo_u32_b32 v7, exec_lo, 0
	v_mbcnt_hi_u32_b32 v7, exec_hi, v7
	v_cmp_eq_u32_e32 vcc, 0, v7
	s_and_saveexec_b64 s[34:35], vcc
	s_cbranch_execz .LBB68_60
; %bb.59:                               ;   in Loop: Header=BB68_57 Depth=2
	v_mov_b32_e32 v7, s51
	global_atomic_smin v2, v7, s[14:15]
.LBB68_60:                              ;   in Loop: Header=BB68_57 Depth=2
	s_or_b64 exec, exec, s[34:35]
	v_mov_b32_e32 v13, 0
	v_mov_b32_e32 v11, 0
	;; [unrolled: 1-line block ×4, first 2 shown]
.LBB68_61:                              ;   in Loop: Header=BB68_57 Depth=2
	s_or_b64 exec, exec, s[6:7]
	v_lshl_add_u32 v7, s37, 4, v20
	ds_read_b128 v[7:10], v7
	s_cmp_eq_u32 s37, 0
	s_cbranch_scc1 .LBB68_66
; %bb.62:                               ;   in Loop: Header=BB68_57 Depth=2
	s_mov_b32 s34, 0
	s_mov_b32 s35, s37
	;; [unrolled: 1-line block ×3, first 2 shown]
	v_mov_b32_e32 v17, v21
	s_branch .LBB68_64
.LBB68_63:                              ;   in Loop: Header=BB68_64 Depth=3
	s_ashr_i32 s7, s6, 31
	s_lshl_b64 s[6:7], s[6:7], 4
	s_add_u32 s6, s22, s6
	s_addc_u32 s7, s23, s7
	global_load_dwordx4 v[30:33], v2, s[6:7]
	ds_read_b128 v[34:37], v17
	s_add_i32 s34, s34, 1
	s_add_i32 s40, s40, s46
	s_add_i32 s35, s35, -1
	s_cmp_eq_u32 s35, 0
	v_add_u32_e32 v17, 16, v17
	s_waitcnt vmcnt(0) lgkmcnt(0)
	v_fma_f64 v[7:8], v[30:31], v[34:35], v[7:8]
	v_fma_f64 v[9:10], v[32:33], v[34:35], v[9:10]
	;; [unrolled: 1-line block ×3, first 2 shown]
	v_fma_f64 v[9:10], v[30:31], -v[36:37], v[9:10]
	s_cbranch_scc1 .LBB68_66
.LBB68_64:                              ;   Parent Loop BB68_10 Depth=1
                                        ;     Parent Loop BB68_57 Depth=2
                                        ; =>    This Inner Loop Header: Depth=3
	s_andn2_b64 vcc, exec, s[24:25]
	s_mov_b32 s6, s40
	s_cbranch_vccnz .LBB68_63
; %bb.65:                               ;   in Loop: Header=BB68_64 Depth=3
	s_add_i32 s6, s34, s39
	s_branch .LBB68_63
.LBB68_66:                              ;   in Loop: Header=BB68_57 Depth=2
	v_mul_f64 v[17:18], v[13:14], v[13:14]
	s_waitcnt lgkmcnt(0)
	v_add_f64 v[5:6], v[5:6], -v[9:10]
	v_add_f64 v[3:4], v[3:4], -v[7:8]
	v_fma_f64 v[17:18], v[11:12], v[11:12], v[17:18]
	v_mul_f64 v[7:8], v[13:14], v[5:6]
	v_mul_f64 v[13:14], v[13:14], -v[3:4]
	v_div_scale_f64 v[30:31], s[6:7], v[17:18], v[17:18], 1.0
	v_fma_f64 v[3:4], v[3:4], v[11:12], v[7:8]
	v_fma_f64 v[5:6], v[5:6], v[11:12], v[13:14]
	v_rcp_f64_e32 v[32:33], v[30:31]
	v_fma_f64 v[34:35], -v[30:31], v[32:33], 1.0
	v_fma_f64 v[32:33], v[32:33], v[34:35], v[32:33]
	v_div_scale_f64 v[34:35], vcc, 1.0, v[17:18], 1.0
	v_fma_f64 v[36:37], -v[30:31], v[32:33], 1.0
	v_fma_f64 v[32:33], v[32:33], v[36:37], v[32:33]
	v_mul_f64 v[36:37], v[34:35], v[32:33]
	v_fma_f64 v[30:31], -v[30:31], v[36:37], v[34:35]
	v_div_fmas_f64 v[9:10], v[30:31], v[32:33], v[36:37]
	v_div_fixup_f64 v[7:8], v[9:10], v[17:18], 1.0
	v_mul_f64 v[3:4], v[7:8], v[3:4]
	v_mul_f64 v[5:6], v[7:8], v[5:6]
	ds_write_b128 v16, v[3:6]
	s_waitcnt lgkmcnt(0)
	s_and_saveexec_b64 s[6:7], s[0:1]
	s_cbranch_execz .LBB68_56
; %bb.67:                               ;   in Loop: Header=BB68_57 Depth=2
	s_mov_b64 s[34:35], 0
	v_mov_b32_e32 v7, v15
	v_mov_b32_e32 v8, v26
	;; [unrolled: 1-line block ×3, first 2 shown]
.LBB68_68:                              ;   Parent Loop BB68_10 Depth=1
                                        ;     Parent Loop BB68_57 Depth=2
                                        ; =>    This Inner Loop Header: Depth=3
	ds_read_b128 v[10:13], v7
	ds_read_b128 v[30:33], v8
	v_add_u32_e32 v9, 2, v9
	v_cmp_le_i32_e32 vcc, s46, v9
	s_or_b64 s[34:35], vcc, s[34:35]
	v_add_u32_e32 v7, 0x420, v7
	s_waitcnt lgkmcnt(0)
	v_fma_f64 v[16:17], v[3:4], v[10:11], v[30:31]
	v_fma_f64 v[30:31], v[5:6], v[10:11], v[32:33]
	;; [unrolled: 1-line block ×3, first 2 shown]
	v_fma_f64 v[12:13], v[3:4], -v[12:13], v[30:31]
	ds_write_b128 v8, v[10:13]
	v_add_u32_e32 v8, 32, v8
	s_andn2_b64 exec, exec, s[34:35]
	s_cbranch_execnz .LBB68_68
	s_branch .LBB68_56
.LBB68_69:                              ;   in Loop: Header=BB68_10 Depth=1
	s_and_saveexec_b64 s[6:7], s[0:1]
	s_cbranch_execz .LBB68_9
; %bb.70:                               ;   in Loop: Header=BB68_10 Depth=1
	s_mov_b64 s[34:35], 0
	v_mov_b32_e32 v5, v28
	v_mov_b32_e32 v6, v0
	s_branch .LBB68_73
.LBB68_71:                              ;   in Loop: Header=BB68_73 Depth=2
	v_ashrrev_i32_e32 v4, 31, v3
	ds_read2_b64 v[7:10], v5 offset1:1
	v_lshlrev_b64 v[3:4], 4, v[3:4]
	v_mov_b32_e32 v11, s23
	v_add_co_u32_e32 v3, vcc, s22, v3
	v_addc_co_u32_e32 v4, vcc, v11, v4, vcc
	s_waitcnt lgkmcnt(0)
	global_store_dwordx4 v[3:4], v[7:10], off
.LBB68_72:                              ;   in Loop: Header=BB68_73 Depth=2
	s_or_b64 exec, exec, s[36:37]
	v_add_u32_e32 v6, 2, v6
	v_cmp_le_i32_e32 vcc, s46, v6
	s_or_b64 s[34:35], vcc, s[34:35]
	v_add_u32_e32 v5, 32, v5
	s_andn2_b64 exec, exec, s[34:35]
	s_cbranch_execz .LBB68_9
.LBB68_73:                              ;   Parent Loop BB68_10 Depth=1
                                        ; =>  This Inner Loop Header: Depth=2
	s_and_saveexec_b64 s[36:37], s[2:3]
	s_cbranch_execz .LBB68_72
; %bb.74:                               ;   in Loop: Header=BB68_73 Depth=2
	s_mov_b64 s[38:39], -1
	s_and_b64 vcc, exec, s[26:27]
                                        ; implicit-def: $vgpr3
	s_cbranch_vccz .LBB68_76
; %bb.75:                               ;   in Loop: Header=BB68_73 Depth=2
	v_add_u32_e32 v3, s31, v6
	v_mad_u64_u32 v[3:4], s[38:39], v3, s46, v[1:2]
	s_mov_b64 s[38:39], 0
.LBB68_76:                              ;   in Loop: Header=BB68_73 Depth=2
	s_andn2_b64 vcc, exec, s[38:39]
	s_cbranch_vccnz .LBB68_71
; %bb.77:                               ;   in Loop: Header=BB68_73 Depth=2
	v_add_u32_e32 v3, v25, v6
	s_branch .LBB68_71
.LBB68_78:                              ;   in Loop: Header=BB68_10 Depth=1
                                        ; implicit-def: $sgpr30
                                        ; implicit-def: $vgpr25
	s_cbranch_execz .LBB68_10
.LBB68_79:
	v_cmp_gt_i32_e64 s[0:1], s46, v0
	s_and_saveexec_b64 s[4:5], s[0:1]
	s_cbranch_execz .LBB68_92
; %bb.80:
	s_mul_i32 s26, s33, s46
	v_add_u32_e32 v2, s26, v1
	v_mul_lo_u32 v8, v2, s46
	s_cmp_lg_u32 s47, 0
	v_mul_u32_u24_e32 v2, 0x210, v1
	s_movk_i32 s8, 0x4200
	s_cselect_b64 s[6:7], -1, 0
	v_cmp_gt_i32_e64 s[2:3], s46, v1
	v_add3_u32 v9, v2, v19, s8
	s_mov_b64 s[8:9], 0
	v_mov_b32_e32 v10, v0
	s_branch .LBB68_82
.LBB68_81:                              ;   in Loop: Header=BB68_82 Depth=1
	s_or_b64 exec, exec, s[18:19]
	v_add_u32_e32 v10, 2, v10
	v_cmp_le_i32_e32 vcc, s46, v10
	s_waitcnt vmcnt(0)
	ds_write_b128 v9, v[2:5]
	s_or_b64 s[8:9], vcc, s[8:9]
	v_add_u32_e32 v9, 32, v9
	s_andn2_b64 exec, exec, s[8:9]
	s_cbranch_execz .LBB68_92
.LBB68_82:                              ; =>This Inner Loop Header: Depth=1
	s_and_b64 vcc, exec, s[6:7]
	s_cbranch_vccz .LBB68_86
; %bb.83:                               ;   in Loop: Header=BB68_82 Depth=1
	s_mov_b64 s[18:19], 0
	s_mov_b64 s[16:17], 0
                                        ; implicit-def: $vgpr6
	s_and_saveexec_b64 s[24:25], s[2:3]
	s_xor_b64 s[24:25], exec, s[24:25]
; %bb.84:                               ;   in Loop: Header=BB68_82 Depth=1
	v_add_u32_e32 v2, s26, v10
	s_mov_b64 s[16:17], exec
	v_mad_u64_u32 v[6:7], s[28:29], v2, s46, v[1:2]
; %bb.85:                               ;   in Loop: Header=BB68_82 Depth=1
	s_or_b64 exec, exec, s[24:25]
	s_and_b64 vcc, exec, s[18:19]
	s_cbranch_vccnz .LBB68_87
	s_branch .LBB68_90
.LBB68_86:                              ;   in Loop: Header=BB68_82 Depth=1
	s_mov_b64 s[16:17], 0
                                        ; implicit-def: $vgpr6
	s_cbranch_execz .LBB68_90
.LBB68_87:                              ;   in Loop: Header=BB68_82 Depth=1
                                        ; implicit-def: $vgpr6
	s_and_saveexec_b64 s[18:19], s[2:3]
; %bb.88:                               ;   in Loop: Header=BB68_82 Depth=1
	v_add_u32_e32 v6, v8, v10
	s_or_b64 s[16:17], s[16:17], exec
; %bb.89:                               ;   in Loop: Header=BB68_82 Depth=1
	s_or_b64 exec, exec, s[18:19]
.LBB68_90:                              ;   in Loop: Header=BB68_82 Depth=1
	v_mov_b32_e32 v2, 0
	v_mov_b32_e32 v4, 0
	;; [unrolled: 1-line block ×4, first 2 shown]
	s_and_saveexec_b64 s[18:19], s[16:17]
	s_cbranch_execz .LBB68_81
; %bb.91:                               ;   in Loop: Header=BB68_82 Depth=1
	v_ashrrev_i32_e32 v7, 31, v6
	v_lshlrev_b64 v[2:3], 4, v[6:7]
	v_mov_b32_e32 v4, s23
	v_add_co_u32_e32 v2, vcc, s22, v2
	v_addc_co_u32_e32 v3, vcc, v4, v3, vcc
	global_load_dwordx4 v[2:5], v[2:3], off
	s_branch .LBB68_81
.LBB68_92:
	s_or_b64 exec, exec, s[4:5]
	s_cmp_lt_i32 s46, 1
	s_waitcnt lgkmcnt(0)
	s_cbranch_scc1 .LBB68_111
; %bb.93:
	v_or_b32_e32 v4, v0, v1
	s_movk_i32 s4, 0x210
	v_mov_b32_e32 v2, 0x4200
	v_cmp_ne_u32_e64 s[2:3], 0, v4
	v_mov_b32_e32 v4, 0x8400
	v_mad_u32_u24 v11, v1, s4, v2
	v_mul_u32_u24_e32 v3, 0x210, v1
	s_mov_b32 s5, 0x8400
	v_mad_u32_u24 v12, v1, s4, v4
	v_lshlrev_b32_e32 v4, 4, v1
	s_mov_b32 s6, 0
	s_mov_b32 s18, 0
	s_add_i32 s19, s20, s21
	v_add_u32_e32 v13, v11, v4
	v_add_u32_e32 v14, v12, v4
	v_add3_u32 v15, v3, v19, s5
	v_mad_u32_u24 v16, v0, s4, v2
	s_brev_b32 s7, 8
	v_mov_b32_e32 v17, 0x260
	v_mov_b32_e32 v4, 0
	;; [unrolled: 1-line block ×5, first 2 shown]
	s_branch .LBB68_95
.LBB68_94:                              ;   in Loop: Header=BB68_95 Depth=1
	s_or_b64 exec, exec, s[4:5]
	s_add_i32 s18, s18, 1
	s_cmp_eq_u32 s18, s46
	v_add_u32_e32 v16, 16, v16
	s_waitcnt lgkmcnt(0)
	s_cbranch_scc1 .LBB68_111
.LBB68_95:                              ; =>This Loop Header: Depth=1
                                        ;     Child Loop BB68_110 Depth 2
	v_cmp_eq_u32_e32 vcc, s18, v1
	s_and_saveexec_b64 s[4:5], vcc
	s_cbranch_execz .LBB68_103
; %bb.96:                               ;   in Loop: Header=BB68_95 Depth=1
	ds_read_b128 v[5:8], v14
	ds_read_b128 v[22:25], v13
	s_waitcnt lgkmcnt(0)
	v_add_f64 v[2:3], v[22:23], -v[5:6]
	v_add_f64 v[9:10], v[24:25], -v[7:8]
                                        ; implicit-def: $vgpr7_vgpr8
	v_cmp_gt_f64_e32 vcc, 0, v[2:3]
	v_xor_b32_e32 v5, 0x80000000, v3
	v_xor_b32_e32 v6, 0x80000000, v10
	v_cndmask_b32_e32 v3, v3, v5, vcc
	v_cmp_gt_f64_e32 vcc, 0, v[9:10]
	v_mov_b32_e32 v5, v9
	v_cndmask_b32_e32 v6, v10, v6, vcc
	v_cmp_ngt_f64_e32 vcc, v[2:3], v[5:6]
	s_and_saveexec_b64 s[8:9], vcc
	s_xor_b64 s[8:9], exec, s[8:9]
	s_cbranch_execz .LBB68_100
; %bb.97:                               ;   in Loop: Header=BB68_95 Depth=1
	v_cmp_neq_f64_e32 vcc, 0, v[9:10]
	v_mov_b32_e32 v7, 0
	v_mov_b32_e32 v8, 0
	s_and_saveexec_b64 s[16:17], vcc
	s_cbranch_execz .LBB68_99
; %bb.98:                               ;   in Loop: Header=BB68_95 Depth=1
	v_div_scale_f64 v[7:8], s[24:25], v[5:6], v[5:6], v[2:3]
	v_rcp_f64_e32 v[9:10], v[7:8]
	v_fma_f64 v[22:23], -v[7:8], v[9:10], 1.0
	v_fma_f64 v[9:10], v[9:10], v[22:23], v[9:10]
	v_div_scale_f64 v[22:23], vcc, v[2:3], v[5:6], v[2:3]
	v_fma_f64 v[24:25], -v[7:8], v[9:10], 1.0
	v_fma_f64 v[9:10], v[9:10], v[24:25], v[9:10]
	v_mul_f64 v[24:25], v[22:23], v[9:10]
	v_fma_f64 v[7:8], -v[7:8], v[24:25], v[22:23]
	v_div_fmas_f64 v[7:8], v[7:8], v[9:10], v[24:25]
	v_div_fixup_f64 v[2:3], v[7:8], v[5:6], v[2:3]
	v_fma_f64 v[2:3], v[2:3], v[2:3], 1.0
	v_cmp_gt_f64_e32 vcc, s[6:7], v[2:3]
	v_cndmask_b32_e32 v7, 0, v20, vcc
	v_ldexp_f64 v[2:3], v[2:3], v7
	v_rsq_f64_e32 v[7:8], v[2:3]
	v_mul_f64 v[9:10], v[2:3], v[7:8]
	v_mul_f64 v[7:8], v[7:8], 0.5
	v_fma_f64 v[22:23], -v[7:8], v[9:10], 0.5
	v_fma_f64 v[9:10], v[9:10], v[22:23], v[9:10]
	v_fma_f64 v[7:8], v[7:8], v[22:23], v[7:8]
	v_fma_f64 v[22:23], -v[9:10], v[9:10], v[2:3]
	v_fma_f64 v[9:10], v[22:23], v[7:8], v[9:10]
	v_fma_f64 v[22:23], -v[9:10], v[9:10], v[2:3]
	v_fma_f64 v[7:8], v[22:23], v[7:8], v[9:10]
	v_cndmask_b32_e32 v9, 0, v21, vcc
	v_cmp_class_f64_e32 vcc, v[2:3], v17
	v_ldexp_f64 v[7:8], v[7:8], v9
	v_cndmask_b32_e32 v3, v8, v3, vcc
	v_cndmask_b32_e32 v2, v7, v2, vcc
	v_mul_f64 v[7:8], v[5:6], v[2:3]
.LBB68_99:                              ;   in Loop: Header=BB68_95 Depth=1
	s_or_b64 exec, exec, s[16:17]
                                        ; implicit-def: $vgpr2_vgpr3
                                        ; implicit-def: $vgpr5_vgpr6
.LBB68_100:                             ;   in Loop: Header=BB68_95 Depth=1
	s_andn2_saveexec_b64 s[8:9], s[8:9]
	s_cbranch_execz .LBB68_102
; %bb.101:                              ;   in Loop: Header=BB68_95 Depth=1
	v_div_scale_f64 v[7:8], s[16:17], v[2:3], v[2:3], v[5:6]
	v_rcp_f64_e32 v[9:10], v[7:8]
	v_fma_f64 v[22:23], -v[7:8], v[9:10], 1.0
	v_fma_f64 v[9:10], v[9:10], v[22:23], v[9:10]
	v_div_scale_f64 v[22:23], vcc, v[5:6], v[2:3], v[5:6]
	v_fma_f64 v[24:25], -v[7:8], v[9:10], 1.0
	v_fma_f64 v[9:10], v[9:10], v[24:25], v[9:10]
	v_mul_f64 v[24:25], v[22:23], v[9:10]
	v_fma_f64 v[7:8], -v[7:8], v[24:25], v[22:23]
	v_div_fmas_f64 v[7:8], v[7:8], v[9:10], v[24:25]
	v_div_fixup_f64 v[5:6], v[7:8], v[2:3], v[5:6]
	v_fma_f64 v[5:6], v[5:6], v[5:6], 1.0
	v_cmp_gt_f64_e32 vcc, s[6:7], v[5:6]
	v_cndmask_b32_e32 v7, 0, v20, vcc
	v_ldexp_f64 v[5:6], v[5:6], v7
	v_rsq_f64_e32 v[7:8], v[5:6]
	v_mul_f64 v[9:10], v[5:6], v[7:8]
	v_mul_f64 v[7:8], v[7:8], 0.5
	v_fma_f64 v[22:23], -v[7:8], v[9:10], 0.5
	v_fma_f64 v[9:10], v[9:10], v[22:23], v[9:10]
	v_fma_f64 v[7:8], v[7:8], v[22:23], v[7:8]
	v_fma_f64 v[22:23], -v[9:10], v[9:10], v[5:6]
	v_fma_f64 v[9:10], v[22:23], v[7:8], v[9:10]
	v_fma_f64 v[22:23], -v[9:10], v[9:10], v[5:6]
	v_fma_f64 v[7:8], v[22:23], v[7:8], v[9:10]
	v_cndmask_b32_e32 v9, 0, v21, vcc
	v_cmp_class_f64_e32 vcc, v[5:6], v17
	v_ldexp_f64 v[7:8], v[7:8], v9
	v_cndmask_b32_e32 v6, v8, v6, vcc
	v_cndmask_b32_e32 v5, v7, v5, vcc
	v_mul_f64 v[7:8], v[2:3], v[5:6]
.LBB68_102:                             ;   in Loop: Header=BB68_95 Depth=1
	s_or_b64 exec, exec, s[8:9]
	v_cmp_gt_f64_e32 vcc, s[6:7], v[7:8]
	v_cndmask_b32_e32 v2, 0, v20, vcc
	v_ldexp_f64 v[2:3], v[7:8], v2
	v_rsq_f64_e32 v[5:6], v[2:3]
	v_mul_f64 v[7:8], v[2:3], v[5:6]
	v_mul_f64 v[5:6], v[5:6], 0.5
	v_fma_f64 v[9:10], -v[5:6], v[7:8], 0.5
	v_fma_f64 v[7:8], v[7:8], v[9:10], v[7:8]
	v_fma_f64 v[5:6], v[5:6], v[9:10], v[5:6]
	v_fma_f64 v[9:10], -v[7:8], v[7:8], v[2:3]
	v_fma_f64 v[7:8], v[9:10], v[5:6], v[7:8]
	v_fma_f64 v[9:10], -v[7:8], v[7:8], v[2:3]
	v_fma_f64 v[5:6], v[9:10], v[5:6], v[7:8]
	v_cndmask_b32_e32 v7, 0, v21, vcc
	v_cmp_class_f64_e32 vcc, v[2:3], v17
	v_ldexp_f64 v[5:6], v[5:6], v7
	v_cndmask_b32_e32 v3, v6, v3, vcc
	v_cndmask_b32_e32 v2, v5, v2, vcc
	v_mov_b32_e32 v5, v4
	ds_write_b128 v13, v[2:5]
.LBB68_103:                             ;   in Loop: Header=BB68_95 Depth=1
	s_or_b64 exec, exec, s[4:5]
	s_lshl_b32 s8, s18, 4
	s_mul_i32 s4, s18, 0x210
	s_add_i32 s4, s4, s8
	v_mov_b32_e32 v2, s4
	s_waitcnt lgkmcnt(0)
	ds_read_b128 v[23:26], v2 offset:16896
	v_add_u32_e32 v22, s8, v11
	ds_read_b128 v[5:8], v22
	s_waitcnt lgkmcnt(1)
	v_cmp_neq_f64_e32 vcc, 0, v[23:24]
	v_cmp_neq_f64_e64 s[4:5], 0, v[25:26]
	s_or_b64 vcc, vcc, s[4:5]
	v_cndmask_b32_e32 v3, 0, v26, vcc
	s_nor_b64 s[8:9], vcc, s[2:3]
	v_cndmask_b32_e32 v2, 0, v25, vcc
	v_cndmask_b32_e32 v10, v18, v24, vcc
	;; [unrolled: 1-line block ×3, first 2 shown]
	s_and_saveexec_b64 s[4:5], s[8:9]
	s_cbranch_execz .LBB68_107
; %bb.104:                              ;   in Loop: Header=BB68_95 Depth=1
	v_mbcnt_lo_u32_b32 v2, exec_lo, 0
	v_mbcnt_hi_u32_b32 v2, exec_hi, v2
	v_cmp_eq_u32_e32 vcc, 0, v2
	s_and_saveexec_b64 s[8:9], vcc
	s_cbranch_execz .LBB68_106
; %bb.105:                              ;   in Loop: Header=BB68_95 Depth=1
	v_mov_b32_e32 v2, s19
	global_atomic_smin v4, v2, s[14:15]
.LBB68_106:                             ;   in Loop: Header=BB68_95 Depth=1
	s_or_b64 exec, exec, s[8:9]
	v_mov_b32_e32 v9, 0
	v_mov_b32_e32 v2, 0
	;; [unrolled: 1-line block ×4, first 2 shown]
.LBB68_107:                             ;   in Loop: Header=BB68_95 Depth=1
	s_or_b64 exec, exec, s[4:5]
	v_cmp_lt_u32_e32 vcc, s18, v1
	s_and_saveexec_b64 s[4:5], vcc
	s_cbranch_execz .LBB68_94
; %bb.108:                              ;   in Loop: Header=BB68_95 Depth=1
	v_mul_f64 v[23:24], v[2:3], v[2:3]
	v_fma_f64 v[27:28], v[9:10], v[9:10], v[23:24]
	v_div_scale_f64 v[23:24], s[8:9], v[27:28], v[27:28], 1.0
	v_rcp_f64_e32 v[25:26], v[23:24]
	v_fma_f64 v[29:30], -v[23:24], v[25:26], 1.0
	v_fma_f64 v[25:26], v[25:26], v[29:30], v[25:26]
	v_div_scale_f64 v[29:30], vcc, 1.0, v[27:28], 1.0
	v_fma_f64 v[31:32], -v[23:24], v[25:26], 1.0
	v_fma_f64 v[31:32], v[25:26], v[31:32], v[25:26]
	v_lshl_add_u32 v25, s18, 4, v12
	v_mul_f64 v[33:34], v[29:30], v[31:32]
	v_fma_f64 v[29:30], -v[23:24], v[33:34], v[29:30]
	ds_read_b128 v[23:26], v25
	s_waitcnt lgkmcnt(0)
	v_add_f64 v[7:8], v[7:8], -v[25:26]
	v_add_f64 v[5:6], v[5:6], -v[23:24]
	v_div_fmas_f64 v[25:26], v[29:30], v[31:32], v[33:34]
	v_mul_f64 v[23:24], v[2:3], v[7:8]
	v_mul_f64 v[2:3], v[2:3], -v[5:6]
	v_fma_f64 v[5:6], v[5:6], v[9:10], v[23:24]
	v_fma_f64 v[2:3], v[7:8], v[9:10], v[2:3]
	v_div_fixup_f64 v[23:24], v[25:26], v[27:28], 1.0
	v_mul_f64 v[5:6], v[23:24], v[5:6]
	v_mul_f64 v[7:8], v[23:24], v[2:3]
	ds_write_b128 v22, v[5:8]
	s_waitcnt lgkmcnt(0)
	s_and_b64 exec, exec, s[0:1]
	s_cbranch_execz .LBB68_94
; %bb.109:                              ;   in Loop: Header=BB68_95 Depth=1
	s_mov_b64 s[8:9], 0
	v_mov_b32_e32 v2, v16
	v_mov_b32_e32 v3, v15
	;; [unrolled: 1-line block ×3, first 2 shown]
.LBB68_110:                             ;   Parent Loop BB68_95 Depth=1
                                        ; =>  This Inner Loop Header: Depth=2
	ds_read_b128 v[22:25], v2
	ds_read_b128 v[26:29], v3
	v_add_u32_e32 v9, 2, v9
	v_cmp_le_i32_e32 vcc, s46, v9
	s_or_b64 s[8:9], vcc, s[8:9]
	v_add_u32_e32 v2, 0x420, v2
	s_waitcnt lgkmcnt(0)
	v_fma_f64 v[26:27], v[5:6], v[22:23], v[26:27]
	v_fma_f64 v[28:29], v[7:8], v[22:23], v[28:29]
	;; [unrolled: 1-line block ×3, first 2 shown]
	v_fma_f64 v[24:25], v[5:6], -v[24:25], v[28:29]
	ds_write_b128 v3, v[22:25]
	v_add_u32_e32 v3, 32, v3
	s_andn2_b64 exec, exec, s[8:9]
	s_cbranch_execnz .LBB68_110
	s_branch .LBB68_94
.LBB68_111:
	s_and_saveexec_b64 s[2:3], s[0:1]
	s_cbranch_execz .LBB68_120
; %bb.112:
	s_mul_i32 s33, s33, s46
	v_add_u32_e32 v2, s33, v1
	v_mul_lo_u32 v4, v2, s46
	s_cmp_lg_u32 s47, 0
	v_mul_u32_u24_e32 v2, 0x210, v1
	s_movk_i32 s6, 0x4200
	v_cmp_gt_i32_e64 s[0:1], s46, v1
	s_cselect_b64 s[4:5], -1, 0
	v_add3_u32 v5, v2, v19, s6
	s_mov_b64 s[6:7], 0
	v_mov_b32_e32 v6, v0
	s_branch .LBB68_116
.LBB68_113:                             ;   in Loop: Header=BB68_116 Depth=1
	v_add_u32_e32 v2, v4, v6
.LBB68_114:                             ;   in Loop: Header=BB68_116 Depth=1
	v_ashrrev_i32_e32 v3, 31, v2
	ds_read2_b64 v[7:10], v5 offset1:1
	v_lshlrev_b64 v[2:3], 4, v[2:3]
	v_mov_b32_e32 v11, s23
	v_add_co_u32_e32 v2, vcc, s22, v2
	v_addc_co_u32_e32 v3, vcc, v11, v3, vcc
	s_waitcnt lgkmcnt(0)
	global_store_dwordx4 v[2:3], v[7:10], off
.LBB68_115:                             ;   in Loop: Header=BB68_116 Depth=1
	s_or_b64 exec, exec, s[8:9]
	v_add_u32_e32 v6, 2, v6
	v_cmp_le_i32_e32 vcc, s46, v6
	s_or_b64 s[6:7], vcc, s[6:7]
	v_add_u32_e32 v5, 32, v5
	s_andn2_b64 exec, exec, s[6:7]
	s_cbranch_execz .LBB68_120
.LBB68_116:                             ; =>This Inner Loop Header: Depth=1
	s_and_saveexec_b64 s[8:9], s[0:1]
	s_cbranch_execz .LBB68_115
; %bb.117:                              ;   in Loop: Header=BB68_116 Depth=1
	s_and_b64 vcc, exec, s[4:5]
	s_cbranch_vccz .LBB68_119
; %bb.118:                              ;   in Loop: Header=BB68_116 Depth=1
	v_add_u32_e32 v2, s33, v6
	v_mad_u64_u32 v[2:3], s[16:17], v2, s46, v[1:2]
	s_cbranch_execnz .LBB68_114
	s_branch .LBB68_113
.LBB68_119:                             ;   in Loop: Header=BB68_116 Depth=1
                                        ; implicit-def: $vgpr2
	s_branch .LBB68_113
.LBB68_120:
	s_or_b64 exec, exec, s[2:3]
	v_or_b32_e32 v2, v0, v1
	v_cmp_eq_u32_e32 vcc, 0, v2
	s_and_saveexec_b64 s[0:1], vcc
	s_cbranch_execz .LBB68_122
; %bb.121:
	s_add_u32 s2, s10, s12
	s_addc_u32 s3, s11, s13
	v_mov_b32_e32 v2, 0
	v_mov_b32_e32 v3, 1
	s_waitcnt vmcnt(0)
	global_store_dword v2, v3, s[2:3]
.LBB68_122:
	s_or_b64 exec, exec, s[0:1]
.LBB68_123:
	s_endpgm
.LBB68_124:
	s_cbranch_execz .LBB68_123
; %bb.125:
	v_or_b32_e32 v0, v0, v1
	v_cmp_eq_u32_e32 vcc, 0, v0
	s_and_saveexec_b64 s[0:1], vcc
	s_cbranch_execz .LBB68_123
; %bb.126:
	v_mbcnt_lo_u32_b32 v0, exec_lo, 0
	v_mbcnt_hi_u32_b32 v0, exec_hi, v0
	v_cmp_eq_u32_e32 vcc, 0, v0
	s_and_saveexec_b64 s[0:1], vcc
	s_cbranch_execz .LBB68_128
; %bb.127:
	s_add_i32 s2, s20, s21
	v_mov_b32_e32 v0, 0
	v_mov_b32_e32 v1, s2
	global_atomic_smin v0, v1, s[14:15]
.LBB68_128:
	s_or_b64 exec, exec, s[0:1]
	s_add_u32 s0, s10, s12
	s_addc_u32 s1, s11, s13
	v_mov_b32_e32 v0, 0
	v_mov_b32_e32 v1, 1
	s_waitcnt vmcnt(0)
	global_store_dword v0, v1, s[0:1]
	s_endpgm
	.section	.rodata,"a",@progbits
	.p2align	6, 0x0
	.amdhsa_kernel _ZN9rocsparseL19bsric0_17_32_kernelILi64ELi32ELi32E21rocsparse_complex_numIdEEEv20rocsparse_direction_iiPKiS5_PT2_S5_PiS5_S8_21rocsparse_index_base_
		.amdhsa_group_segment_fixed_size 51072
		.amdhsa_private_segment_fixed_size 0
		.amdhsa_kernarg_size 76
		.amdhsa_user_sgpr_count 6
		.amdhsa_user_sgpr_private_segment_buffer 1
		.amdhsa_user_sgpr_dispatch_ptr 0
		.amdhsa_user_sgpr_queue_ptr 0
		.amdhsa_user_sgpr_kernarg_segment_ptr 1
		.amdhsa_user_sgpr_dispatch_id 0
		.amdhsa_user_sgpr_flat_scratch_init 0
		.amdhsa_user_sgpr_private_segment_size 0
		.amdhsa_uses_dynamic_stack 0
		.amdhsa_system_sgpr_private_segment_wavefront_offset 0
		.amdhsa_system_sgpr_workgroup_id_x 1
		.amdhsa_system_sgpr_workgroup_id_y 0
		.amdhsa_system_sgpr_workgroup_id_z 0
		.amdhsa_system_sgpr_workgroup_info 0
		.amdhsa_system_vgpr_workitem_id 1
		.amdhsa_next_free_vgpr 129
		.amdhsa_next_free_sgpr 98
		.amdhsa_reserve_vcc 1
		.amdhsa_reserve_flat_scratch 0
		.amdhsa_float_round_mode_32 0
		.amdhsa_float_round_mode_16_64 0
		.amdhsa_float_denorm_mode_32 3
		.amdhsa_float_denorm_mode_16_64 3
		.amdhsa_dx10_clamp 1
		.amdhsa_ieee_mode 1
		.amdhsa_fp16_overflow 0
		.amdhsa_exception_fp_ieee_invalid_op 0
		.amdhsa_exception_fp_denorm_src 0
		.amdhsa_exception_fp_ieee_div_zero 0
		.amdhsa_exception_fp_ieee_overflow 0
		.amdhsa_exception_fp_ieee_underflow 0
		.amdhsa_exception_fp_ieee_inexact 0
		.amdhsa_exception_int_div_zero 0
	.end_amdhsa_kernel
	.section	.text._ZN9rocsparseL19bsric0_17_32_kernelILi64ELi32ELi32E21rocsparse_complex_numIdEEEv20rocsparse_direction_iiPKiS5_PT2_S5_PiS5_S8_21rocsparse_index_base_,"axG",@progbits,_ZN9rocsparseL19bsric0_17_32_kernelILi64ELi32ELi32E21rocsparse_complex_numIdEEEv20rocsparse_direction_iiPKiS5_PT2_S5_PiS5_S8_21rocsparse_index_base_,comdat
.Lfunc_end68:
	.size	_ZN9rocsparseL19bsric0_17_32_kernelILi64ELi32ELi32E21rocsparse_complex_numIdEEEv20rocsparse_direction_iiPKiS5_PT2_S5_PiS5_S8_21rocsparse_index_base_, .Lfunc_end68-_ZN9rocsparseL19bsric0_17_32_kernelILi64ELi32ELi32E21rocsparse_complex_numIdEEEv20rocsparse_direction_iiPKiS5_PT2_S5_PiS5_S8_21rocsparse_index_base_
                                        ; -- End function
	.set _ZN9rocsparseL19bsric0_17_32_kernelILi64ELi32ELi32E21rocsparse_complex_numIdEEEv20rocsparse_direction_iiPKiS5_PT2_S5_PiS5_S8_21rocsparse_index_base_.num_vgpr, 38
	.set _ZN9rocsparseL19bsric0_17_32_kernelILi64ELi32ELi32E21rocsparse_complex_numIdEEEv20rocsparse_direction_iiPKiS5_PT2_S5_PiS5_S8_21rocsparse_index_base_.num_agpr, 0
	.set _ZN9rocsparseL19bsric0_17_32_kernelILi64ELi32ELi32E21rocsparse_complex_numIdEEEv20rocsparse_direction_iiPKiS5_PT2_S5_PiS5_S8_21rocsparse_index_base_.numbered_sgpr, 56
	.set _ZN9rocsparseL19bsric0_17_32_kernelILi64ELi32ELi32E21rocsparse_complex_numIdEEEv20rocsparse_direction_iiPKiS5_PT2_S5_PiS5_S8_21rocsparse_index_base_.num_named_barrier, 0
	.set _ZN9rocsparseL19bsric0_17_32_kernelILi64ELi32ELi32E21rocsparse_complex_numIdEEEv20rocsparse_direction_iiPKiS5_PT2_S5_PiS5_S8_21rocsparse_index_base_.private_seg_size, 0
	.set _ZN9rocsparseL19bsric0_17_32_kernelILi64ELi32ELi32E21rocsparse_complex_numIdEEEv20rocsparse_direction_iiPKiS5_PT2_S5_PiS5_S8_21rocsparse_index_base_.uses_vcc, 1
	.set _ZN9rocsparseL19bsric0_17_32_kernelILi64ELi32ELi32E21rocsparse_complex_numIdEEEv20rocsparse_direction_iiPKiS5_PT2_S5_PiS5_S8_21rocsparse_index_base_.uses_flat_scratch, 0
	.set _ZN9rocsparseL19bsric0_17_32_kernelILi64ELi32ELi32E21rocsparse_complex_numIdEEEv20rocsparse_direction_iiPKiS5_PT2_S5_PiS5_S8_21rocsparse_index_base_.has_dyn_sized_stack, 0
	.set _ZN9rocsparseL19bsric0_17_32_kernelILi64ELi32ELi32E21rocsparse_complex_numIdEEEv20rocsparse_direction_iiPKiS5_PT2_S5_PiS5_S8_21rocsparse_index_base_.has_recursion, 0
	.set _ZN9rocsparseL19bsric0_17_32_kernelILi64ELi32ELi32E21rocsparse_complex_numIdEEEv20rocsparse_direction_iiPKiS5_PT2_S5_PiS5_S8_21rocsparse_index_base_.has_indirect_call, 0
	.section	.AMDGPU.csdata,"",@progbits
; Kernel info:
; codeLenInByte = 4584
; TotalNumSgprs: 60
; NumVgprs: 38
; ScratchSize: 0
; MemoryBound: 1
; FloatMode: 240
; IeeeMode: 1
; LDSByteSize: 51072 bytes/workgroup (compile time only)
; SGPRBlocks: 12
; VGPRBlocks: 32
; NumSGPRsForWavesPerEU: 102
; NumVGPRsForWavesPerEU: 129
; Occupancy: 1
; WaveLimiterHint : 1
; COMPUTE_PGM_RSRC2:SCRATCH_EN: 0
; COMPUTE_PGM_RSRC2:USER_SGPR: 6
; COMPUTE_PGM_RSRC2:TRAP_HANDLER: 0
; COMPUTE_PGM_RSRC2:TGID_X_EN: 1
; COMPUTE_PGM_RSRC2:TGID_Y_EN: 0
; COMPUTE_PGM_RSRC2:TGID_Z_EN: 0
; COMPUTE_PGM_RSRC2:TIDIG_COMP_CNT: 1
	.section	.text._ZN9rocsparseL23bsric0_binsearch_kernelILj64ELj64ELb0E21rocsparse_complex_numIdEEEv20rocsparse_direction_iiPKiS5_PT2_S5_PiS5_S8_21rocsparse_index_base_,"axG",@progbits,_ZN9rocsparseL23bsric0_binsearch_kernelILj64ELj64ELb0E21rocsparse_complex_numIdEEEv20rocsparse_direction_iiPKiS5_PT2_S5_PiS5_S8_21rocsparse_index_base_,comdat
	.globl	_ZN9rocsparseL23bsric0_binsearch_kernelILj64ELj64ELb0E21rocsparse_complex_numIdEEEv20rocsparse_direction_iiPKiS5_PT2_S5_PiS5_S8_21rocsparse_index_base_ ; -- Begin function _ZN9rocsparseL23bsric0_binsearch_kernelILj64ELj64ELb0E21rocsparse_complex_numIdEEEv20rocsparse_direction_iiPKiS5_PT2_S5_PiS5_S8_21rocsparse_index_base_
	.p2align	8
	.type	_ZN9rocsparseL23bsric0_binsearch_kernelILj64ELj64ELb0E21rocsparse_complex_numIdEEEv20rocsparse_direction_iiPKiS5_PT2_S5_PiS5_S8_21rocsparse_index_base_,@function
_ZN9rocsparseL23bsric0_binsearch_kernelILj64ELj64ELb0E21rocsparse_complex_numIdEEEv20rocsparse_direction_iiPKiS5_PT2_S5_PiS5_S8_21rocsparse_index_base_: ; @_ZN9rocsparseL23bsric0_binsearch_kernelILj64ELj64ELb0E21rocsparse_complex_numIdEEEv20rocsparse_direction_iiPKiS5_PT2_S5_PiS5_S8_21rocsparse_index_base_
; %bb.0:
	s_load_dwordx8 s[16:23], s[4:5], 0x28
	s_ashr_i32 s7, s6, 31
	s_lshl_b64 s[0:1], s[6:7], 2
	v_mov_b32_e32 v1, 0
	s_load_dword s33, s[4:5], 0x48
	s_waitcnt lgkmcnt(0)
	s_add_u32 s0, s20, s0
	s_addc_u32 s1, s21, s1
	global_load_dword v1, v1, s[0:1]
	v_mov_b32_e32 v3, s17
	s_waitcnt vmcnt(0)
	v_ashrrev_i32_e32 v2, 31, v1
	v_lshlrev_b64 v[8:9], 2, v[1:2]
	v_add_co_u32_e32 v2, vcc, s16, v8
	v_addc_co_u32_e32 v3, vcc, v3, v9, vcc
	global_load_dword v31, v[2:3], off
	s_waitcnt vmcnt(0)
	v_readfirstlane_b32 s0, v31
	s_cmp_lg_u32 s0, -1
	s_cselect_b64 s[0:1], -1, 0
	s_and_saveexec_b64 s[2:3], s[0:1]
	s_xor_b64 s[14:15], exec, s[2:3]
	s_cbranch_execz .LBB69_76
; %bb.1:
	s_load_dword s52, s[4:5], 0x8
	s_waitcnt lgkmcnt(0)
	v_cmp_gt_i32_e32 vcc, s52, v0
	s_and_saveexec_b64 s[20:21], vcc
	s_cbranch_execz .LBB69_73
; %bb.2:
	s_load_dwordx4 s[24:27], s[4:5], 0x10
	s_load_dword s6, s[4:5], 0x0
	v_add_u32_e32 v32, s33, v1
	s_mul_i32 s53, s52, s52
	s_load_dwordx2 s[28:29], s[4:5], 0x20
	s_waitcnt lgkmcnt(0)
	v_mov_b32_e32 v3, s25
	v_add_co_u32_e32 v2, vcc, s24, v8
	v_addc_co_u32_e32 v3, vcc, v3, v9, vcc
	global_load_dwordx2 v[2:3], v[2:3], off
	v_mul_lo_u32 v38, v31, s53
	s_cmp_eq_u32 s6, 0
	s_mov_b32 s34, 0
	v_mov_b32_e32 v4, s27
	s_cselect_b64 s[2:3], -1, 0
	s_cmp_lg_u32 s6, 0
	v_cmp_ne_u32_e64 s[0:1], 0, v0
	s_mov_b64 s[30:31], 0
	s_brev_b32 s35, 8
	v_mov_b32_e32 v33, 0x260
	v_mov_b32_e32 v34, 0x3ff00000
	;; [unrolled: 1-line block ×5, first 2 shown]
	s_cselect_b64 s[36:37], -1, 0
	s_waitcnt vmcnt(0)
	v_subrev_u32_e32 v39, s33, v2
	v_xad_u32 v40, s33, -1, v3
	v_add_u32_e32 v1, v40, v39
	v_ashrrev_i32_e32 v10, 1, v1
	v_mul_lo_u32 v41, s53, v39
	v_ashrrev_i32_e32 v11, 31, v10
	v_lshlrev_b64 v[1:2], 2, v[10:11]
	v_cmp_lt_i32_e64 s[4:5], v39, v31
	v_add_co_u32_e32 v11, vcc, s26, v1
	v_cmp_ge_i32_e64 s[6:7], v39, v31
	v_cmp_lt_i32_e64 s[8:9], v39, v40
	v_add_u32_e32 v42, v41, v0
	v_addc_co_u32_e32 v12, vcc, v4, v2, vcc
	v_mov_b32_e32 v3, 0
	s_branch .LBB69_4
.LBB69_3:                               ;   in Loop: Header=BB69_4 Depth=1
	v_add_u32_e32 v37, 64, v37
	v_cmp_le_i32_e32 vcc, s52, v37
	s_or_b64 s[30:31], vcc, s[30:31]
	v_add_u32_e32 v42, 64, v42
	s_andn2_b64 exec, exec, s[30:31]
	s_cbranch_execz .LBB69_73
.LBB69_4:                               ; =>This Loop Header: Depth=1
                                        ;     Child Loop BB69_10 Depth 2
                                        ;       Child Loop BB69_13 Depth 3
                                        ;       Child Loop BB69_17 Depth 3
                                        ;         Child Loop BB69_19 Depth 4
                                        ;         Child Loop BB69_26 Depth 4
                                        ;           Child Loop BB69_28 Depth 5
                                        ;           Child Loop BB69_34 Depth 5
                                        ;     Child Loop BB69_41 Depth 2
                                        ;       Child Loop BB69_51 Depth 3
                                        ;       Child Loop BB69_59 Depth 3
                                        ;         Child Loop BB69_61 Depth 4
                                        ;       Child Loop BB69_69 Depth 3
	v_mul_lo_u32 v43, v37, s52
	s_and_saveexec_b64 s[10:11], s[6:7]
	s_xor_b64 s[10:11], exec, s[10:11]
; %bb.5:                                ;   in Loop: Header=BB69_4 Depth=1
	v_mul_lo_u32 v43, v37, s52
; %bb.6:                                ;   in Loop: Header=BB69_4 Depth=1
	s_or_saveexec_b64 s[38:39], s[10:11]
	v_mov_b32_e32 v13, 0
	v_mov_b32_e32 v15, 0
	;; [unrolled: 1-line block ×4, first 2 shown]
	s_xor_b64 exec, exec, s[38:39]
	s_cbranch_execz .LBB69_38
; %bb.7:                                ;   in Loop: Header=BB69_4 Depth=1
	v_mov_b32_e32 v13, 0
	v_mov_b32_e32 v15, 0
	;; [unrolled: 1-line block ×3, first 2 shown]
	s_mov_b64 s[40:41], 0
	v_mov_b32_e32 v16, 0
	v_mov_b32_e32 v1, v39
                                        ; implicit-def: $sgpr42_sgpr43
	s_branch .LBB69_10
.LBB69_8:                               ;   in Loop: Header=BB69_10 Depth=2
	v_add_u32_e32 v1, 1, v1
	v_cmp_ge_i32_e32 vcc, v1, v31
	s_andn2_b64 s[10:11], s[42:43], exec
	s_and_b64 s[12:13], vcc, exec
	s_or_b64 s[42:43], s[10:11], s[12:13]
.LBB69_9:                               ;   in Loop: Header=BB69_10 Depth=2
	s_or_b64 exec, exec, s[44:45]
	s_and_b64 s[10:11], exec, s[42:43]
	s_or_b64 s[40:41], s[10:11], s[40:41]
	s_andn2_b64 exec, exec, s[40:41]
	s_cbranch_execz .LBB69_37
.LBB69_10:                              ;   Parent Loop BB69_4 Depth=1
                                        ; =>  This Loop Header: Depth=2
                                        ;       Child Loop BB69_13 Depth 3
                                        ;       Child Loop BB69_17 Depth 3
                                        ;         Child Loop BB69_19 Depth 4
                                        ;         Child Loop BB69_26 Depth 4
                                        ;           Child Loop BB69_28 Depth 5
                                        ;           Child Loop BB69_34 Depth 5
	v_ashrrev_i32_e32 v2, 31, v1
	v_lshlrev_b64 v[4:5], 2, v[1:2]
	v_mov_b32_e32 v2, s27
	v_add_co_u32_e32 v4, vcc, s26, v4
	v_addc_co_u32_e32 v5, vcc, v2, v5, vcc
	global_load_dword v2, v[4:5], off
	v_mov_b32_e32 v7, s17
	s_or_b64 s[42:43], s[42:43], exec
	s_waitcnt vmcnt(0)
	v_subrev_u32_e32 v4, s33, v2
	v_ashrrev_i32_e32 v5, 31, v4
	v_lshlrev_b64 v[5:6], 2, v[4:5]
	v_add_co_u32_e32 v17, vcc, s16, v5
	v_addc_co_u32_e32 v18, vcc, v7, v6, vcc
	global_load_dword v44, v[17:18], off
	s_waitcnt vmcnt(0)
	v_cmp_ne_u32_e32 vcc, -1, v44
	s_and_saveexec_b64 s[44:45], vcc
	s_cbranch_execz .LBB69_9
; %bb.11:                               ;   in Loop: Header=BB69_10 Depth=2
	v_mov_b32_e32 v7, s25
	v_add_co_u32_e32 v17, vcc, s24, v5
	v_addc_co_u32_e32 v18, vcc, v7, v6, vcc
	global_load_dword v7, v[17:18], off
	v_mov_b32_e32 v17, s19
	v_add_co_u32_e32 v5, vcc, s18, v5
	v_addc_co_u32_e32 v6, vcc, v17, v6, vcc
	global_load_dword v17, v[5:6], off glc
	s_waitcnt vmcnt(0)
	v_cmp_eq_u32_e32 vcc, 0, v17
	s_and_saveexec_b64 s[10:11], vcc
	s_cbranch_execz .LBB69_14
; %bb.12:                               ;   in Loop: Header=BB69_10 Depth=2
	s_mov_b64 s[12:13], 0
.LBB69_13:                              ;   Parent Loop BB69_4 Depth=1
                                        ;     Parent Loop BB69_10 Depth=2
                                        ; =>    This Inner Loop Header: Depth=3
	global_load_dword v17, v[5:6], off glc
	s_waitcnt vmcnt(0)
	v_cmp_ne_u32_e32 vcc, 0, v17
	s_or_b64 s[12:13], vcc, s[12:13]
	s_andn2_b64 exec, exec, s[12:13]
	s_cbranch_execnz .LBB69_13
.LBB69_14:                              ;   in Loop: Header=BB69_10 Depth=2
	s_or_b64 exec, exec, s[10:11]
	v_mul_lo_u32 v5, v1, s53
	v_subrev_u32_e32 v45, s33, v7
	v_mul_lo_u32 v46, v4, s52
	v_mul_lo_u32 v48, s53, v45
	v_add_u32_e32 v47, v5, v37
	v_add_u32_e32 v49, v5, v43
	v_cmp_le_i32_e64 s[10:11], v45, v44
	s_mov_b32 s54, 0
	buffer_wbinvl1_vol
	s_branch .LBB69_17
.LBB69_15:                              ;   in Loop: Header=BB69_17 Depth=3
	s_or_b64 exec, exec, s[46:47]
.LBB69_16:                              ;   in Loop: Header=BB69_17 Depth=3
	s_or_b64 exec, exec, s[12:13]
	v_mul_f64 v[27:28], v[19:20], v[19:20]
	s_waitcnt vmcnt(0)
	v_add_f64 v[6:7], v[6:7], -v[23:24]
	v_add_f64 v[4:5], v[4:5], -v[25:26]
	s_add_i32 s54, s54, 1
	s_cmp_eq_u32 s54, s52
	v_add_u32_e32 v48, 1, v48
	v_fma_f64 v[27:28], v[17:18], v[17:18], v[27:28]
	v_mul_f64 v[25:26], v[19:20], v[6:7]
	v_mul_f64 v[19:20], v[19:20], -v[4:5]
	v_div_scale_f64 v[29:30], s[12:13], v[27:28], v[27:28], 1.0
	v_fma_f64 v[4:5], v[4:5], v[17:18], v[25:26]
	v_fma_f64 v[6:7], v[6:7], v[17:18], v[19:20]
	v_rcp_f64_e32 v[50:51], v[29:30]
	v_fma_f64 v[52:53], -v[29:30], v[50:51], 1.0
	v_fma_f64 v[50:51], v[50:51], v[52:53], v[50:51]
	v_div_scale_f64 v[52:53], vcc, 1.0, v[27:28], 1.0
	v_fma_f64 v[54:55], -v[29:30], v[50:51], 1.0
	v_fma_f64 v[50:51], v[50:51], v[54:55], v[50:51]
	v_mul_f64 v[54:55], v[52:53], v[50:51]
	v_fma_f64 v[29:30], -v[29:30], v[54:55], v[52:53]
	v_div_fmas_f64 v[23:24], v[29:30], v[50:51], v[54:55]
	v_div_fixup_f64 v[23:24], v[23:24], v[27:28], 1.0
	v_mul_f64 v[4:5], v[23:24], v[4:5]
	v_mul_f64 v[6:7], v[23:24], v[6:7]
	v_fma_f64 v[15:16], v[4:5], v[4:5], v[15:16]
	v_fma_f64 v[13:14], v[6:7], v[4:5], v[13:14]
	global_store_dwordx4 v[21:22], v[4:7], off
	v_fma_f64 v[15:16], v[6:7], v[6:7], v[15:16]
	v_fma_f64 v[13:14], v[4:5], -v[6:7], v[13:14]
	s_cbranch_scc1 .LBB69_8
.LBB69_17:                              ;   Parent Loop BB69_4 Depth=1
                                        ;     Parent Loop BB69_10 Depth=2
                                        ; =>    This Loop Header: Depth=3
                                        ;         Child Loop BB69_19 Depth 4
                                        ;         Child Loop BB69_26 Depth 4
                                        ;           Child Loop BB69_28 Depth 5
                                        ;           Child Loop BB69_34 Depth 5
	v_mul_lo_u32 v4, v44, s53
	s_mul_i32 s55, s54, s52
	s_add_i32 s12, s55, s54
	v_mov_b32_e32 v6, s29
	v_add_u32_e32 v4, s12, v4
	v_ashrrev_i32_e32 v5, 31, v4
	v_lshlrev_b64 v[4:5], 4, v[4:5]
	v_add_co_u32_e32 v4, vcc, s28, v4
	v_addc_co_u32_e32 v5, vcc, v6, v5, vcc
	global_load_dwordx4 v[4:7], v[4:5], off
	s_waitcnt vmcnt(0)
	v_cmp_neq_f64_e32 vcc, 0, v[4:5]
	v_cmp_neq_f64_e64 s[12:13], 0, v[6:7]
	s_or_b64 vcc, vcc, s[12:13]
	v_cndmask_b32_e32 v18, v34, v5, vcc
	s_nor_b64 s[46:47], vcc, s[0:1]
	v_cndmask_b32_e32 v17, 0, v4, vcc
	v_cndmask_b32_e32 v20, 0, v7, vcc
	;; [unrolled: 1-line block ×3, first 2 shown]
	s_and_saveexec_b64 s[12:13], s[46:47]
	s_cbranch_execz .LBB69_23
; %bb.18:                               ;   in Loop: Header=BB69_17 Depth=3
	s_mov_b64 s[46:47], exec
	s_brev_b32 s48, -2
.LBB69_19:                              ;   Parent Loop BB69_4 Depth=1
                                        ;     Parent Loop BB69_10 Depth=2
                                        ;       Parent Loop BB69_17 Depth=3
                                        ; =>      This Inner Loop Header: Depth=4
	s_ff1_i32_b64 s49, s[46:47]
	v_readlane_b32 s56, v2, s49
	s_lshl_b64 s[50:51], 1, s49
	s_min_i32 s48, s48, s56
	s_andn2_b64 s[46:47], s[46:47], s[50:51]
	s_cmp_lg_u64 s[46:47], 0
	s_cbranch_scc1 .LBB69_19
; %bb.20:                               ;   in Loop: Header=BB69_17 Depth=3
	v_mbcnt_lo_u32_b32 v4, exec_lo, 0
	v_mbcnt_hi_u32_b32 v4, exec_hi, v4
	v_cmp_eq_u32_e32 vcc, 0, v4
	s_and_saveexec_b64 s[46:47], vcc
	s_xor_b64 s[46:47], exec, s[46:47]
	s_cbranch_execz .LBB69_22
; %bb.21:                               ;   in Loop: Header=BB69_17 Depth=3
	v_mov_b32_e32 v4, s48
	global_atomic_smin v3, v4, s[22:23]
.LBB69_22:                              ;   in Loop: Header=BB69_17 Depth=3
	s_or_b64 exec, exec, s[46:47]
	v_mov_b32_e32 v17, 0
	v_mov_b32_e32 v19, 0
	;; [unrolled: 1-line block ×4, first 2 shown]
.LBB69_23:                              ;   in Loop: Header=BB69_17 Depth=3
	s_or_b64 exec, exec, s[12:13]
	v_add_u32_e32 v4, s54, v49
	v_add_u32_e32 v5, s55, v47
	v_cndmask_b32_e64 v4, v5, v4, s[2:3]
	v_ashrrev_i32_e32 v5, 31, v4
	v_lshlrev_b64 v[4:5], 4, v[4:5]
	v_mov_b32_e32 v6, s29
	v_add_co_u32_e32 v21, vcc, s28, v4
	v_addc_co_u32_e32 v22, vcc, v6, v5, vcc
	global_load_dwordx4 v[4:7], v[21:22], off
	v_mov_b32_e32 v23, 0
	v_mov_b32_e32 v25, 0
	;; [unrolled: 1-line block ×4, first 2 shown]
	s_and_saveexec_b64 s[12:13], s[10:11]
	s_cbranch_execz .LBB69_16
; %bb.24:                               ;   in Loop: Header=BB69_17 Depth=3
	global_load_dword v50, v[11:12], off
	v_mov_b32_e32 v23, 0
	v_mov_b32_e32 v25, 0
	v_mov_b32_e32 v24, 0
	s_mov_b64 s[46:47], 0
	v_mov_b32_e32 v51, v48
	v_mov_b32_e32 v26, 0
	;; [unrolled: 1-line block ×3, first 2 shown]
	s_branch .LBB69_26
.LBB69_25:                              ;   in Loop: Header=BB69_26 Depth=4
	s_or_b64 exec, exec, s[48:49]
	v_add_u32_e32 v28, 1, v27
	v_cmp_ge_i32_e32 vcc, v27, v44
	v_add_u32_e32 v51, s53, v51
	s_or_b64 s[46:47], vcc, s[46:47]
	v_mov_b32_e32 v27, v28
	s_andn2_b64 exec, exec, s[46:47]
	s_cbranch_execz .LBB69_15
.LBB69_26:                              ;   Parent Loop BB69_4 Depth=1
                                        ;     Parent Loop BB69_10 Depth=2
                                        ;       Parent Loop BB69_17 Depth=3
                                        ; =>      This Loop Header: Depth=4
                                        ;           Child Loop BB69_28 Depth 5
                                        ;           Child Loop BB69_34 Depth 5
	v_ashrrev_i32_e32 v28, 31, v27
	v_lshlrev_b64 v[28:29], 2, v[27:28]
	v_mov_b32_e32 v30, s27
	v_add_co_u32_e32 v28, vcc, s26, v28
	v_addc_co_u32_e32 v29, vcc, v30, v29, vcc
	global_load_dword v30, v[28:29], off
	s_waitcnt vmcnt(1)
	v_mov_b32_e32 v29, v50
	v_mov_b32_e32 v28, v10
	s_and_saveexec_b64 s[48:49], s[8:9]
	s_cbranch_execz .LBB69_30
; %bb.27:                               ;   in Loop: Header=BB69_26 Depth=4
	s_mov_b64 s[50:51], 0
	v_mov_b32_e32 v29, v50
	v_mov_b32_e32 v28, v10
	;; [unrolled: 1-line block ×4, first 2 shown]
.LBB69_28:                              ;   Parent Loop BB69_4 Depth=1
                                        ;     Parent Loop BB69_10 Depth=2
                                        ;       Parent Loop BB69_17 Depth=3
                                        ;         Parent Loop BB69_26 Depth=4
                                        ; =>        This Inner Loop Header: Depth=5
	v_add_u32_e32 v54, 1, v28
	s_waitcnt vmcnt(0)
	v_cmp_lt_i32_e32 vcc, v29, v30
	v_cndmask_b32_e32 v53, v28, v53, vcc
	v_cndmask_b32_e32 v52, v52, v54, vcc
	v_add_u32_e32 v28, v53, v52
	v_ashrrev_i32_e32 v28, 1, v28
	v_ashrrev_i32_e32 v29, 31, v28
	v_lshlrev_b64 v[54:55], 2, v[28:29]
	v_mov_b32_e32 v29, s27
	v_add_co_u32_e32 v54, vcc, s26, v54
	v_addc_co_u32_e32 v55, vcc, v29, v55, vcc
	global_load_dword v29, v[54:55], off
	v_cmp_ge_i32_e32 vcc, v52, v53
	s_or_b64 s[50:51], vcc, s[50:51]
	s_andn2_b64 exec, exec, s[50:51]
	s_cbranch_execnz .LBB69_28
; %bb.29:                               ;   in Loop: Header=BB69_26 Depth=4
	s_or_b64 exec, exec, s[50:51]
.LBB69_30:                              ;   in Loop: Header=BB69_26 Depth=4
	s_or_b64 exec, exec, s[48:49]
	s_waitcnt vmcnt(0)
	v_cmp_eq_u32_e32 vcc, v29, v30
	s_and_saveexec_b64 s[48:49], vcc
	s_cbranch_execz .LBB69_25
; %bb.31:                               ;   in Loop: Header=BB69_26 Depth=4
	v_mul_lo_u32 v29, v27, s53
	v_mul_lo_u32 v28, v28, s53
	v_subrev_u32_e32 v30, s33, v30
	v_mul_lo_u32 v52, v30, s52
	v_add_u32_e32 v53, s55, v29
	v_add_u32_e32 v54, v28, v43
	v_add_u32_e32 v55, v37, v28
	s_mov_b32 s56, 0
	v_mov_b32_e32 v56, v51
	s_branch .LBB69_34
.LBB69_32:                              ;   in Loop: Header=BB69_34 Depth=5
	v_ashrrev_i32_e32 v30, 31, v29
	v_lshlrev_b64 v[29:30], 4, v[29:30]
	v_mov_b32_e32 v58, s29
	v_add_co_u32_e32 v57, vcc, s28, v29
	v_ashrrev_i32_e32 v29, 31, v28
	v_lshlrev_b64 v[28:29], 4, v[28:29]
	v_addc_co_u32_e32 v58, vcc, v58, v30, vcc
	v_mov_b32_e32 v30, s29
	v_add_co_u32_e32 v28, vcc, s28, v28
	v_addc_co_u32_e32 v29, vcc, v30, v29, vcc
	global_load_dwordx4 v[57:60], v[57:58], off
	s_nop 0
	global_load_dwordx4 v[61:64], v[28:29], off
	s_waitcnt vmcnt(0)
	v_fma_f64 v[25:26], v[57:58], v[61:62], v[25:26]
	v_fma_f64 v[23:24], v[59:60], v[61:62], v[23:24]
	;; [unrolled: 1-line block ×3, first 2 shown]
	v_fma_f64 v[23:24], v[57:58], -v[63:64], v[23:24]
.LBB69_33:                              ;   in Loop: Header=BB69_34 Depth=5
	s_or_b64 exec, exec, s[50:51]
	s_add_i32 s56, s56, 1
	v_add_u32_e32 v55, s52, v55
	s_cmp_lg_u32 s52, s56
	v_add_u32_e32 v56, s52, v56
	s_cbranch_scc0 .LBB69_25
.LBB69_34:                              ;   Parent Loop BB69_4 Depth=1
                                        ;     Parent Loop BB69_10 Depth=2
                                        ;       Parent Loop BB69_17 Depth=3
                                        ;         Parent Loop BB69_26 Depth=4
                                        ; =>        This Inner Loop Header: Depth=5
	v_add_u32_e32 v28, s56, v52
	v_add_u32_e32 v29, s54, v46
	v_cmp_lt_i32_e32 vcc, v28, v29
	s_and_saveexec_b64 s[50:51], vcc
	s_cbranch_execz .LBB69_33
; %bb.35:                               ;   in Loop: Header=BB69_34 Depth=5
	s_andn2_b64 vcc, exec, s[2:3]
	v_mov_b32_e32 v28, v55
	v_mov_b32_e32 v29, v56
	s_cbranch_vccnz .LBB69_32
; %bb.36:                               ;   in Loop: Header=BB69_34 Depth=5
	v_add_u32_e32 v29, s56, v53
	v_add_u32_e32 v28, s56, v54
	s_branch .LBB69_32
.LBB69_37:                              ;   in Loop: Header=BB69_4 Depth=1
	s_or_b64 exec, exec, s[40:41]
.LBB69_38:                              ;   in Loop: Header=BB69_4 Depth=1
	s_or_b64 exec, exec, s[38:39]
	v_add_u32_e32 v28, v43, v38
	s_mov_b32 s42, 0
	v_mov_b32_e32 v29, v41
	s_branch .LBB69_41
.LBB69_39:                              ;   in Loop: Header=BB69_41 Depth=2
	v_mul_f64 v[25:26], v[1:2], v[1:2]
	s_waitcnt vmcnt(0)
	v_add_f64 v[6:7], v[6:7], -v[23:24]
	v_add_f64 v[4:5], v[4:5], -v[21:22]
	v_fma_f64 v[25:26], v[17:18], v[17:18], v[25:26]
	v_mul_f64 v[21:22], v[1:2], v[6:7]
	v_mul_f64 v[1:2], v[1:2], -v[4:5]
	v_div_scale_f64 v[44:45], s[12:13], v[25:26], v[25:26], 1.0
	v_fma_f64 v[4:5], v[4:5], v[17:18], v[21:22]
	v_fma_f64 v[1:2], v[6:7], v[17:18], v[1:2]
	v_rcp_f64_e32 v[46:47], v[44:45]
	v_fma_f64 v[48:49], -v[44:45], v[46:47], 1.0
	v_fma_f64 v[46:47], v[46:47], v[48:49], v[46:47]
	v_div_scale_f64 v[48:49], vcc, 1.0, v[25:26], 1.0
	v_fma_f64 v[50:51], -v[44:45], v[46:47], 1.0
	v_fma_f64 v[46:47], v[46:47], v[50:51], v[46:47]
	v_mul_f64 v[50:51], v[48:49], v[46:47]
	v_fma_f64 v[44:45], -v[44:45], v[50:51], v[48:49]
	v_div_fmas_f64 v[23:24], v[44:45], v[46:47], v[50:51]
	v_div_fixup_f64 v[21:22], v[23:24], v[25:26], 1.0
	v_mul_f64 v[4:5], v[21:22], v[4:5]
	v_mul_f64 v[6:7], v[21:22], v[1:2]
	v_fma_f64 v[1:2], v[4:5], v[4:5], v[15:16]
	v_fma_f64 v[13:14], v[6:7], v[4:5], v[13:14]
	global_store_dwordx4 v[19:20], v[4:7], off
	v_fma_f64 v[15:16], v[6:7], v[6:7], v[1:2]
	v_fma_f64 v[13:14], v[4:5], -v[6:7], v[13:14]
.LBB69_40:                              ;   in Loop: Header=BB69_41 Depth=2
	s_or_b64 exec, exec, s[10:11]
	s_add_i32 s42, s42, 1
	s_cmp_eq_u32 s42, s52
	v_add_u32_e32 v29, 1, v29
	s_waitcnt vmcnt(0)
	buffer_wbinvl1_vol
	s_cbranch_scc1 .LBB69_3
.LBB69_41:                              ;   Parent Loop BB69_4 Depth=1
                                        ; =>  This Loop Header: Depth=2
                                        ;       Child Loop BB69_51 Depth 3
                                        ;       Child Loop BB69_59 Depth 3
                                        ;         Child Loop BB69_61 Depth 4
                                        ;       Child Loop BB69_69 Depth 3
	s_mul_i32 s43, s42, s52
	v_add_u32_e32 v30, s43, v38
	v_add_u32_e32 v1, s42, v30
	v_ashrrev_i32_e32 v2, 31, v1
	v_lshlrev_b64 v[5:6], 4, v[1:2]
	v_cmp_eq_u32_e32 vcc, s42, v37
	s_and_saveexec_b64 s[10:11], vcc
	s_cbranch_execz .LBB69_49
; %bb.42:                               ;   in Loop: Header=BB69_41 Depth=2
	v_mov_b32_e32 v1, s29
	v_add_co_u32_e32 v17, vcc, s28, v5
	v_addc_co_u32_e32 v18, vcc, v1, v6, vcc
	global_load_dwordx4 v[19:22], v[17:18], off
	s_waitcnt vmcnt(0)
	v_add_f64 v[1:2], v[19:20], -v[15:16]
	v_add_f64 v[23:24], v[21:22], -v[13:14]
                                        ; implicit-def: $vgpr21_vgpr22
	v_cmp_gt_f64_e32 vcc, 0, v[1:2]
	v_xor_b32_e32 v4, 0x80000000, v2
	v_xor_b32_e32 v7, 0x80000000, v24
	v_mov_b32_e32 v19, v23
	v_cndmask_b32_e32 v2, v2, v4, vcc
	v_cmp_gt_f64_e32 vcc, 0, v[23:24]
	v_cndmask_b32_e32 v20, v24, v7, vcc
	v_cmp_ngt_f64_e32 vcc, v[1:2], v[19:20]
	s_and_saveexec_b64 s[12:13], vcc
	s_xor_b64 s[12:13], exec, s[12:13]
	s_cbranch_execz .LBB69_46
; %bb.43:                               ;   in Loop: Header=BB69_41 Depth=2
	v_cmp_neq_f64_e32 vcc, 0, v[23:24]
	v_mov_b32_e32 v21, 0
	v_mov_b32_e32 v22, 0
	s_and_saveexec_b64 s[38:39], vcc
	s_cbranch_execz .LBB69_45
; %bb.44:                               ;   in Loop: Header=BB69_41 Depth=2
	v_div_scale_f64 v[21:22], s[40:41], v[19:20], v[19:20], v[1:2]
	v_rcp_f64_e32 v[23:24], v[21:22]
	v_fma_f64 v[25:26], -v[21:22], v[23:24], 1.0
	v_fma_f64 v[23:24], v[23:24], v[25:26], v[23:24]
	v_div_scale_f64 v[25:26], vcc, v[1:2], v[19:20], v[1:2]
	v_fma_f64 v[44:45], -v[21:22], v[23:24], 1.0
	v_fma_f64 v[23:24], v[23:24], v[44:45], v[23:24]
	v_mul_f64 v[44:45], v[25:26], v[23:24]
	v_fma_f64 v[21:22], -v[21:22], v[44:45], v[25:26]
	v_div_fmas_f64 v[21:22], v[21:22], v[23:24], v[44:45]
	v_div_fixup_f64 v[1:2], v[21:22], v[19:20], v[1:2]
	v_fma_f64 v[1:2], v[1:2], v[1:2], 1.0
	v_cmp_gt_f64_e32 vcc, s[34:35], v[1:2]
	v_cndmask_b32_e32 v4, 0, v35, vcc
	v_ldexp_f64 v[1:2], v[1:2], v4
	v_cndmask_b32_e32 v4, 0, v36, vcc
	v_rsq_f64_e32 v[21:22], v[1:2]
	v_cmp_class_f64_e32 vcc, v[1:2], v33
	v_mul_f64 v[23:24], v[1:2], v[21:22]
	v_mul_f64 v[21:22], v[21:22], 0.5
	v_fma_f64 v[25:26], -v[21:22], v[23:24], 0.5
	v_fma_f64 v[23:24], v[23:24], v[25:26], v[23:24]
	v_fma_f64 v[21:22], v[21:22], v[25:26], v[21:22]
	v_fma_f64 v[25:26], -v[23:24], v[23:24], v[1:2]
	v_fma_f64 v[23:24], v[25:26], v[21:22], v[23:24]
	v_fma_f64 v[25:26], -v[23:24], v[23:24], v[1:2]
	v_fma_f64 v[21:22], v[25:26], v[21:22], v[23:24]
	v_ldexp_f64 v[21:22], v[21:22], v4
	v_cndmask_b32_e32 v2, v22, v2, vcc
	v_cndmask_b32_e32 v1, v21, v1, vcc
	v_mul_f64 v[21:22], v[19:20], v[1:2]
.LBB69_45:                              ;   in Loop: Header=BB69_41 Depth=2
	s_or_b64 exec, exec, s[38:39]
                                        ; implicit-def: $vgpr1_vgpr2
                                        ; implicit-def: $vgpr19_vgpr20
.LBB69_46:                              ;   in Loop: Header=BB69_41 Depth=2
	s_andn2_saveexec_b64 s[12:13], s[12:13]
	s_cbranch_execz .LBB69_48
; %bb.47:                               ;   in Loop: Header=BB69_41 Depth=2
	v_div_scale_f64 v[21:22], s[38:39], v[1:2], v[1:2], v[19:20]
	v_rcp_f64_e32 v[23:24], v[21:22]
	v_fma_f64 v[25:26], -v[21:22], v[23:24], 1.0
	v_fma_f64 v[23:24], v[23:24], v[25:26], v[23:24]
	v_div_scale_f64 v[25:26], vcc, v[19:20], v[1:2], v[19:20]
	v_fma_f64 v[44:45], -v[21:22], v[23:24], 1.0
	v_fma_f64 v[23:24], v[23:24], v[44:45], v[23:24]
	v_mul_f64 v[44:45], v[25:26], v[23:24]
	v_fma_f64 v[21:22], -v[21:22], v[44:45], v[25:26]
	v_div_fmas_f64 v[21:22], v[21:22], v[23:24], v[44:45]
	v_div_fixup_f64 v[19:20], v[21:22], v[1:2], v[19:20]
	v_fma_f64 v[19:20], v[19:20], v[19:20], 1.0
	v_cmp_gt_f64_e32 vcc, s[34:35], v[19:20]
	v_cndmask_b32_e32 v4, 0, v35, vcc
	v_ldexp_f64 v[19:20], v[19:20], v4
	v_cndmask_b32_e32 v4, 0, v36, vcc
	v_rsq_f64_e32 v[21:22], v[19:20]
	v_cmp_class_f64_e32 vcc, v[19:20], v33
	v_mul_f64 v[23:24], v[19:20], v[21:22]
	v_mul_f64 v[21:22], v[21:22], 0.5
	v_fma_f64 v[25:26], -v[21:22], v[23:24], 0.5
	v_fma_f64 v[23:24], v[23:24], v[25:26], v[23:24]
	v_fma_f64 v[21:22], v[21:22], v[25:26], v[21:22]
	v_fma_f64 v[25:26], -v[23:24], v[23:24], v[19:20]
	v_fma_f64 v[23:24], v[25:26], v[21:22], v[23:24]
	v_fma_f64 v[25:26], -v[23:24], v[23:24], v[19:20]
	v_fma_f64 v[21:22], v[25:26], v[21:22], v[23:24]
	v_ldexp_f64 v[21:22], v[21:22], v4
	v_cndmask_b32_e32 v20, v22, v20, vcc
	v_cndmask_b32_e32 v19, v21, v19, vcc
	v_mul_f64 v[21:22], v[1:2], v[19:20]
.LBB69_48:                              ;   in Loop: Header=BB69_41 Depth=2
	s_or_b64 exec, exec, s[12:13]
	v_cmp_gt_f64_e32 vcc, s[34:35], v[21:22]
	v_cndmask_b32_e32 v1, 0, v35, vcc
	v_ldexp_f64 v[1:2], v[21:22], v1
	v_cndmask_b32_e32 v4, 0, v36, vcc
	v_rsq_f64_e32 v[19:20], v[1:2]
	v_cmp_class_f64_e32 vcc, v[1:2], v33
	v_mul_f64 v[21:22], v[1:2], v[19:20]
	v_mul_f64 v[19:20], v[19:20], 0.5
	v_fma_f64 v[23:24], -v[19:20], v[21:22], 0.5
	v_fma_f64 v[21:22], v[21:22], v[23:24], v[21:22]
	v_fma_f64 v[19:20], v[19:20], v[23:24], v[19:20]
	v_fma_f64 v[23:24], -v[21:22], v[21:22], v[1:2]
	v_fma_f64 v[21:22], v[23:24], v[19:20], v[21:22]
	v_fma_f64 v[23:24], -v[21:22], v[21:22], v[1:2]
	v_fma_f64 v[19:20], v[23:24], v[19:20], v[21:22]
	v_ldexp_f64 v[19:20], v[19:20], v4
	v_mov_b32_e32 v4, v3
	v_cndmask_b32_e32 v2, v20, v2, vcc
	v_cndmask_b32_e32 v1, v19, v1, vcc
	global_store_dwordx4 v[17:18], v[1:4], off
.LBB69_49:                              ;   in Loop: Header=BB69_41 Depth=2
	s_or_b64 exec, exec, s[10:11]
	v_mov_b32_e32 v2, s29
	v_add_co_u32_e32 v1, vcc, s28, v5
	v_addc_co_u32_e32 v2, vcc, v2, v6, vcc
	s_waitcnt vmcnt(0)
	buffer_wbinvl1_vol
	global_load_dwordx4 v[4:7], v[1:2], off
	s_waitcnt vmcnt(0)
	v_cmp_neq_f64_e32 vcc, 0, v[4:5]
	v_cmp_neq_f64_e64 s[10:11], 0, v[6:7]
	s_or_b64 vcc, vcc, s[10:11]
	v_cndmask_b32_e32 v2, 0, v7, vcc
	s_nor_b64 s[12:13], vcc, s[0:1]
	v_cndmask_b32_e32 v1, 0, v6, vcc
	v_cndmask_b32_e32 v18, v34, v5, vcc
	;; [unrolled: 1-line block ×3, first 2 shown]
	s_and_saveexec_b64 s[10:11], s[12:13]
	s_cbranch_execz .LBB69_55
; %bb.50:                               ;   in Loop: Header=BB69_41 Depth=2
	s_mov_b64 s[12:13], exec
	s_brev_b32 s38, -2
.LBB69_51:                              ;   Parent Loop BB69_4 Depth=1
                                        ;     Parent Loop BB69_41 Depth=2
                                        ; =>    This Inner Loop Header: Depth=3
	s_ff1_i32_b64 s39, s[12:13]
	v_readlane_b32 s44, v32, s39
	s_lshl_b64 s[40:41], 1, s39
	s_min_i32 s38, s38, s44
	s_andn2_b64 s[12:13], s[12:13], s[40:41]
	s_cmp_lg_u64 s[12:13], 0
	s_cbranch_scc1 .LBB69_51
; %bb.52:                               ;   in Loop: Header=BB69_41 Depth=2
	v_mbcnt_lo_u32_b32 v1, exec_lo, 0
	v_mbcnt_hi_u32_b32 v1, exec_hi, v1
	v_cmp_eq_u32_e32 vcc, 0, v1
	s_and_saveexec_b64 s[12:13], vcc
	s_xor_b64 s[12:13], exec, s[12:13]
	s_cbranch_execz .LBB69_54
; %bb.53:                               ;   in Loop: Header=BB69_41 Depth=2
	v_mov_b32_e32 v1, s38
	global_atomic_smin v3, v1, s[22:23]
.LBB69_54:                              ;   in Loop: Header=BB69_41 Depth=2
	s_or_b64 exec, exec, s[12:13]
	v_mov_b32_e32 v1, 0
	v_mov_b32_e32 v17, 0
	;; [unrolled: 1-line block ×4, first 2 shown]
.LBB69_55:                              ;   in Loop: Header=BB69_41 Depth=2
	s_or_b64 exec, exec, s[10:11]
	v_cmp_lt_i32_e32 vcc, s42, v37
	s_and_saveexec_b64 s[10:11], vcc
	s_cbranch_execz .LBB69_40
; %bb.56:                               ;   in Loop: Header=BB69_41 Depth=2
	v_add_u32_e32 v4, s42, v28
	v_add_u32_e32 v5, v30, v37
	v_cndmask_b32_e64 v4, v5, v4, s[2:3]
	v_ashrrev_i32_e32 v5, 31, v4
	v_lshlrev_b64 v[4:5], 4, v[4:5]
	v_mov_b32_e32 v6, s29
	v_add_co_u32_e32 v19, vcc, s28, v4
	v_addc_co_u32_e32 v20, vcc, v6, v5, vcc
	global_load_dwordx4 v[4:7], v[19:20], off
	v_mov_b32_e32 v21, 0
	v_mov_b32_e32 v23, 0
	;; [unrolled: 1-line block ×4, first 2 shown]
	s_and_saveexec_b64 s[12:13], s[4:5]
	s_cbranch_execz .LBB69_66
; %bb.57:                               ;   in Loop: Header=BB69_41 Depth=2
	v_mov_b32_e32 v21, 0
	v_mov_b32_e32 v23, 0
	;; [unrolled: 1-line block ×3, first 2 shown]
	s_mov_b64 s[38:39], 0
	v_mov_b32_e32 v44, v29
	v_mov_b32_e32 v45, v42
	;; [unrolled: 1-line block ×4, first 2 shown]
	s_branch .LBB69_59
.LBB69_58:                              ;   in Loop: Header=BB69_59 Depth=3
	v_add_u32_e32 v46, 1, v46
	v_cmp_ge_i32_e32 vcc, v46, v31
	v_add_u32_e32 v45, s53, v45
	s_or_b64 s[38:39], vcc, s[38:39]
	v_add_u32_e32 v44, s53, v44
	s_andn2_b64 exec, exec, s[38:39]
	s_cbranch_execz .LBB69_65
.LBB69_59:                              ;   Parent Loop BB69_4 Depth=1
                                        ;     Parent Loop BB69_41 Depth=2
                                        ; =>    This Loop Header: Depth=3
                                        ;         Child Loop BB69_61 Depth 4
	v_mul_lo_u32 v25, v46, s53
	s_mov_b32 s44, 0
	s_mov_b32 s45, s52
	s_mov_b32 s46, 0
	v_add_u32_e32 v47, s43, v25
	v_add_u32_e32 v48, v25, v43
	s_branch .LBB69_61
.LBB69_60:                              ;   in Loop: Header=BB69_61 Depth=4
	v_ashrrev_i32_e32 v27, 31, v26
	v_lshlrev_b64 v[26:27], 4, v[26:27]
	v_mov_b32_e32 v49, s29
	v_add_co_u32_e32 v57, vcc, s28, v26
	v_ashrrev_i32_e32 v26, 31, v25
	v_lshlrev_b64 v[25:26], 4, v[25:26]
	v_addc_co_u32_e32 v58, vcc, v49, v27, vcc
	v_add_co_u32_e32 v25, vcc, s28, v25
	v_addc_co_u32_e32 v26, vcc, v49, v26, vcc
	global_load_dwordx4 v[49:52], v[57:58], off
	global_load_dwordx4 v[53:56], v[25:26], off
	s_add_i32 s46, s46, 1
	s_add_i32 s44, s44, s52
	s_add_i32 s45, s45, -1
	s_cmp_eq_u32 s45, 0
	s_waitcnt vmcnt(0)
	v_fma_f64 v[21:22], v[53:54], v[49:50], v[21:22]
	v_fma_f64 v[23:24], v[55:56], v[49:50], v[23:24]
	;; [unrolled: 1-line block ×3, first 2 shown]
	v_fma_f64 v[23:24], v[53:54], -v[51:52], v[23:24]
	s_cbranch_scc1 .LBB69_58
.LBB69_61:                              ;   Parent Loop BB69_4 Depth=1
                                        ;     Parent Loop BB69_41 Depth=2
                                        ;       Parent Loop BB69_59 Depth=3
                                        ; =>      This Inner Loop Header: Depth=4
	s_mov_b64 s[40:41], -1
	s_and_b64 vcc, exec, s[36:37]
                                        ; implicit-def: $vgpr26
                                        ; implicit-def: $vgpr25
	s_cbranch_vccz .LBB69_63
; %bb.62:                               ;   in Loop: Header=BB69_61 Depth=4
	v_add_u32_e32 v25, s44, v44
	v_add_u32_e32 v26, s44, v45
	s_mov_b64 s[40:41], 0
.LBB69_63:                              ;   in Loop: Header=BB69_61 Depth=4
	s_andn2_b64 vcc, exec, s[40:41]
	s_cbranch_vccnz .LBB69_60
; %bb.64:                               ;   in Loop: Header=BB69_61 Depth=4
	v_add_u32_e32 v25, s46, v47
	v_add_u32_e32 v26, s46, v48
	s_branch .LBB69_60
.LBB69_65:                              ;   in Loop: Header=BB69_41 Depth=2
	s_or_b64 exec, exec, s[38:39]
.LBB69_66:                              ;   in Loop: Header=BB69_41 Depth=2
	s_or_b64 exec, exec, s[12:13]
	s_cmp_eq_u32 s42, 0
	s_cbranch_scc1 .LBB69_39
; %bb.67:                               ;   in Loop: Header=BB69_41 Depth=2
	s_mov_b32 s38, 0
	v_mov_b32_e32 v44, v38
	s_branch .LBB69_69
.LBB69_68:                              ;   in Loop: Header=BB69_69 Depth=3
	v_ashrrev_i32_e32 v27, 31, v26
	v_lshlrev_b64 v[26:27], 4, v[26:27]
	v_mov_b32_e32 v45, s29
	v_add_co_u32_e32 v53, vcc, s28, v26
	v_ashrrev_i32_e32 v26, 31, v25
	v_lshlrev_b64 v[25:26], 4, v[25:26]
	v_addc_co_u32_e32 v54, vcc, v45, v27, vcc
	v_add_co_u32_e32 v25, vcc, s28, v25
	v_addc_co_u32_e32 v26, vcc, v45, v26, vcc
	global_load_dwordx4 v[45:48], v[53:54], off
	global_load_dwordx4 v[49:52], v[25:26], off
	s_add_i32 s38, s38, 1
	s_cmp_eq_u32 s42, s38
	v_add_u32_e32 v44, s52, v44
	s_waitcnt vmcnt(0)
	v_fma_f64 v[21:22], v[49:50], v[45:46], v[21:22]
	v_fma_f64 v[23:24], v[51:52], v[45:46], v[23:24]
	v_fma_f64 v[21:22], v[51:52], v[47:48], v[21:22]
	v_fma_f64 v[23:24], v[49:50], -v[47:48], v[23:24]
	s_cbranch_scc1 .LBB69_39
.LBB69_69:                              ;   Parent Loop BB69_4 Depth=1
                                        ;     Parent Loop BB69_41 Depth=2
                                        ; =>    This Inner Loop Header: Depth=3
	s_mov_b64 s[12:13], -1
	s_and_b64 vcc, exec, s[36:37]
                                        ; implicit-def: $vgpr26
                                        ; implicit-def: $vgpr25
	s_cbranch_vccz .LBB69_71
; %bb.70:                               ;   in Loop: Header=BB69_69 Depth=3
	v_add_u32_e32 v25, s42, v44
	v_add_u32_e32 v26, v37, v44
	s_mov_b64 s[12:13], 0
.LBB69_71:                              ;   in Loop: Header=BB69_69 Depth=3
	s_andn2_b64 vcc, exec, s[12:13]
	s_cbranch_vccnz .LBB69_68
; %bb.72:                               ;   in Loop: Header=BB69_69 Depth=3
	v_add_u32_e32 v25, s38, v30
	v_add_u32_e32 v26, s38, v28
	s_branch .LBB69_68
.LBB69_73:
	s_or_b64 exec, exec, s[20:21]
	v_cmp_eq_u32_e32 vcc, 63, v0
	s_and_saveexec_b64 s[0:1], vcc
	s_cbranch_execz .LBB69_75
; %bb.74:
	v_mov_b32_e32 v1, s19
	v_add_co_u32_e32 v0, vcc, s18, v8
	v_addc_co_u32_e32 v1, vcc, v1, v9, vcc
	v_mov_b32_e32 v2, 1
	global_store_dword v[0:1], v2, off
.LBB69_75:
	s_or_b64 exec, exec, s[0:1]
                                        ; implicit-def: $vgpr0
                                        ; implicit-def: $vgpr8_vgpr9
                                        ; implicit-def: $vgpr1_vgpr2
.LBB69_76:
	s_andn2_saveexec_b64 s[0:1], s[14:15]
	s_cbranch_execz .LBB69_83
; %bb.77:
	v_cmp_eq_u32_e32 vcc, 63, v0
	s_and_saveexec_b64 s[0:1], vcc
	s_cbranch_execz .LBB69_83
; %bb.78:
	s_mov_b64 s[0:1], exec
	v_add_u32_e32 v0, s33, v1
	s_brev_b32 s2, -2
.LBB69_79:                              ; =>This Inner Loop Header: Depth=1
	s_ff1_i32_b64 s3, s[0:1]
	v_readlane_b32 s6, v0, s3
	s_lshl_b64 s[4:5], 1, s3
	s_min_i32 s2, s2, s6
	s_andn2_b64 s[0:1], s[0:1], s[4:5]
	s_cmp_lg_u64 s[0:1], 0
	s_cbranch_scc1 .LBB69_79
; %bb.80:
	v_mbcnt_lo_u32_b32 v0, exec_lo, 0
	v_mbcnt_hi_u32_b32 v0, exec_hi, v0
	v_cmp_eq_u32_e32 vcc, 0, v0
	s_and_saveexec_b64 s[0:1], vcc
	s_xor_b64 s[0:1], exec, s[0:1]
	s_cbranch_execz .LBB69_82
; %bb.81:
	v_mov_b32_e32 v0, 0
	v_mov_b32_e32 v1, s2
	global_atomic_smin v0, v1, s[22:23]
.LBB69_82:
	s_or_b64 exec, exec, s[0:1]
	v_mov_b32_e32 v1, s19
	v_add_co_u32_e32 v0, vcc, s18, v8
	v_addc_co_u32_e32 v1, vcc, v1, v9, vcc
	v_mov_b32_e32 v2, 1
	s_waitcnt vmcnt(0)
	global_store_dword v[0:1], v2, off
.LBB69_83:
	s_endpgm
	.section	.rodata,"a",@progbits
	.p2align	6, 0x0
	.amdhsa_kernel _ZN9rocsparseL23bsric0_binsearch_kernelILj64ELj64ELb0E21rocsparse_complex_numIdEEEv20rocsparse_direction_iiPKiS5_PT2_S5_PiS5_S8_21rocsparse_index_base_
		.amdhsa_group_segment_fixed_size 0
		.amdhsa_private_segment_fixed_size 0
		.amdhsa_kernarg_size 76
		.amdhsa_user_sgpr_count 6
		.amdhsa_user_sgpr_private_segment_buffer 1
		.amdhsa_user_sgpr_dispatch_ptr 0
		.amdhsa_user_sgpr_queue_ptr 0
		.amdhsa_user_sgpr_kernarg_segment_ptr 1
		.amdhsa_user_sgpr_dispatch_id 0
		.amdhsa_user_sgpr_flat_scratch_init 0
		.amdhsa_user_sgpr_private_segment_size 0
		.amdhsa_uses_dynamic_stack 0
		.amdhsa_system_sgpr_private_segment_wavefront_offset 0
		.amdhsa_system_sgpr_workgroup_id_x 1
		.amdhsa_system_sgpr_workgroup_id_y 0
		.amdhsa_system_sgpr_workgroup_id_z 0
		.amdhsa_system_sgpr_workgroup_info 0
		.amdhsa_system_vgpr_workitem_id 0
		.amdhsa_next_free_vgpr 65
		.amdhsa_next_free_sgpr 57
		.amdhsa_reserve_vcc 1
		.amdhsa_reserve_flat_scratch 0
		.amdhsa_float_round_mode_32 0
		.amdhsa_float_round_mode_16_64 0
		.amdhsa_float_denorm_mode_32 3
		.amdhsa_float_denorm_mode_16_64 3
		.amdhsa_dx10_clamp 1
		.amdhsa_ieee_mode 1
		.amdhsa_fp16_overflow 0
		.amdhsa_exception_fp_ieee_invalid_op 0
		.amdhsa_exception_fp_denorm_src 0
		.amdhsa_exception_fp_ieee_div_zero 0
		.amdhsa_exception_fp_ieee_overflow 0
		.amdhsa_exception_fp_ieee_underflow 0
		.amdhsa_exception_fp_ieee_inexact 0
		.amdhsa_exception_int_div_zero 0
	.end_amdhsa_kernel
	.section	.text._ZN9rocsparseL23bsric0_binsearch_kernelILj64ELj64ELb0E21rocsparse_complex_numIdEEEv20rocsparse_direction_iiPKiS5_PT2_S5_PiS5_S8_21rocsparse_index_base_,"axG",@progbits,_ZN9rocsparseL23bsric0_binsearch_kernelILj64ELj64ELb0E21rocsparse_complex_numIdEEEv20rocsparse_direction_iiPKiS5_PT2_S5_PiS5_S8_21rocsparse_index_base_,comdat
.Lfunc_end69:
	.size	_ZN9rocsparseL23bsric0_binsearch_kernelILj64ELj64ELb0E21rocsparse_complex_numIdEEEv20rocsparse_direction_iiPKiS5_PT2_S5_PiS5_S8_21rocsparse_index_base_, .Lfunc_end69-_ZN9rocsparseL23bsric0_binsearch_kernelILj64ELj64ELb0E21rocsparse_complex_numIdEEEv20rocsparse_direction_iiPKiS5_PT2_S5_PiS5_S8_21rocsparse_index_base_
                                        ; -- End function
	.set _ZN9rocsparseL23bsric0_binsearch_kernelILj64ELj64ELb0E21rocsparse_complex_numIdEEEv20rocsparse_direction_iiPKiS5_PT2_S5_PiS5_S8_21rocsparse_index_base_.num_vgpr, 65
	.set _ZN9rocsparseL23bsric0_binsearch_kernelILj64ELj64ELb0E21rocsparse_complex_numIdEEEv20rocsparse_direction_iiPKiS5_PT2_S5_PiS5_S8_21rocsparse_index_base_.num_agpr, 0
	.set _ZN9rocsparseL23bsric0_binsearch_kernelILj64ELj64ELb0E21rocsparse_complex_numIdEEEv20rocsparse_direction_iiPKiS5_PT2_S5_PiS5_S8_21rocsparse_index_base_.numbered_sgpr, 57
	.set _ZN9rocsparseL23bsric0_binsearch_kernelILj64ELj64ELb0E21rocsparse_complex_numIdEEEv20rocsparse_direction_iiPKiS5_PT2_S5_PiS5_S8_21rocsparse_index_base_.num_named_barrier, 0
	.set _ZN9rocsparseL23bsric0_binsearch_kernelILj64ELj64ELb0E21rocsparse_complex_numIdEEEv20rocsparse_direction_iiPKiS5_PT2_S5_PiS5_S8_21rocsparse_index_base_.private_seg_size, 0
	.set _ZN9rocsparseL23bsric0_binsearch_kernelILj64ELj64ELb0E21rocsparse_complex_numIdEEEv20rocsparse_direction_iiPKiS5_PT2_S5_PiS5_S8_21rocsparse_index_base_.uses_vcc, 1
	.set _ZN9rocsparseL23bsric0_binsearch_kernelILj64ELj64ELb0E21rocsparse_complex_numIdEEEv20rocsparse_direction_iiPKiS5_PT2_S5_PiS5_S8_21rocsparse_index_base_.uses_flat_scratch, 0
	.set _ZN9rocsparseL23bsric0_binsearch_kernelILj64ELj64ELb0E21rocsparse_complex_numIdEEEv20rocsparse_direction_iiPKiS5_PT2_S5_PiS5_S8_21rocsparse_index_base_.has_dyn_sized_stack, 0
	.set _ZN9rocsparseL23bsric0_binsearch_kernelILj64ELj64ELb0E21rocsparse_complex_numIdEEEv20rocsparse_direction_iiPKiS5_PT2_S5_PiS5_S8_21rocsparse_index_base_.has_recursion, 0
	.set _ZN9rocsparseL23bsric0_binsearch_kernelILj64ELj64ELb0E21rocsparse_complex_numIdEEEv20rocsparse_direction_iiPKiS5_PT2_S5_PiS5_S8_21rocsparse_index_base_.has_indirect_call, 0
	.section	.AMDGPU.csdata,"",@progbits
; Kernel info:
; codeLenInByte = 3640
; TotalNumSgprs: 61
; NumVgprs: 65
; ScratchSize: 0
; MemoryBound: 0
; FloatMode: 240
; IeeeMode: 1
; LDSByteSize: 0 bytes/workgroup (compile time only)
; SGPRBlocks: 7
; VGPRBlocks: 16
; NumSGPRsForWavesPerEU: 61
; NumVGPRsForWavesPerEU: 65
; Occupancy: 3
; WaveLimiterHint : 1
; COMPUTE_PGM_RSRC2:SCRATCH_EN: 0
; COMPUTE_PGM_RSRC2:USER_SGPR: 6
; COMPUTE_PGM_RSRC2:TRAP_HANDLER: 0
; COMPUTE_PGM_RSRC2:TGID_X_EN: 1
; COMPUTE_PGM_RSRC2:TGID_Y_EN: 0
; COMPUTE_PGM_RSRC2:TGID_Z_EN: 0
; COMPUTE_PGM_RSRC2:TIDIG_COMP_CNT: 0
	.section	.text._ZN9rocsparseL17bsric0_2_8_kernelILi64ELi64ELi8E21rocsparse_complex_numIdEEEv20rocsparse_direction_iiPKiS5_PT2_S5_PiS5_S8_21rocsparse_index_base_,"axG",@progbits,_ZN9rocsparseL17bsric0_2_8_kernelILi64ELi64ELi8E21rocsparse_complex_numIdEEEv20rocsparse_direction_iiPKiS5_PT2_S5_PiS5_S8_21rocsparse_index_base_,comdat
	.globl	_ZN9rocsparseL17bsric0_2_8_kernelILi64ELi64ELi8E21rocsparse_complex_numIdEEEv20rocsparse_direction_iiPKiS5_PT2_S5_PiS5_S8_21rocsparse_index_base_ ; -- Begin function _ZN9rocsparseL17bsric0_2_8_kernelILi64ELi64ELi8E21rocsparse_complex_numIdEEEv20rocsparse_direction_iiPKiS5_PT2_S5_PiS5_S8_21rocsparse_index_base_
	.p2align	8
	.type	_ZN9rocsparseL17bsric0_2_8_kernelILi64ELi64ELi8E21rocsparse_complex_numIdEEEv20rocsparse_direction_iiPKiS5_PT2_S5_PiS5_S8_21rocsparse_index_base_,@function
_ZN9rocsparseL17bsric0_2_8_kernelILi64ELi64ELi8E21rocsparse_complex_numIdEEEv20rocsparse_direction_iiPKiS5_PT2_S5_PiS5_S8_21rocsparse_index_base_: ; @_ZN9rocsparseL17bsric0_2_8_kernelILi64ELi64ELi8E21rocsparse_complex_numIdEEEv20rocsparse_direction_iiPKiS5_PT2_S5_PiS5_S8_21rocsparse_index_base_
; %bb.0:
	s_load_dwordx8 s[12:19], s[4:5], 0x28
	s_mov_b32 s7, 0
	s_lshl_b64 s[0:1], s[6:7], 2
	s_waitcnt lgkmcnt(0)
	s_add_u32 s0, s16, s0
	s_addc_u32 s1, s17, s1
	s_load_dword s16, s[0:1], 0x0
	s_waitcnt lgkmcnt(0)
	s_ashr_i32 s17, s16, 31
	s_lshl_b64 s[10:11], s[16:17], 2
	s_add_u32 s0, s12, s10
	s_addc_u32 s1, s13, s11
	s_load_dword s40, s[0:1], 0x0
	s_load_dword s17, s[4:5], 0x48
	s_waitcnt lgkmcnt(0)
	s_cmp_lg_u32 s40, -1
	s_cbranch_scc0 .LBB70_82
; %bb.1:
	s_load_dwordx4 s[20:23], s[4:5], 0x10
	s_load_dwordx2 s[24:25], s[4:5], 0x20
	v_lshlrev_b32_e32 v2, 3, v1
	s_waitcnt lgkmcnt(0)
	s_add_u32 s0, s20, s10
	s_addc_u32 s1, s21, s11
	s_load_dword s0, s[0:1], 0x0
	s_waitcnt lgkmcnt(0)
	s_sub_i32 s41, s0, s17
	v_add3_u32 v2, v2, v0, s41
	v_cmp_ge_i32_e32 vcc, s40, v2
	s_and_saveexec_b64 s[0:1], vcc
	s_cbranch_execz .LBB70_4
; %bb.2:
	v_lshlrev_b32_e32 v3, 5, v1
	v_lshlrev_b32_e32 v4, 2, v0
	s_movk_i32 s2, 0x1400
	v_add3_u32 v5, v3, v4, s2
	v_ashrrev_i32_e32 v3, 31, v2
	v_lshlrev_b64 v[3:4], 2, v[2:3]
	v_mov_b32_e32 v6, s23
	v_add_co_u32_e32 v3, vcc, s22, v3
	v_addc_co_u32_e32 v4, vcc, v6, v4, vcc
	s_mov_b64 s[2:3], 0
.LBB70_3:                               ; =>This Inner Loop Header: Depth=1
	global_load_dword v6, v[3:4], off
	v_add_co_u32_e32 v3, vcc, 0x100, v3
	v_add_u32_e32 v2, 64, v2
	v_addc_co_u32_e32 v4, vcc, 0, v4, vcc
	v_cmp_lt_i32_e32 vcc, s40, v2
	s_or_b64 s[2:3], vcc, s[2:3]
	s_waitcnt vmcnt(0)
	v_subrev_u32_e32 v6, s17, v6
	ds_write_b32 v5, v6
	v_add_u32_e32 v5, 0x100, v5
	s_andn2_b64 exec, exec, s[2:3]
	s_cbranch_execnz .LBB70_3
.LBB70_4:
	s_or_b64 exec, exec, s[0:1]
	s_load_dword s42, s[4:5], 0x0
	s_load_dword s33, s[4:5], 0x8
	s_movk_i32 s6, 0x90
	v_mov_b32_e32 v2, 0xd80
	v_mad_u32_u24 v21, v1, s6, v2
	v_mov_b32_e32 v2, 0
	v_lshl_add_u32 v20, v0, 4, v21
	v_mov_b32_e32 v3, v2
	v_mov_b32_e32 v4, v2
	;; [unrolled: 1-line block ×3, first 2 shown]
	s_cmp_ge_i32 s41, s40
	ds_write_b128 v20, v[2:5]
	s_waitcnt lgkmcnt(0)
	s_cbranch_scc1 .LBB70_57
; %bb.5:
	s_cmp_lg_u32 s42, 0
	s_cselect_b64 s[26:27], -1, 0
	s_cmp_eq_u32 s42, 0
	v_cmp_gt_i32_e64 s[0:1], s33, v0
	v_cmp_gt_i32_e64 s[2:3], s33, v1
	s_cselect_b64 vcc, -1, 0
	s_and_b64 s[28:29], s[0:1], s[2:3]
	v_mov_b32_e32 v3, 0x900
	v_lshlrev_b32_e32 v4, 4, v0
	s_cmp_gt_i32 s33, 0
	v_mul_lo_u32 v25, s33, v0
	v_mul_lo_u32 v26, s33, v1
	v_mov_b32_e32 v5, 0x480
	v_mad_u32_u24 v22, v1, s6, v3
	v_mad_u32_u24 v24, v1, s6, v4
	;; [unrolled: 1-line block ×4, first 2 shown]
	s_cselect_b64 s[6:7], -1, 0
	v_add_u32_e32 v23, v22, v4
	v_add_u32_e32 v28, v27, v4
	v_or_b32_e32 v4, v0, v1
	v_cndmask_b32_e64 v3, 0, 1, s[6:7]
	s_mul_i32 s43, s33, s33
	v_cmp_ne_u32_e64 s[4:5], 0, v4
	v_cndmask_b32_e32 v11, v1, v0, vcc
	v_cndmask_b32_e32 v30, v0, v1, vcc
	v_cmp_ne_u32_e64 s[6:7], 1, v3
	v_mov_b32_e32 v31, 0x3ff00000
	s_mov_b32 s30, s41
	s_branch .LBB70_7
.LBB70_6:                               ;   in Loop: Header=BB70_7 Depth=1
	s_or_b64 exec, exec, s[8:9]
	s_add_i32 s30, s30, 1
	s_cmp_ge_i32 s30, s40
	s_cselect_b64 s[8:9], -1, 0
	s_waitcnt vmcnt(0)
	buffer_wbinvl1_vol
	s_and_b64 vcc, exec, s[8:9]
	s_cbranch_vccnz .LBB70_57
.LBB70_7:                               ; =>This Loop Header: Depth=1
                                        ;     Child Loop BB70_12 Depth 2
                                        ;     Child Loop BB70_23 Depth 2
	;; [unrolled: 1-line block ×4, first 2 shown]
                                        ;       Child Loop BB70_53 Depth 3
	s_ashr_i32 s31, s30, 31
	s_lshl_b64 s[8:9], s[30:31], 2
	s_add_u32 s8, s22, s8
	s_addc_u32 s9, s23, s9
	s_load_dword s31, s[8:9], 0x0
	s_waitcnt lgkmcnt(0)
	s_sub_i32 s34, s31, s17
	s_ashr_i32 s35, s34, 31
	s_lshl_b64 s[8:9], s[34:35], 2
	s_add_u32 s36, s12, s8
	s_addc_u32 s37, s13, s9
	s_load_dword s35, s[36:37], 0x0
	s_waitcnt lgkmcnt(0)
	s_cmp_eq_u32 s35, -1
	s_cbranch_scc1 .LBB70_56
; %bb.8:                                ;   in Loop: Header=BB70_7 Depth=1
	v_mov_b32_e32 v3, 0
	v_mov_b32_e32 v4, 0
	s_add_u32 s36, s20, s8
	s_mul_i32 s38, s30, s33
	v_mov_b32_e32 v6, v4
	s_addc_u32 s37, s21, s9
	v_add_u32_e32 v32, s38, v30
	v_mov_b32_e32 v5, v3
	s_and_saveexec_b64 s[38:39], s[28:29]
	s_cbranch_execz .LBB70_10
; %bb.9:                                ;   in Loop: Header=BB70_7 Depth=1
	v_mad_u64_u32 v[3:4], s[44:45], v32, s33, v[11:12]
	v_mov_b32_e32 v5, s25
	v_ashrrev_i32_e32 v4, 31, v3
	v_lshlrev_b64 v[3:4], 4, v[3:4]
	v_add_co_u32_e32 v3, vcc, s24, v3
	v_addc_co_u32_e32 v4, vcc, v5, v4, vcc
	global_load_dwordx4 v[3:6], v[3:4], off
.LBB70_10:                              ;   in Loop: Header=BB70_7 Depth=1
	s_or_b64 exec, exec, s[38:39]
	s_load_dword s36, s[36:37], 0x0
	ds_read_b32 v7, v2 offset:5120
	s_mov_b32 s37, 0
	s_waitcnt vmcnt(0)
	ds_write_b128 v23, v[3:6]
	s_waitcnt lgkmcnt(0)
	s_sub_i32 s36, s36, s17
	s_cmp_le_i32 s36, s35
	v_cmp_ge_i32_e32 vcc, s34, v7
	s_cselect_b64 s[38:39], -1, 0
	s_and_b64 s[38:39], s[38:39], vcc
	s_andn2_b64 vcc, exec, s[38:39]
	s_cbranch_vccnz .LBB70_22
; %bb.11:                               ;   in Loop: Header=BB70_7 Depth=1
	s_mov_b32 s44, 0
	s_mov_b32 s45, 0
.LBB70_12:                              ;   Parent Loop BB70_7 Depth=1
                                        ; =>  This Inner Loop Header: Depth=2
	s_ashr_i32 s37, s36, 31
	s_lshl_b64 s[38:39], s[36:37], 2
	s_add_u32 s38, s22, s38
	s_addc_u32 s39, s23, s39
	s_load_dword s37, s[38:39], 0x0
	s_lshl_b32 s38, s45, 2
	v_mov_b32_e32 v3, s38
	ds_read_b32 v3, v3 offset:5120
	s_mov_b64 s[38:39], -1
	s_waitcnt lgkmcnt(0)
	s_sub_i32 s49, s37, s17
                                        ; implicit-def: $sgpr37
                                        ; implicit-def: $sgpr48
                                        ; implicit-def: $sgpr47
	v_cmp_ge_i32_e32 vcc, s49, v3
	v_readfirstlane_b32 s46, v3
	s_cbranch_vccz .LBB70_18
; %bb.13:                               ;   in Loop: Header=BB70_12 Depth=2
	s_cmp_le_i32 s49, s46
                                        ; implicit-def: $sgpr37
                                        ; implicit-def: $sgpr48
                                        ; implicit-def: $sgpr47
	s_cbranch_scc0 .LBB70_15
; %bb.14:                               ;   in Loop: Header=BB70_12 Depth=2
	s_add_i32 s37, s45, s41
	s_mul_i32 s37, s37, s43
	s_lshl_b32 s38, s44, 2
	v_mov_b32_e32 v4, s37
	s_mul_i32 s37, s36, s43
	v_mov_b32_e32 v3, s38
	v_mov_b32_e32 v5, s37
	ds_write2st64_b32 v3, v5, v4 offset0:18 offset1:19
	s_add_i32 s47, s45, 1
	s_add_i32 s48, s36, 1
	;; [unrolled: 1-line block ×3, first 2 shown]
	s_mov_b64 s[38:39], 0
.LBB70_15:                              ;   in Loop: Header=BB70_12 Depth=2
	s_andn2_b64 vcc, exec, s[38:39]
	s_cbranch_vccnz .LBB70_17
; %bb.16:                               ;   in Loop: Header=BB70_12 Depth=2
	s_add_i32 s47, s45, 1
	s_mov_b32 s37, s44
	s_mov_b32 s48, s36
.LBB70_17:                              ;   in Loop: Header=BB70_12 Depth=2
	s_mov_b64 s[38:39], 0
.LBB70_18:                              ;   in Loop: Header=BB70_12 Depth=2
	s_andn2_b64 vcc, exec, s[38:39]
	s_cbranch_vccnz .LBB70_20
; %bb.19:                               ;   in Loop: Header=BB70_12 Depth=2
	s_add_i32 s48, s36, 1
	s_mov_b32 s47, s45
	s_mov_b32 s37, s44
.LBB70_20:                              ;   in Loop: Header=BB70_12 Depth=2
	s_cmp_le_i32 s48, s35
	s_cselect_b64 s[38:39], -1, 0
	s_cmp_le_i32 s46, s34
	s_cselect_b64 s[44:45], -1, 0
	s_and_b64 s[38:39], s[38:39], s[44:45]
	s_and_b64 vcc, exec, s[38:39]
	s_cbranch_vccz .LBB70_22
; %bb.21:                               ;   in Loop: Header=BB70_12 Depth=2
	s_mov_b32 s44, s37
	s_mov_b32 s36, s48
	;; [unrolled: 1-line block ×3, first 2 shown]
	s_branch .LBB70_12
.LBB70_22:                              ;   in Loop: Header=BB70_7 Depth=1
	s_add_u32 s8, s14, s8
	s_addc_u32 s9, s15, s9
	s_waitcnt lgkmcnt(0)
.LBB70_23:                              ;   Parent Loop BB70_7 Depth=1
                                        ; =>  This Inner Loop Header: Depth=2
	global_load_dword v3, v2, s[8:9] glc
	s_waitcnt vmcnt(0)
	v_cmp_eq_u32_e32 vcc, 0, v3
	s_cbranch_vccnz .LBB70_23
; %bb.24:                               ;   in Loop: Header=BB70_7 Depth=1
	v_mov_b32_e32 v5, 0
	v_mov_b32_e32 v7, 0
	v_mov_b32_e32 v9, 0
	v_mov_b32_e32 v6, 0
	v_mov_b32_e32 v8, 0
	v_mov_b32_e32 v10, 0
	buffer_wbinvl1_vol
	s_and_saveexec_b64 s[8:9], s[28:29]
	s_cbranch_execz .LBB70_26
; %bb.25:                               ;   in Loop: Header=BB70_7 Depth=1
	s_mul_i32 s35, s35, s33
	v_add_u32_e32 v3, s35, v30
	v_mad_u64_u32 v[3:4], s[34:35], v3, s33, v[11:12]
	v_mov_b32_e32 v7, s25
	v_ashrrev_i32_e32 v4, 31, v3
	v_lshlrev_b64 v[3:4], 4, v[3:4]
	v_add_co_u32_e32 v3, vcc, s24, v3
	v_addc_co_u32_e32 v4, vcc, v7, v4, vcc
	global_load_dwordx4 v[7:10], v[3:4], off
.LBB70_26:                              ;   in Loop: Header=BB70_7 Depth=1
	s_or_b64 exec, exec, s[8:9]
	v_mov_b32_e32 v3, 0
	s_cmp_lt_i32 s37, 2
	v_mov_b32_e32 v4, 0
	s_waitcnt vmcnt(0)
	ds_write_b128 v24, v[7:10]
	s_waitcnt lgkmcnt(0)
	s_cbranch_scc1 .LBB70_45
; %bb.27:                               ;   in Loop: Header=BB70_7 Depth=1
	v_mov_b32_e32 v12, 0
	v_mov_b32_e32 v18, 0
	s_add_i32 s34, s37, -2
	v_mov_b32_e32 v13, 0
	v_mov_b32_e32 v19, 0
	s_mov_b32 s35, 0
	s_and_b64 vcc, exec, s[6:7]
	s_cbranch_vccz .LBB70_30
	s_branch .LBB70_29
.LBB70_28:                              ;   in Loop: Header=BB70_7 Depth=1
	v_mov_b32_e32 v13, v6
	v_mov_b32_e32 v19, v4
	s_mov_b32 s35, s8
	v_mov_b32_e32 v12, v5
	v_mov_b32_e32 v18, v3
	s_and_b64 vcc, exec, s[6:7]
	s_cbranch_vccz .LBB70_30
.LBB70_29:                              ;   in Loop: Header=BB70_7 Depth=1
	v_mov_b32_e32 v5, v12
	v_mov_b32_e32 v3, v18
	;; [unrolled: 1-line block ×4, first 2 shown]
	s_branch .LBB70_44
.LBB70_30:                              ;   in Loop: Header=BB70_7 Depth=1
	s_lshl_b32 s8, s35, 2
	v_mov_b32_e32 v3, s8
	ds_read2st64_b32 v[3:4], v3 offset0:18 offset1:19
	s_mov_b32 s36, 0
	s_waitcnt lgkmcnt(0)
	v_add_u32_e32 v33, v3, v25
	v_add_u32_e32 v34, v4, v26
	;; [unrolled: 1-line block ×4, first 2 shown]
	s_mov_b64 s[8:9], -1
	s_and_b64 vcc, exec, s[26:27]
                                        ; implicit-def: $vgpr5_vgpr6
	s_cbranch_vccz .LBB70_37
	s_branch .LBB70_32
.LBB70_31:                              ;   in Loop: Header=BB70_37 Depth=2
	v_mov_b32_e32 v13, v6
	v_mov_b32_e32 v19, v4
	;; [unrolled: 1-line block ×4, first 2 shown]
	s_mov_b64 s[8:9], -1
	s_and_b64 vcc, exec, s[26:27]
                                        ; implicit-def: $vgpr5_vgpr6
	s_cbranch_vccz .LBB70_37
.LBB70_32:                              ;   in Loop: Header=BB70_7 Depth=1
	v_mov_b32_e32 v3, 0
	v_mov_b32_e32 v7, 0
	;; [unrolled: 1-line block ×6, first 2 shown]
	s_and_saveexec_b64 s[8:9], s[0:1]
	s_cbranch_execz .LBB70_34
; %bb.33:                               ;   in Loop: Header=BB70_7 Depth=1
	v_ashrrev_i32_e32 v17, 31, v16
	v_lshlrev_b64 v[5:6], 4, v[16:17]
	v_mov_b32_e32 v7, s25
	v_add_co_u32_e32 v5, vcc, s24, v5
	v_addc_co_u32_e32 v6, vcc, v7, v6, vcc
	global_load_dwordx4 v[7:10], v[5:6], off
.LBB70_34:                              ;   in Loop: Header=BB70_7 Depth=1
	s_or_b64 exec, exec, s[8:9]
	v_mov_b32_e32 v5, 0
	v_mov_b32_e32 v6, 0
	s_and_saveexec_b64 s[8:9], s[2:3]
	s_cbranch_execz .LBB70_36
; %bb.35:                               ;   in Loop: Header=BB70_7 Depth=1
	v_ashrrev_i32_e32 v15, 31, v14
	v_lshlrev_b64 v[3:4], 4, v[14:15]
	v_mov_b32_e32 v5, s25
	v_add_co_u32_e32 v3, vcc, s24, v3
	v_addc_co_u32_e32 v4, vcc, v5, v4, vcc
	global_load_dwordx4 v[3:6], v[3:4], off
.LBB70_36:                              ;   in Loop: Header=BB70_7 Depth=1
	s_or_b64 exec, exec, s[8:9]
	s_waitcnt vmcnt(0)
	v_fma_f64 v[35:36], v[7:8], v[3:4], v[18:19]
	v_fma_f64 v[37:38], v[9:10], v[3:4], v[12:13]
	s_mov_b64 s[8:9], 0
	v_fma_f64 v[3:4], v[9:10], v[5:6], v[35:36]
	v_fma_f64 v[5:6], v[7:8], -v[5:6], v[37:38]
.LBB70_37:                              ;   Parent Loop BB70_7 Depth=1
                                        ; =>  This Inner Loop Header: Depth=2
	s_and_b64 vcc, exec, s[8:9]
	s_cbranch_vccz .LBB70_43
; %bb.38:                               ;   in Loop: Header=BB70_37 Depth=2
	v_mov_b32_e32 v3, 0
	v_mov_b32_e32 v7, 0
	;; [unrolled: 1-line block ×6, first 2 shown]
	s_and_saveexec_b64 s[8:9], s[0:1]
	s_cbranch_execz .LBB70_40
; %bb.39:                               ;   in Loop: Header=BB70_37 Depth=2
	v_add_u32_e32 v5, s36, v33
	v_ashrrev_i32_e32 v6, 31, v5
	v_lshlrev_b64 v[5:6], 4, v[5:6]
	v_mov_b32_e32 v7, s25
	v_add_co_u32_e32 v5, vcc, s24, v5
	v_addc_co_u32_e32 v6, vcc, v7, v6, vcc
	global_load_dwordx4 v[7:10], v[5:6], off
.LBB70_40:                              ;   in Loop: Header=BB70_37 Depth=2
	s_or_b64 exec, exec, s[8:9]
	v_mov_b32_e32 v5, 0
	v_mov_b32_e32 v6, 0
	s_and_saveexec_b64 s[8:9], s[2:3]
	s_cbranch_execz .LBB70_42
; %bb.41:                               ;   in Loop: Header=BB70_37 Depth=2
	v_add_u32_e32 v3, s36, v34
	v_ashrrev_i32_e32 v4, 31, v3
	v_lshlrev_b64 v[3:4], 4, v[3:4]
	v_mov_b32_e32 v5, s25
	v_add_co_u32_e32 v3, vcc, s24, v3
	v_addc_co_u32_e32 v4, vcc, v5, v4, vcc
	global_load_dwordx4 v[3:6], v[3:4], off
.LBB70_42:                              ;   in Loop: Header=BB70_37 Depth=2
	s_or_b64 exec, exec, s[8:9]
	s_waitcnt vmcnt(0)
	v_fma_f64 v[17:18], v[7:8], v[3:4], v[18:19]
	v_fma_f64 v[12:13], v[9:10], v[3:4], v[12:13]
	;; [unrolled: 1-line block ×3, first 2 shown]
	v_fma_f64 v[5:6], v[7:8], -v[5:6], v[12:13]
.LBB70_43:                              ;   in Loop: Header=BB70_37 Depth=2
	s_add_i32 s36, s36, 1
	v_add_u32_e32 v14, s33, v14
	s_cmp_eq_u32 s33, s36
	v_add_u32_e32 v16, s33, v16
	s_cbranch_scc0 .LBB70_31
.LBB70_44:                              ;   in Loop: Header=BB70_7 Depth=1
	s_add_i32 s8, s35, 1
	s_cmp_eq_u32 s35, s34
	s_cbranch_scc0 .LBB70_28
.LBB70_45:                              ;   in Loop: Header=BB70_7 Depth=1
	s_and_b64 vcc, exec, s[6:7]
	ds_write_b128 v28, v[3:6]
	s_waitcnt lgkmcnt(0)
	s_cbranch_vccnz .LBB70_54
; %bb.46:                               ;   in Loop: Header=BB70_7 Depth=1
	s_mov_b32 s36, 0
	s_mov_b32 s37, 0
	s_branch .LBB70_48
.LBB70_47:                              ;   in Loop: Header=BB70_48 Depth=2
	v_mul_f64 v[17:18], v[12:13], v[12:13]
	s_waitcnt lgkmcnt(0)
	v_add_f64 v[5:6], v[5:6], -v[9:10]
	v_add_f64 v[3:4], v[3:4], -v[7:8]
	s_addk_i32 s36, 0x90
	v_fma_f64 v[17:18], v[14:15], v[14:15], v[17:18]
	v_mul_f64 v[7:8], v[12:13], v[5:6]
	v_mul_f64 v[12:13], v[12:13], -v[3:4]
	v_div_scale_f64 v[33:34], s[8:9], v[17:18], v[17:18], 1.0
	v_fma_f64 v[3:4], v[3:4], v[14:15], v[7:8]
	v_fma_f64 v[5:6], v[5:6], v[14:15], v[12:13]
	v_rcp_f64_e32 v[35:36], v[33:34]
	v_fma_f64 v[37:38], -v[33:34], v[35:36], 1.0
	v_fma_f64 v[35:36], v[35:36], v[37:38], v[35:36]
	v_div_scale_f64 v[37:38], vcc, 1.0, v[17:18], 1.0
	v_fma_f64 v[39:40], -v[33:34], v[35:36], 1.0
	v_fma_f64 v[35:36], v[35:36], v[39:40], v[35:36]
	v_mul_f64 v[39:40], v[37:38], v[35:36]
	v_fma_f64 v[33:34], -v[33:34], v[39:40], v[37:38]
	v_div_fmas_f64 v[9:10], v[33:34], v[35:36], v[39:40]
	v_div_fixup_f64 v[7:8], v[9:10], v[17:18], 1.0
	v_mul_f64 v[3:4], v[7:8], v[3:4]
	v_mul_f64 v[5:6], v[7:8], v[5:6]
	v_lshl_add_u32 v7, s37, 4, v29
	s_add_i32 s37, s37, 1
	s_cmp_eq_u32 s37, s33
	ds_write_b128 v16, v[3:6]
	s_waitcnt lgkmcnt(0)
	ds_read_b128 v[7:10], v7
	ds_read_b128 v[12:15], v20
	s_waitcnt lgkmcnt(0)
	v_fma_f64 v[12:13], v[3:4], v[7:8], v[12:13]
	v_fma_f64 v[7:8], v[5:6], v[7:8], v[14:15]
	;; [unrolled: 1-line block ×3, first 2 shown]
	v_fma_f64 v[7:8], v[3:4], -v[9:10], v[7:8]
	ds_write_b128 v20, v[5:8]
	s_waitcnt lgkmcnt(0)
	s_cbranch_scc1 .LBB70_54
.LBB70_48:                              ;   Parent Loop BB70_7 Depth=1
                                        ; =>  This Loop Header: Depth=2
                                        ;       Child Loop BB70_53 Depth 3
	s_lshl_b32 s34, s37, 4
	s_mul_i32 s8, s37, 0x90
	s_add_i32 s8, s8, s34
	v_mov_b32_e32 v3, s8
	ds_read_b128 v[7:10], v3
	v_add_u32_e32 v16, s34, v22
	ds_read_b128 v[3:6], v16
	s_waitcnt lgkmcnt(1)
	v_cmp_neq_f64_e32 vcc, 0, v[7:8]
	v_cmp_neq_f64_e64 s[8:9], 0, v[9:10]
	s_or_b64 vcc, vcc, s[8:9]
	v_cndmask_b32_e32 v13, 0, v10, vcc
	s_nor_b64 s[34:35], vcc, s[4:5]
	v_cndmask_b32_e32 v12, 0, v9, vcc
	v_cndmask_b32_e32 v15, v31, v8, vcc
	;; [unrolled: 1-line block ×3, first 2 shown]
	s_and_saveexec_b64 s[8:9], s[34:35]
	s_cbranch_execz .LBB70_52
; %bb.49:                               ;   in Loop: Header=BB70_48 Depth=2
	v_mbcnt_lo_u32_b32 v7, exec_lo, 0
	v_mbcnt_hi_u32_b32 v7, exec_hi, v7
	v_cmp_eq_u32_e32 vcc, 0, v7
	s_and_saveexec_b64 s[34:35], vcc
	s_cbranch_execz .LBB70_51
; %bb.50:                               ;   in Loop: Header=BB70_48 Depth=2
	v_mov_b32_e32 v7, s31
	global_atomic_smin v2, v7, s[18:19]
.LBB70_51:                              ;   in Loop: Header=BB70_48 Depth=2
	s_or_b64 exec, exec, s[34:35]
	v_mov_b32_e32 v14, 0
	v_mov_b32_e32 v12, 0
	;; [unrolled: 1-line block ×4, first 2 shown]
.LBB70_52:                              ;   in Loop: Header=BB70_48 Depth=2
	s_or_b64 exec, exec, s[8:9]
	v_lshl_add_u32 v7, s37, 4, v27
	ds_read_b128 v[7:10], v7
	s_cmp_eq_u32 s37, 0
	v_mov_b32_e32 v17, v22
	s_mov_b32 s8, s36
	s_mov_b32 s9, s37
	s_cbranch_scc1 .LBB70_47
.LBB70_53:                              ;   Parent Loop BB70_7 Depth=1
                                        ;     Parent Loop BB70_48 Depth=2
                                        ; =>    This Inner Loop Header: Depth=3
	v_mov_b32_e32 v18, s8
	ds_read_b128 v[33:36], v17
	ds_read_b128 v[37:40], v18
	s_add_i32 s9, s9, -1
	s_add_i32 s8, s8, 16
	s_cmp_eq_u32 s9, 0
	v_add_u32_e32 v17, 16, v17
	s_waitcnt lgkmcnt(0)
	v_fma_f64 v[7:8], v[37:38], v[33:34], v[7:8]
	v_fma_f64 v[9:10], v[39:40], v[33:34], v[9:10]
	;; [unrolled: 1-line block ×3, first 2 shown]
	v_fma_f64 v[9:10], v[37:38], -v[35:36], v[9:10]
	s_cbranch_scc0 .LBB70_53
	s_branch .LBB70_47
.LBB70_54:                              ;   in Loop: Header=BB70_7 Depth=1
	s_and_saveexec_b64 s[8:9], s[28:29]
	s_cbranch_execz .LBB70_6
; %bb.55:                               ;   in Loop: Header=BB70_7 Depth=1
	v_mad_u64_u32 v[7:8], s[34:35], v32, s33, v[11:12]
	ds_read2_b64 v[3:6], v23 offset1:1
	v_mov_b32_e32 v9, s25
	v_ashrrev_i32_e32 v8, 31, v7
	v_lshlrev_b64 v[7:8], 4, v[7:8]
	v_add_co_u32_e32 v7, vcc, s24, v7
	v_addc_co_u32_e32 v8, vcc, v9, v8, vcc
	s_waitcnt lgkmcnt(0)
	global_store_dwordx4 v[7:8], v[3:6], off
	s_branch .LBB70_6
.LBB70_56:                              ;   in Loop: Header=BB70_7 Depth=1
                                        ; implicit-def: $sgpr30
	s_cbranch_execz .LBB70_7
.LBB70_57:
	s_cmp_eq_u32 s42, 0
	v_max_i32_e32 v2, v0, v1
	s_cselect_b64 vcc, -1, 0
	v_cmp_gt_i32_e64 s[0:1], s33, v2
	v_mov_b32_e32 v2, 0
	v_cndmask_b32_e32 v7, v0, v1, vcc
	s_mul_i32 s40, s40, s33
	v_mov_b32_e32 v4, 0
	v_mov_b32_e32 v3, 0
	v_cndmask_b32_e32 v6, v1, v0, vcc
	v_mov_b32_e32 v5, 0
	v_add_u32_e32 v13, s40, v7
	s_and_saveexec_b64 s[2:3], s[0:1]
	s_cbranch_execz .LBB70_59
; %bb.58:
	v_mad_u64_u32 v[2:3], s[4:5], v13, s33, v[6:7]
	v_mov_b32_e32 v4, s25
	v_ashrrev_i32_e32 v3, 31, v2
	v_lshlrev_b64 v[2:3], 4, v[2:3]
	v_add_co_u32_e32 v2, vcc, s24, v2
	v_addc_co_u32_e32 v3, vcc, v4, v3, vcc
	global_load_dwordx4 v[2:5], v[2:3], off
.LBB70_59:
	s_or_b64 exec, exec, s[2:3]
	s_movk_i32 s4, 0x90
	v_mov_b32_e32 v7, 0x900
	v_mad_u32_u24 v15, v1, s4, v7
	s_movk_i32 s20, 0x900
	v_lshl_add_u32 v14, v0, 4, v15
	s_cmp_lt_i32 s33, 1
	s_waitcnt vmcnt(0)
	ds_write_b128 v14, v[2:5]
	s_waitcnt lgkmcnt(0)
	s_cbranch_scc1 .LBB70_76
; %bb.60:
	v_or_b32_e32 v2, v0, v1
	v_cmp_ne_u32_e64 s[2:3], 0, v2
	v_lshlrev_b32_e32 v2, 4, v1
	s_mov_b32 s6, 0
	s_mov_b32 s21, 0
	s_add_i32 s22, s16, s17
	v_add_u32_e32 v16, v15, v2
	v_add_u32_e32 v17, v21, v2
	v_mad_u32_u24 v18, v0, s4, v7
	s_brev_b32 s7, 8
	v_mov_b32_e32 v19, 0x260
	v_mov_b32_e32 v4, 0
	;; [unrolled: 1-line block ×5, first 2 shown]
	s_branch .LBB70_62
.LBB70_61:                              ;   in Loop: Header=BB70_62 Depth=1
	s_or_b64 exec, exec, s[4:5]
	s_add_i32 s21, s21, 1
	s_addk_i32 s20, 0xa0
	v_add_u32_e32 v15, 16, v15
	s_cmp_eq_u32 s33, s21
	v_add_u32_e32 v18, 16, v18
	s_waitcnt lgkmcnt(0)
	s_cbranch_scc1 .LBB70_76
.LBB70_62:                              ; =>This Inner Loop Header: Depth=1
	v_cmp_eq_u32_e32 vcc, s21, v1
	s_and_saveexec_b64 s[4:5], vcc
	s_cbranch_execz .LBB70_70
; %bb.63:                               ;   in Loop: Header=BB70_62 Depth=1
	ds_read_b128 v[7:10], v17
	ds_read_b128 v[24:27], v16
	s_waitcnt lgkmcnt(0)
	v_add_f64 v[2:3], v[24:25], -v[7:8]
	v_add_f64 v[11:12], v[26:27], -v[9:10]
                                        ; implicit-def: $vgpr9_vgpr10
	v_cmp_gt_f64_e32 vcc, 0, v[2:3]
	v_xor_b32_e32 v5, 0x80000000, v3
	v_xor_b32_e32 v7, 0x80000000, v12
	v_cndmask_b32_e32 v3, v3, v5, vcc
	v_cmp_gt_f64_e32 vcc, 0, v[11:12]
	v_cndmask_b32_e32 v8, v12, v7, vcc
	v_mov_b32_e32 v7, v11
	v_cmp_ngt_f64_e32 vcc, v[2:3], v[7:8]
	s_and_saveexec_b64 s[8:9], vcc
	s_xor_b64 s[8:9], exec, s[8:9]
	s_cbranch_execz .LBB70_67
; %bb.64:                               ;   in Loop: Header=BB70_62 Depth=1
	v_cmp_neq_f64_e32 vcc, 0, v[11:12]
	v_mov_b32_e32 v9, 0
	v_mov_b32_e32 v10, 0
	s_and_saveexec_b64 s[12:13], vcc
	s_cbranch_execz .LBB70_66
; %bb.65:                               ;   in Loop: Header=BB70_62 Depth=1
	v_div_scale_f64 v[9:10], s[26:27], v[7:8], v[7:8], v[2:3]
	v_rcp_f64_e32 v[11:12], v[9:10]
	v_fma_f64 v[24:25], -v[9:10], v[11:12], 1.0
	v_fma_f64 v[11:12], v[11:12], v[24:25], v[11:12]
	v_div_scale_f64 v[24:25], vcc, v[2:3], v[7:8], v[2:3]
	v_fma_f64 v[26:27], -v[9:10], v[11:12], 1.0
	v_fma_f64 v[11:12], v[11:12], v[26:27], v[11:12]
	v_mul_f64 v[26:27], v[24:25], v[11:12]
	v_fma_f64 v[9:10], -v[9:10], v[26:27], v[24:25]
	v_div_fmas_f64 v[9:10], v[9:10], v[11:12], v[26:27]
	v_div_fixup_f64 v[2:3], v[9:10], v[7:8], v[2:3]
	v_fma_f64 v[2:3], v[2:3], v[2:3], 1.0
	v_cmp_gt_f64_e32 vcc, s[6:7], v[2:3]
	v_cndmask_b32_e32 v5, 0, v21, vcc
	v_ldexp_f64 v[2:3], v[2:3], v5
	v_cndmask_b32_e32 v5, 0, v22, vcc
	v_rsq_f64_e32 v[9:10], v[2:3]
	v_cmp_class_f64_e32 vcc, v[2:3], v19
	v_mul_f64 v[11:12], v[2:3], v[9:10]
	v_mul_f64 v[9:10], v[9:10], 0.5
	v_fma_f64 v[24:25], -v[9:10], v[11:12], 0.5
	v_fma_f64 v[11:12], v[11:12], v[24:25], v[11:12]
	v_fma_f64 v[9:10], v[9:10], v[24:25], v[9:10]
	v_fma_f64 v[24:25], -v[11:12], v[11:12], v[2:3]
	v_fma_f64 v[11:12], v[24:25], v[9:10], v[11:12]
	v_fma_f64 v[24:25], -v[11:12], v[11:12], v[2:3]
	v_fma_f64 v[9:10], v[24:25], v[9:10], v[11:12]
	v_ldexp_f64 v[9:10], v[9:10], v5
	v_cndmask_b32_e32 v3, v10, v3, vcc
	v_cndmask_b32_e32 v2, v9, v2, vcc
	v_mul_f64 v[9:10], v[7:8], v[2:3]
.LBB70_66:                              ;   in Loop: Header=BB70_62 Depth=1
	s_or_b64 exec, exec, s[12:13]
                                        ; implicit-def: $vgpr2_vgpr3
                                        ; implicit-def: $vgpr7_vgpr8
.LBB70_67:                              ;   in Loop: Header=BB70_62 Depth=1
	s_andn2_saveexec_b64 s[8:9], s[8:9]
	s_cbranch_execz .LBB70_69
; %bb.68:                               ;   in Loop: Header=BB70_62 Depth=1
	v_div_scale_f64 v[9:10], s[12:13], v[2:3], v[2:3], v[7:8]
	v_rcp_f64_e32 v[11:12], v[9:10]
	v_fma_f64 v[24:25], -v[9:10], v[11:12], 1.0
	v_fma_f64 v[11:12], v[11:12], v[24:25], v[11:12]
	v_div_scale_f64 v[24:25], vcc, v[7:8], v[2:3], v[7:8]
	v_fma_f64 v[26:27], -v[9:10], v[11:12], 1.0
	v_fma_f64 v[11:12], v[11:12], v[26:27], v[11:12]
	v_mul_f64 v[26:27], v[24:25], v[11:12]
	v_fma_f64 v[9:10], -v[9:10], v[26:27], v[24:25]
	v_div_fmas_f64 v[9:10], v[9:10], v[11:12], v[26:27]
	v_div_fixup_f64 v[7:8], v[9:10], v[2:3], v[7:8]
	v_fma_f64 v[7:8], v[7:8], v[7:8], 1.0
	v_cmp_gt_f64_e32 vcc, s[6:7], v[7:8]
	v_cndmask_b32_e32 v5, 0, v21, vcc
	v_ldexp_f64 v[7:8], v[7:8], v5
	v_cndmask_b32_e32 v5, 0, v22, vcc
	v_rsq_f64_e32 v[9:10], v[7:8]
	v_cmp_class_f64_e32 vcc, v[7:8], v19
	v_mul_f64 v[11:12], v[7:8], v[9:10]
	v_mul_f64 v[9:10], v[9:10], 0.5
	v_fma_f64 v[24:25], -v[9:10], v[11:12], 0.5
	v_fma_f64 v[11:12], v[11:12], v[24:25], v[11:12]
	v_fma_f64 v[9:10], v[9:10], v[24:25], v[9:10]
	v_fma_f64 v[24:25], -v[11:12], v[11:12], v[7:8]
	v_fma_f64 v[11:12], v[24:25], v[9:10], v[11:12]
	v_fma_f64 v[24:25], -v[11:12], v[11:12], v[7:8]
	v_fma_f64 v[9:10], v[24:25], v[9:10], v[11:12]
	v_ldexp_f64 v[9:10], v[9:10], v5
	v_cndmask_b32_e32 v8, v10, v8, vcc
	v_cndmask_b32_e32 v7, v9, v7, vcc
	v_mul_f64 v[9:10], v[2:3], v[7:8]
.LBB70_69:                              ;   in Loop: Header=BB70_62 Depth=1
	s_or_b64 exec, exec, s[8:9]
	v_cmp_gt_f64_e32 vcc, s[6:7], v[9:10]
	v_cndmask_b32_e32 v2, 0, v21, vcc
	v_ldexp_f64 v[2:3], v[9:10], v2
	v_cndmask_b32_e32 v5, 0, v22, vcc
	v_rsq_f64_e32 v[7:8], v[2:3]
	v_cmp_class_f64_e32 vcc, v[2:3], v19
	v_mul_f64 v[9:10], v[2:3], v[7:8]
	v_mul_f64 v[7:8], v[7:8], 0.5
	v_fma_f64 v[11:12], -v[7:8], v[9:10], 0.5
	v_fma_f64 v[9:10], v[9:10], v[11:12], v[9:10]
	v_fma_f64 v[7:8], v[7:8], v[11:12], v[7:8]
	v_fma_f64 v[11:12], -v[9:10], v[9:10], v[2:3]
	v_fma_f64 v[9:10], v[11:12], v[7:8], v[9:10]
	v_fma_f64 v[11:12], -v[9:10], v[9:10], v[2:3]
	v_fma_f64 v[7:8], v[11:12], v[7:8], v[9:10]
	v_ldexp_f64 v[7:8], v[7:8], v5
	v_mov_b32_e32 v5, v4
	v_cndmask_b32_e32 v3, v8, v3, vcc
	v_cndmask_b32_e32 v2, v7, v2, vcc
	ds_write_b128 v16, v[2:5]
.LBB70_70:                              ;   in Loop: Header=BB70_62 Depth=1
	s_or_b64 exec, exec, s[4:5]
	v_mov_b32_e32 v2, s20
	s_waitcnt lgkmcnt(0)
	ds_read_b128 v[7:10], v2
	s_waitcnt lgkmcnt(0)
	v_cmp_neq_f64_e32 vcc, 0, v[7:8]
	v_cmp_neq_f64_e64 s[4:5], 0, v[9:10]
	s_or_b64 vcc, vcc, s[4:5]
	v_cndmask_b32_e32 v3, 0, v10, vcc
	s_nor_b64 s[8:9], vcc, s[2:3]
	v_cndmask_b32_e32 v2, 0, v9, vcc
	v_cndmask_b32_e32 v8, v23, v8, vcc
	;; [unrolled: 1-line block ×3, first 2 shown]
	s_and_saveexec_b64 s[4:5], s[8:9]
	s_cbranch_execz .LBB70_74
; %bb.71:                               ;   in Loop: Header=BB70_62 Depth=1
	v_mbcnt_lo_u32_b32 v2, exec_lo, 0
	v_mbcnt_hi_u32_b32 v2, exec_hi, v2
	v_cmp_eq_u32_e32 vcc, 0, v2
	s_and_saveexec_b64 s[8:9], vcc
	s_cbranch_execz .LBB70_73
; %bb.72:                               ;   in Loop: Header=BB70_62 Depth=1
	v_mov_b32_e32 v2, s22
	global_atomic_smin v4, v2, s[18:19]
.LBB70_73:                              ;   in Loop: Header=BB70_62 Depth=1
	s_or_b64 exec, exec, s[8:9]
	v_mov_b32_e32 v7, 0
	v_mov_b32_e32 v2, 0
	;; [unrolled: 1-line block ×4, first 2 shown]
.LBB70_74:                              ;   in Loop: Header=BB70_62 Depth=1
	s_or_b64 exec, exec, s[4:5]
	v_cmp_lt_u32_e32 vcc, s21, v1
	s_and_saveexec_b64 s[4:5], vcc
	s_cbranch_execz .LBB70_61
; %bb.75:                               ;   in Loop: Header=BB70_62 Depth=1
	v_mul_f64 v[9:10], v[2:3], v[2:3]
	v_fma_f64 v[28:29], v[7:8], v[7:8], v[9:10]
	v_div_scale_f64 v[9:10], s[8:9], v[28:29], v[28:29], 1.0
	v_rcp_f64_e32 v[11:12], v[9:10]
	v_fma_f64 v[24:25], -v[9:10], v[11:12], 1.0
	v_fma_f64 v[11:12], v[11:12], v[24:25], v[11:12]
	v_div_scale_f64 v[24:25], vcc, 1.0, v[28:29], 1.0
	v_fma_f64 v[26:27], -v[9:10], v[11:12], 1.0
	v_fma_f64 v[30:31], v[11:12], v[26:27], v[11:12]
	v_mul_f64 v[32:33], v[24:25], v[30:31]
	v_fma_f64 v[34:35], -v[9:10], v[32:33], v[24:25]
	ds_read_b128 v[9:12], v15
	ds_read_b128 v[24:27], v15 offset:1152
	s_waitcnt lgkmcnt(0)
	v_add_f64 v[11:12], v[11:12], -v[26:27]
	v_add_f64 v[9:10], v[9:10], -v[24:25]
	v_div_fmas_f64 v[26:27], v[34:35], v[30:31], v[32:33]
	v_mul_f64 v[24:25], v[2:3], v[11:12]
	v_mul_f64 v[2:3], v[2:3], -v[9:10]
	v_fma_f64 v[9:10], v[9:10], v[7:8], v[24:25]
	v_fma_f64 v[2:3], v[11:12], v[7:8], v[2:3]
	v_div_fixup_f64 v[24:25], v[26:27], v[28:29], 1.0
	v_mul_f64 v[7:8], v[24:25], v[9:10]
	v_mul_f64 v[9:10], v[24:25], v[2:3]
	ds_write_b128 v15, v[7:10]
	s_waitcnt lgkmcnt(0)
	ds_read_b128 v[24:27], v18
	ds_read_b128 v[28:31], v20
	s_waitcnt lgkmcnt(0)
	v_fma_f64 v[2:3], v[7:8], v[24:25], v[28:29]
	v_fma_f64 v[11:12], v[9:10], v[24:25], v[30:31]
	;; [unrolled: 1-line block ×3, first 2 shown]
	v_fma_f64 v[11:12], v[7:8], -v[26:27], v[11:12]
	ds_write_b128 v20, v[9:12]
	s_branch .LBB70_61
.LBB70_76:
	s_and_saveexec_b64 s[2:3], s[0:1]
	s_cbranch_execz .LBB70_78
; %bb.77:
	v_mad_u64_u32 v[6:7], s[0:1], v13, s33, v[6:7]
	ds_read2_b64 v[2:5], v14 offset1:1
	v_mov_b32_e32 v8, s25
	v_ashrrev_i32_e32 v7, 31, v6
	v_lshlrev_b64 v[6:7], 4, v[6:7]
	v_add_co_u32_e32 v6, vcc, s24, v6
	v_addc_co_u32_e32 v7, vcc, v8, v7, vcc
	s_waitcnt lgkmcnt(0)
	global_store_dwordx4 v[6:7], v[2:5], off
.LBB70_78:
	s_or_b64 exec, exec, s[2:3]
	v_or_b32_e32 v2, v0, v1
	v_cmp_eq_u32_e32 vcc, 0, v2
	s_and_saveexec_b64 s[0:1], vcc
	s_cbranch_execz .LBB70_80
; %bb.79:
	s_add_u32 s2, s14, s10
	s_addc_u32 s3, s15, s11
	v_mov_b32_e32 v2, 0
	v_mov_b32_e32 v3, 1
	s_waitcnt vmcnt(0)
	global_store_dword v2, v3, s[2:3]
.LBB70_80:
	s_or_b64 exec, exec, s[0:1]
.LBB70_81:
	s_endpgm
.LBB70_82:
	s_cbranch_execz .LBB70_81
; %bb.83:
	v_or_b32_e32 v0, v0, v1
	v_cmp_eq_u32_e32 vcc, 0, v0
	s_and_saveexec_b64 s[0:1], vcc
	s_cbranch_execz .LBB70_81
; %bb.84:
	v_mbcnt_lo_u32_b32 v0, exec_lo, 0
	v_mbcnt_hi_u32_b32 v0, exec_hi, v0
	v_cmp_eq_u32_e32 vcc, 0, v0
	s_and_saveexec_b64 s[0:1], vcc
	s_cbranch_execz .LBB70_86
; %bb.85:
	s_add_i32 s2, s16, s17
	v_mov_b32_e32 v0, 0
	v_mov_b32_e32 v1, s2
	global_atomic_smin v0, v1, s[18:19]
.LBB70_86:
	s_or_b64 exec, exec, s[0:1]
	s_add_u32 s0, s14, s10
	s_addc_u32 s1, s15, s11
	v_mov_b32_e32 v0, 0
	v_mov_b32_e32 v1, 1
	s_waitcnt vmcnt(0)
	global_store_dword v0, v1, s[0:1]
	s_endpgm
	.section	.rodata,"a",@progbits
	.p2align	6, 0x0
	.amdhsa_kernel _ZN9rocsparseL17bsric0_2_8_kernelILi64ELi64ELi8E21rocsparse_complex_numIdEEEv20rocsparse_direction_iiPKiS5_PT2_S5_PiS5_S8_21rocsparse_index_base_
		.amdhsa_group_segment_fixed_size 5376
		.amdhsa_private_segment_fixed_size 0
		.amdhsa_kernarg_size 76
		.amdhsa_user_sgpr_count 6
		.amdhsa_user_sgpr_private_segment_buffer 1
		.amdhsa_user_sgpr_dispatch_ptr 0
		.amdhsa_user_sgpr_queue_ptr 0
		.amdhsa_user_sgpr_kernarg_segment_ptr 1
		.amdhsa_user_sgpr_dispatch_id 0
		.amdhsa_user_sgpr_flat_scratch_init 0
		.amdhsa_user_sgpr_private_segment_size 0
		.amdhsa_uses_dynamic_stack 0
		.amdhsa_system_sgpr_private_segment_wavefront_offset 0
		.amdhsa_system_sgpr_workgroup_id_x 1
		.amdhsa_system_sgpr_workgroup_id_y 0
		.amdhsa_system_sgpr_workgroup_id_z 0
		.amdhsa_system_sgpr_workgroup_info 0
		.amdhsa_system_vgpr_workitem_id 1
		.amdhsa_next_free_vgpr 65
		.amdhsa_next_free_sgpr 98
		.amdhsa_reserve_vcc 1
		.amdhsa_reserve_flat_scratch 0
		.amdhsa_float_round_mode_32 0
		.amdhsa_float_round_mode_16_64 0
		.amdhsa_float_denorm_mode_32 3
		.amdhsa_float_denorm_mode_16_64 3
		.amdhsa_dx10_clamp 1
		.amdhsa_ieee_mode 1
		.amdhsa_fp16_overflow 0
		.amdhsa_exception_fp_ieee_invalid_op 0
		.amdhsa_exception_fp_denorm_src 0
		.amdhsa_exception_fp_ieee_div_zero 0
		.amdhsa_exception_fp_ieee_overflow 0
		.amdhsa_exception_fp_ieee_underflow 0
		.amdhsa_exception_fp_ieee_inexact 0
		.amdhsa_exception_int_div_zero 0
	.end_amdhsa_kernel
	.section	.text._ZN9rocsparseL17bsric0_2_8_kernelILi64ELi64ELi8E21rocsparse_complex_numIdEEEv20rocsparse_direction_iiPKiS5_PT2_S5_PiS5_S8_21rocsparse_index_base_,"axG",@progbits,_ZN9rocsparseL17bsric0_2_8_kernelILi64ELi64ELi8E21rocsparse_complex_numIdEEEv20rocsparse_direction_iiPKiS5_PT2_S5_PiS5_S8_21rocsparse_index_base_,comdat
.Lfunc_end70:
	.size	_ZN9rocsparseL17bsric0_2_8_kernelILi64ELi64ELi8E21rocsparse_complex_numIdEEEv20rocsparse_direction_iiPKiS5_PT2_S5_PiS5_S8_21rocsparse_index_base_, .Lfunc_end70-_ZN9rocsparseL17bsric0_2_8_kernelILi64ELi64ELi8E21rocsparse_complex_numIdEEEv20rocsparse_direction_iiPKiS5_PT2_S5_PiS5_S8_21rocsparse_index_base_
                                        ; -- End function
	.set _ZN9rocsparseL17bsric0_2_8_kernelILi64ELi64ELi8E21rocsparse_complex_numIdEEEv20rocsparse_direction_iiPKiS5_PT2_S5_PiS5_S8_21rocsparse_index_base_.num_vgpr, 41
	.set _ZN9rocsparseL17bsric0_2_8_kernelILi64ELi64ELi8E21rocsparse_complex_numIdEEEv20rocsparse_direction_iiPKiS5_PT2_S5_PiS5_S8_21rocsparse_index_base_.num_agpr, 0
	.set _ZN9rocsparseL17bsric0_2_8_kernelILi64ELi64ELi8E21rocsparse_complex_numIdEEEv20rocsparse_direction_iiPKiS5_PT2_S5_PiS5_S8_21rocsparse_index_base_.numbered_sgpr, 50
	.set _ZN9rocsparseL17bsric0_2_8_kernelILi64ELi64ELi8E21rocsparse_complex_numIdEEEv20rocsparse_direction_iiPKiS5_PT2_S5_PiS5_S8_21rocsparse_index_base_.num_named_barrier, 0
	.set _ZN9rocsparseL17bsric0_2_8_kernelILi64ELi64ELi8E21rocsparse_complex_numIdEEEv20rocsparse_direction_iiPKiS5_PT2_S5_PiS5_S8_21rocsparse_index_base_.private_seg_size, 0
	.set _ZN9rocsparseL17bsric0_2_8_kernelILi64ELi64ELi8E21rocsparse_complex_numIdEEEv20rocsparse_direction_iiPKiS5_PT2_S5_PiS5_S8_21rocsparse_index_base_.uses_vcc, 1
	.set _ZN9rocsparseL17bsric0_2_8_kernelILi64ELi64ELi8E21rocsparse_complex_numIdEEEv20rocsparse_direction_iiPKiS5_PT2_S5_PiS5_S8_21rocsparse_index_base_.uses_flat_scratch, 0
	.set _ZN9rocsparseL17bsric0_2_8_kernelILi64ELi64ELi8E21rocsparse_complex_numIdEEEv20rocsparse_direction_iiPKiS5_PT2_S5_PiS5_S8_21rocsparse_index_base_.has_dyn_sized_stack, 0
	.set _ZN9rocsparseL17bsric0_2_8_kernelILi64ELi64ELi8E21rocsparse_complex_numIdEEEv20rocsparse_direction_iiPKiS5_PT2_S5_PiS5_S8_21rocsparse_index_base_.has_recursion, 0
	.set _ZN9rocsparseL17bsric0_2_8_kernelILi64ELi64ELi8E21rocsparse_complex_numIdEEEv20rocsparse_direction_iiPKiS5_PT2_S5_PiS5_S8_21rocsparse_index_base_.has_indirect_call, 0
	.section	.AMDGPU.csdata,"",@progbits
; Kernel info:
; codeLenInByte = 3928
; TotalNumSgprs: 54
; NumVgprs: 41
; ScratchSize: 0
; MemoryBound: 1
; FloatMode: 240
; IeeeMode: 1
; LDSByteSize: 5376 bytes/workgroup (compile time only)
; SGPRBlocks: 12
; VGPRBlocks: 16
; NumSGPRsForWavesPerEU: 102
; NumVGPRsForWavesPerEU: 65
; Occupancy: 3
; WaveLimiterHint : 1
; COMPUTE_PGM_RSRC2:SCRATCH_EN: 0
; COMPUTE_PGM_RSRC2:USER_SGPR: 6
; COMPUTE_PGM_RSRC2:TRAP_HANDLER: 0
; COMPUTE_PGM_RSRC2:TGID_X_EN: 1
; COMPUTE_PGM_RSRC2:TGID_Y_EN: 0
; COMPUTE_PGM_RSRC2:TGID_Z_EN: 0
; COMPUTE_PGM_RSRC2:TIDIG_COMP_CNT: 1
	.section	.text._ZN9rocsparseL18bsric0_9_16_kernelILi64ELi64ELi16E21rocsparse_complex_numIdEEEv20rocsparse_direction_iiPKiS5_PT2_S5_PiS5_S8_21rocsparse_index_base_,"axG",@progbits,_ZN9rocsparseL18bsric0_9_16_kernelILi64ELi64ELi16E21rocsparse_complex_numIdEEEv20rocsparse_direction_iiPKiS5_PT2_S5_PiS5_S8_21rocsparse_index_base_,comdat
	.globl	_ZN9rocsparseL18bsric0_9_16_kernelILi64ELi64ELi16E21rocsparse_complex_numIdEEEv20rocsparse_direction_iiPKiS5_PT2_S5_PiS5_S8_21rocsparse_index_base_ ; -- Begin function _ZN9rocsparseL18bsric0_9_16_kernelILi64ELi64ELi16E21rocsparse_complex_numIdEEEv20rocsparse_direction_iiPKiS5_PT2_S5_PiS5_S8_21rocsparse_index_base_
	.p2align	8
	.type	_ZN9rocsparseL18bsric0_9_16_kernelILi64ELi64ELi16E21rocsparse_complex_numIdEEEv20rocsparse_direction_iiPKiS5_PT2_S5_PiS5_S8_21rocsparse_index_base_,@function
_ZN9rocsparseL18bsric0_9_16_kernelILi64ELi64ELi16E21rocsparse_complex_numIdEEEv20rocsparse_direction_iiPKiS5_PT2_S5_PiS5_S8_21rocsparse_index_base_: ; @_ZN9rocsparseL18bsric0_9_16_kernelILi64ELi64ELi16E21rocsparse_complex_numIdEEEv20rocsparse_direction_iiPKiS5_PT2_S5_PiS5_S8_21rocsparse_index_base_
; %bb.0:
	s_load_dwordx8 s[8:15], s[4:5], 0x28
	s_mov_b32 s7, 0
	s_lshl_b64 s[0:1], s[6:7], 2
	s_waitcnt lgkmcnt(0)
	s_add_u32 s0, s12, s0
	s_addc_u32 s1, s13, s1
	s_load_dword s20, s[0:1], 0x0
	s_waitcnt lgkmcnt(0)
	s_ashr_i32 s21, s20, 31
	s_lshl_b64 s[12:13], s[20:21], 2
	s_add_u32 s0, s8, s12
	s_addc_u32 s1, s9, s13
	s_load_dword s33, s[0:1], 0x0
	s_load_dword s21, s[4:5], 0x48
	s_waitcnt lgkmcnt(0)
	s_cmp_lg_u32 s33, -1
	s_cbranch_scc0 .LBB71_134
; %bb.1:
	s_load_dwordx4 s[16:19], s[4:5], 0x10
	s_load_dwordx2 s[22:23], s[4:5], 0x20
	v_lshlrev_b32_e32 v2, 2, v1
	v_lshlrev_b32_e32 v20, 4, v1
	s_waitcnt lgkmcnt(0)
	s_add_u32 s0, s16, s12
	s_addc_u32 s1, s17, s13
	s_load_dword s0, s[0:1], 0x0
	s_waitcnt lgkmcnt(0)
	s_sub_i32 s46, s0, s21
	v_add3_u32 v2, v2, v0, s46
	v_cmp_ge_i32_e32 vcc, s33, v2
	s_and_saveexec_b64 s[0:1], vcc
	s_cbranch_execz .LBB71_4
; %bb.2:
	v_lshlrev_b32_e32 v3, 2, v0
	s_movk_i32 s2, 0x4600
	v_add3_u32 v4, v20, v3, s2
	s_mov_b64 s[2:3], 0
	v_mov_b32_e32 v5, s19
.LBB71_3:                               ; =>This Inner Loop Header: Depth=1
	v_ashrrev_i32_e32 v3, 31, v2
	v_lshlrev_b64 v[6:7], 2, v[2:3]
	v_add_u32_e32 v2, 64, v2
	v_add_co_u32_e32 v6, vcc, s18, v6
	v_addc_co_u32_e32 v7, vcc, v5, v7, vcc
	global_load_dword v3, v[6:7], off
	v_cmp_lt_i32_e32 vcc, s33, v2
	s_or_b64 s[2:3], vcc, s[2:3]
	s_waitcnt vmcnt(0)
	v_subrev_u32_e32 v3, s21, v3
	ds_write_b32 v4, v3
	v_add_u32_e32 v4, 0x100, v4
	s_andn2_b64 exec, exec, s[2:3]
	s_cbranch_execnz .LBB71_3
.LBB71_4:
	s_or_b64 exec, exec, s[0:1]
	v_cmp_gt_u32_e32 vcc, 16, v0
	v_lshlrev_b32_e32 v19, 4, v0
	s_and_saveexec_b64 s[0:1], vcc
	s_cbranch_execz .LBB71_7
; %bb.5:
	v_mul_u32_u24_e32 v2, 0x110, v1
	s_movk_i32 s2, 0x3300
	v_add3_u32 v7, v2, v19, s2
	v_mov_b32_e32 v2, 0
	v_add_u32_e32 v6, -4, v0
	s_mov_b64 s[2:3], 0
	v_mov_b32_e32 v3, v2
	v_mov_b32_e32 v4, v2
	;; [unrolled: 1-line block ×3, first 2 shown]
.LBB71_6:                               ; =>This Inner Loop Header: Depth=1
	v_add_u32_e32 v6, 4, v6
	v_cmp_lt_u32_e32 vcc, 11, v6
	ds_write_b128 v7, v[2:5]
	s_or_b64 s[2:3], vcc, s[2:3]
	v_add_u32_e32 v7, 64, v7
	s_andn2_b64 exec, exec, s[2:3]
	s_cbranch_execnz .LBB71_6
.LBB71_7:
	s_or_b64 exec, exec, s[0:1]
	s_load_dword s44, s[4:5], 0x8
	s_load_dword s45, s[4:5], 0x0
	s_cmp_ge_i32 s46, s33
	s_waitcnt lgkmcnt(0)
	v_cmp_gt_i32_e64 s[0:1], s44, v0
	s_cbranch_scc1 .LBB71_89
; %bb.8:
	s_movk_i32 s6, 0x110
	v_mov_b32_e32 v3, 0x1100
	v_mad_u32_u24 v22, v1, s6, v3
	v_or_b32_e32 v3, v0, v1
	s_mul_i32 s7, s44, s46
	v_cmp_ne_u32_e64 s[4:5], 0, v3
	v_add_u32_e32 v3, s7, v1
	v_mul_lo_u32 v23, s44, v1
	v_mul_lo_u32 v27, s44, v3
	;; [unrolled: 1-line block ×3, first 2 shown]
	s_cmp_lg_u32 s45, 0
	s_cselect_b64 s[24:25], -1, 0
	v_mov_b32_e32 v2, 0x2200
	s_cmp_gt_i32 s44, 0
	v_mad_u32_u24 v24, v1, s6, v19
	v_cmp_gt_i32_e64 s[2:3], s44, v1
	v_mad_u32_u24 v21, v1, s6, v2
	s_mul_i32 s47, s44, s44
	s_cselect_b64 s[26:27], -1, 0
	v_add_u32_e32 v25, 0x1100, v24
	s_lshl_b32 s48, s44, 2
	v_add_u32_e32 v28, 0x3300, v24
	v_mad_u32_u24 v29, v0, s6, v2
	v_add_u32_e32 v30, 0x2200, v24
	v_mov_b32_e32 v2, 0
	v_mov_b32_e32 v31, 0x3ff00000
	s_mov_b32 s28, s46
	s_branch .LBB71_10
.LBB71_9:                               ;   in Loop: Header=BB71_10 Depth=1
	s_or_b64 exec, exec, s[6:7]
	s_add_i32 s28, s28, 1
	s_cmp_ge_i32 s28, s33
	s_waitcnt vmcnt(0)
	buffer_wbinvl1_vol
	v_add_u32_e32 v27, s47, v27
	s_cselect_b64 s[6:7], -1, 0
	s_and_b64 vcc, exec, s[6:7]
	s_cbranch_vccnz .LBB71_89
.LBB71_10:                              ; =>This Loop Header: Depth=1
                                        ;     Child Loop BB71_14 Depth 2
                                        ;     Child Loop BB71_26 Depth 2
	;; [unrolled: 1-line block ×5, first 2 shown]
                                        ;       Child Loop BB71_56 Depth 3
                                        ;     Child Loop BB71_70 Depth 2
                                        ;       Child Loop BB71_75 Depth 3
                                        ;       Child Loop BB71_78 Depth 3
                                        ;     Child Loop BB71_84 Depth 2
	s_ashr_i32 s29, s28, 31
	s_lshl_b64 s[6:7], s[28:29], 2
	s_add_u32 s6, s18, s6
	s_addc_u32 s7, s19, s7
	s_load_dword s49, s[6:7], 0x0
	s_waitcnt lgkmcnt(0)
	s_sub_i32 s30, s49, s21
	s_ashr_i32 s31, s30, 31
	s_lshl_b64 s[6:7], s[30:31], 2
	s_add_u32 s34, s8, s6
	s_addc_u32 s35, s9, s7
	s_load_dword s31, s[34:35], 0x0
	s_waitcnt lgkmcnt(0)
	s_cmp_eq_u32 s31, -1
	s_cbranch_scc1 .LBB71_88
; %bb.11:                               ;   in Loop: Header=BB71_10 Depth=1
	s_add_u32 s34, s16, s6
	s_addc_u32 s35, s17, s7
	s_load_dword s50, s[34:35], 0x0
	s_mul_i32 s29, s28, s44
	s_and_saveexec_b64 s[34:35], s[0:1]
	s_cbranch_execz .LBB71_24
; %bb.12:                               ;   in Loop: Header=BB71_10 Depth=1
	s_mov_b64 s[36:37], 0
	v_mov_b32_e32 v9, v25
	v_mov_b32_e32 v10, v0
	s_branch .LBB71_14
.LBB71_13:                              ;   in Loop: Header=BB71_14 Depth=2
	s_or_b64 exec, exec, s[40:41]
	v_add_u32_e32 v10, 4, v10
	s_waitcnt vmcnt(0)
	ds_write_b128 v9, v[3:6] offset:4352
	v_mov_b32_e32 v3, v2
	v_mov_b32_e32 v4, v2
	;; [unrolled: 1-line block ×3, first 2 shown]
	v_cmp_le_i32_e32 vcc, s44, v10
	ds_write_b128 v9, v[2:5]
	s_or_b64 s[36:37], vcc, s[36:37]
	v_add_u32_e32 v9, 64, v9
	s_andn2_b64 exec, exec, s[36:37]
	s_cbranch_execz .LBB71_24
.LBB71_14:                              ;   Parent Loop BB71_10 Depth=1
                                        ; =>  This Inner Loop Header: Depth=2
	s_and_b64 vcc, exec, s[24:25]
	s_cbranch_vccz .LBB71_18
; %bb.15:                               ;   in Loop: Header=BB71_14 Depth=2
	s_mov_b64 s[40:41], 0
	s_mov_b64 s[38:39], 0
                                        ; implicit-def: $vgpr7
	s_and_saveexec_b64 s[42:43], s[2:3]
	s_xor_b64 s[42:43], exec, s[42:43]
; %bb.16:                               ;   in Loop: Header=BB71_14 Depth=2
	v_add_u32_e32 v3, s29, v10
	s_mov_b64 s[38:39], exec
	v_mad_u64_u32 v[7:8], s[52:53], v3, s44, v[1:2]
; %bb.17:                               ;   in Loop: Header=BB71_14 Depth=2
	s_or_b64 exec, exec, s[42:43]
	s_and_b64 vcc, exec, s[40:41]
	s_cbranch_vccnz .LBB71_19
	s_branch .LBB71_22
.LBB71_18:                              ;   in Loop: Header=BB71_14 Depth=2
	s_mov_b64 s[38:39], 0
                                        ; implicit-def: $vgpr7
	s_cbranch_execz .LBB71_22
.LBB71_19:                              ;   in Loop: Header=BB71_14 Depth=2
                                        ; implicit-def: $vgpr7
	s_and_saveexec_b64 s[40:41], s[2:3]
; %bb.20:                               ;   in Loop: Header=BB71_14 Depth=2
	v_add_u32_e32 v7, v27, v10
	s_or_b64 s[38:39], s[38:39], exec
; %bb.21:                               ;   in Loop: Header=BB71_14 Depth=2
	s_or_b64 exec, exec, s[40:41]
.LBB71_22:                              ;   in Loop: Header=BB71_14 Depth=2
	v_mov_b32_e32 v3, 0
	v_mov_b32_e32 v5, 0
	;; [unrolled: 1-line block ×4, first 2 shown]
	s_and_saveexec_b64 s[40:41], s[38:39]
	s_cbranch_execz .LBB71_13
; %bb.23:                               ;   in Loop: Header=BB71_14 Depth=2
	v_ashrrev_i32_e32 v8, 31, v7
	v_lshlrev_b64 v[3:4], 4, v[7:8]
	v_mov_b32_e32 v5, s23
	v_add_co_u32_e32 v3, vcc, s22, v3
	v_addc_co_u32_e32 v4, vcc, v5, v4, vcc
	global_load_dwordx4 v[3:6], v[3:4], off
	s_branch .LBB71_13
.LBB71_24:                              ;   in Loop: Header=BB71_10 Depth=1
	s_or_b64 exec, exec, s[34:35]
	ds_read_b32 v3, v2 offset:17920
	s_waitcnt lgkmcnt(0)
	s_sub_i32 s34, s50, s21
	s_cmp_le_i32 s34, s31
	s_cselect_b64 s[36:37], -1, 0
	s_mov_b32 s40, 0
	v_cmp_ge_i32_e32 vcc, s30, v3
	s_and_b64 s[36:37], s[36:37], vcc
	s_andn2_b64 vcc, exec, s[36:37]
	s_cbranch_vccnz .LBB71_36
; %bb.25:                               ;   in Loop: Header=BB71_10 Depth=1
	s_mov_b32 s38, 0
	s_mov_b32 s39, 0
.LBB71_26:                              ;   Parent Loop BB71_10 Depth=1
                                        ; =>  This Inner Loop Header: Depth=2
	s_ashr_i32 s35, s34, 31
	s_lshl_b64 s[36:37], s[34:35], 2
	s_add_u32 s36, s18, s36
	s_addc_u32 s37, s19, s37
	s_load_dword s35, s[36:37], 0x0
	s_lshl_b32 s36, s39, 2
	v_mov_b32_e32 v3, s36
	ds_read_b32 v3, v3 offset:17920
	s_mov_b64 s[36:37], -1
	s_waitcnt lgkmcnt(0)
	s_sub_i32 s43, s35, s21
                                        ; implicit-def: $sgpr40
                                        ; implicit-def: $sgpr42
                                        ; implicit-def: $sgpr41
	v_cmp_ge_i32_e32 vcc, s43, v3
	v_readfirstlane_b32 s35, v3
	s_cbranch_vccz .LBB71_32
; %bb.27:                               ;   in Loop: Header=BB71_26 Depth=2
	s_cmp_le_i32 s43, s35
                                        ; implicit-def: $sgpr40
                                        ; implicit-def: $sgpr42
                                        ; implicit-def: $sgpr41
	s_cbranch_scc0 .LBB71_29
; %bb.28:                               ;   in Loop: Header=BB71_26 Depth=2
	s_add_i32 s36, s39, s46
	s_mul_i32 s36, s36, s47
	s_lshl_b32 s37, s38, 2
	v_mov_b32_e32 v4, s36
	s_mul_i32 s36, s34, s47
	v_mov_b32_e32 v3, s37
	v_mov_b32_e32 v5, s36
	ds_write2st64_b32 v3, v5, v4 offset0:68 offset1:69
	s_add_i32 s41, s39, 1
	s_add_i32 s42, s34, 1
	;; [unrolled: 1-line block ×3, first 2 shown]
	s_mov_b64 s[36:37], 0
.LBB71_29:                              ;   in Loop: Header=BB71_26 Depth=2
	s_andn2_b64 vcc, exec, s[36:37]
	s_cbranch_vccnz .LBB71_31
; %bb.30:                               ;   in Loop: Header=BB71_26 Depth=2
	s_add_i32 s41, s39, 1
	s_mov_b32 s40, s38
	s_mov_b32 s42, s34
.LBB71_31:                              ;   in Loop: Header=BB71_26 Depth=2
	s_mov_b64 s[36:37], 0
.LBB71_32:                              ;   in Loop: Header=BB71_26 Depth=2
	s_andn2_b64 vcc, exec, s[36:37]
	s_cbranch_vccnz .LBB71_34
; %bb.33:                               ;   in Loop: Header=BB71_26 Depth=2
	s_add_i32 s42, s34, 1
	s_mov_b32 s41, s39
	s_mov_b32 s40, s38
.LBB71_34:                              ;   in Loop: Header=BB71_26 Depth=2
	s_cmp_le_i32 s42, s31
	s_cselect_b64 s[36:37], -1, 0
	s_cmp_le_i32 s35, s30
	s_cselect_b64 s[34:35], -1, 0
	s_and_b64 s[34:35], s[36:37], s[34:35]
	s_and_b64 vcc, exec, s[34:35]
	s_cbranch_vccz .LBB71_36
; %bb.35:                               ;   in Loop: Header=BB71_26 Depth=2
	s_mov_b32 s38, s40
	s_mov_b32 s34, s42
	;; [unrolled: 1-line block ×3, first 2 shown]
	s_branch .LBB71_26
.LBB71_36:                              ;   in Loop: Header=BB71_10 Depth=1
	s_add_u32 s6, s10, s6
	s_addc_u32 s7, s11, s7
	s_waitcnt lgkmcnt(0)
.LBB71_37:                              ;   Parent Loop BB71_10 Depth=1
                                        ; =>  This Inner Loop Header: Depth=2
	global_load_dword v3, v2, s[6:7] glc
	s_waitcnt vmcnt(0)
	v_cmp_eq_u32_e32 vcc, 0, v3
	s_cbranch_vccnz .LBB71_37
; %bb.38:                               ;   in Loop: Header=BB71_10 Depth=1
	buffer_wbinvl1_vol
	s_and_saveexec_b64 s[6:7], s[0:1]
	s_cbranch_execz .LBB71_51
; %bb.39:                               ;   in Loop: Header=BB71_10 Depth=1
	s_mul_i32 s41, s31, s44
	v_add_u32_e32 v3, s41, v1
	v_mul_lo_u32 v9, v3, s44
	s_mov_b64 s[30:31], 0
	v_mov_b32_e32 v10, v24
	v_mov_b32_e32 v11, v0
	s_branch .LBB71_41
.LBB71_40:                              ;   in Loop: Header=BB71_41 Depth=2
	s_or_b64 exec, exec, s[36:37]
	v_add_u32_e32 v11, 4, v11
	v_cmp_le_i32_e32 vcc, s44, v11
	s_waitcnt vmcnt(0)
	ds_write_b128 v10, v[3:6]
	s_or_b64 s[30:31], vcc, s[30:31]
	v_add_u32_e32 v10, 64, v10
	s_andn2_b64 exec, exec, s[30:31]
	s_cbranch_execz .LBB71_51
.LBB71_41:                              ;   Parent Loop BB71_10 Depth=1
                                        ; =>  This Inner Loop Header: Depth=2
	s_and_b64 vcc, exec, s[24:25]
	s_cbranch_vccz .LBB71_45
; %bb.42:                               ;   in Loop: Header=BB71_41 Depth=2
	s_mov_b64 s[36:37], 0
	s_mov_b64 s[34:35], 0
                                        ; implicit-def: $vgpr7
	s_and_saveexec_b64 s[38:39], s[2:3]
	s_xor_b64 s[38:39], exec, s[38:39]
; %bb.43:                               ;   in Loop: Header=BB71_41 Depth=2
	v_add_u32_e32 v3, s41, v11
	s_mov_b64 s[34:35], exec
	v_mad_u64_u32 v[7:8], s[42:43], v3, s44, v[1:2]
; %bb.44:                               ;   in Loop: Header=BB71_41 Depth=2
	s_or_b64 exec, exec, s[38:39]
	s_and_b64 vcc, exec, s[36:37]
	s_cbranch_vccnz .LBB71_46
	s_branch .LBB71_49
.LBB71_45:                              ;   in Loop: Header=BB71_41 Depth=2
	s_mov_b64 s[34:35], 0
                                        ; implicit-def: $vgpr7
	s_cbranch_execz .LBB71_49
.LBB71_46:                              ;   in Loop: Header=BB71_41 Depth=2
                                        ; implicit-def: $vgpr7
	s_and_saveexec_b64 s[36:37], s[2:3]
; %bb.47:                               ;   in Loop: Header=BB71_41 Depth=2
	v_add_u32_e32 v7, v9, v11
	s_or_b64 s[34:35], s[34:35], exec
; %bb.48:                               ;   in Loop: Header=BB71_41 Depth=2
	s_or_b64 exec, exec, s[36:37]
.LBB71_49:                              ;   in Loop: Header=BB71_41 Depth=2
	v_mov_b32_e32 v3, 0
	v_mov_b32_e32 v5, 0
	v_mov_b32_e32 v4, 0
	v_mov_b32_e32 v6, 0
	s_and_saveexec_b64 s[36:37], s[34:35]
	s_cbranch_execz .LBB71_40
; %bb.50:                               ;   in Loop: Header=BB71_41 Depth=2
	v_ashrrev_i32_e32 v8, 31, v7
	v_lshlrev_b64 v[3:4], 4, v[7:8]
	v_mov_b32_e32 v5, s23
	v_add_co_u32_e32 v3, vcc, s22, v3
	v_addc_co_u32_e32 v4, vcc, v5, v4, vcc
	global_load_dwordx4 v[3:6], v[3:4], off
	s_branch .LBB71_40
.LBB71_51:                              ;   in Loop: Header=BB71_10 Depth=1
	s_or_b64 exec, exec, s[6:7]
	s_cmp_lt_i32 s40, 2
	s_cbranch_scc1 .LBB71_67
; %bb.52:                               ;   in Loop: Header=BB71_10 Depth=1
	s_add_i32 s36, s40, -2
	s_mov_b32 s37, 0
	s_branch .LBB71_54
.LBB71_53:                              ;   in Loop: Header=BB71_54 Depth=2
	s_or_b64 exec, exec, s[6:7]
	s_add_i32 s6, s37, 1
	s_cmp_eq_u32 s37, s36
	s_mov_b32 s37, s6
	s_cbranch_scc1 .LBB71_67
.LBB71_54:                              ;   Parent Loop BB71_10 Depth=1
                                        ; =>  This Loop Header: Depth=2
                                        ;       Child Loop BB71_56 Depth 3
	s_and_saveexec_b64 s[6:7], s[0:1]
	s_cbranch_execz .LBB71_53
; %bb.55:                               ;   in Loop: Header=BB71_54 Depth=2
	s_lshl_b32 s30, s37, 2
	v_mov_b32_e32 v3, s30
	ds_read2st64_b32 v[3:4], v3 offset0:68 offset1:69
	s_mov_b64 s[30:31], 0
	v_mov_b32_e32 v36, v0
	s_waitcnt lgkmcnt(0)
	v_add_u32_e32 v32, v4, v23
	v_add_u32_e32 v33, v1, v4
	;; [unrolled: 1-line block ×4, first 2 shown]
.LBB71_56:                              ;   Parent Loop BB71_10 Depth=1
                                        ;     Parent Loop BB71_54 Depth=2
                                        ; =>    This Inner Loop Header: Depth=3
	v_mov_b32_e32 v15, 0
	v_mov_b32_e32 v17, 0
	;; [unrolled: 1-line block ×3, first 2 shown]
	s_mov_b32 s38, 0
	v_mov_b32_e32 v11, v34
	v_mov_b32_e32 v18, 0
	;; [unrolled: 1-line block ×3, first 2 shown]
	s_and_b64 vcc, exec, s[24:25]
	s_cbranch_vccnz .LBB71_59
	s_branch .LBB71_58
.LBB71_57:                              ;   in Loop: Header=BB71_56 Depth=3
	v_mov_b32_e32 v16, v4
	v_mov_b32_e32 v18, v6
	v_mov_b32_e32 v15, v3
	v_mov_b32_e32 v17, v5
	s_and_b64 vcc, exec, s[24:25]
	s_cbranch_vccnz .LBB71_59
.LBB71_58:                              ;   in Loop: Header=BB71_56 Depth=3
                                        ; implicit-def: $vgpr3_vgpr4
                                        ; implicit-def: $vgpr5_vgpr6
	s_cbranch_execz .LBB71_65
	s_branch .LBB71_62
.LBB71_59:                              ;   in Loop: Header=BB71_56 Depth=3
	v_ashrrev_i32_e32 v12, 31, v11
	v_lshlrev_b64 v[3:4], 4, v[11:12]
	v_mov_b32_e32 v5, s23
	v_add_co_u32_e32 v3, vcc, s22, v3
	v_addc_co_u32_e32 v4, vcc, v5, v4, vcc
	global_load_dwordx4 v[3:6], v[3:4], off
	v_mov_b32_e32 v7, 0
	v_mov_b32_e32 v9, 0
	;; [unrolled: 1-line block ×4, first 2 shown]
	s_and_saveexec_b64 s[34:35], s[2:3]
	s_cbranch_execz .LBB71_61
; %bb.60:                               ;   in Loop: Header=BB71_56 Depth=3
	v_ashrrev_i32_e32 v14, 31, v13
	v_lshlrev_b64 v[7:8], 4, v[13:14]
	v_mov_b32_e32 v9, s23
	v_add_co_u32_e32 v7, vcc, s22, v7
	v_addc_co_u32_e32 v8, vcc, v9, v8, vcc
	global_load_dwordx4 v[7:10], v[7:8], off
.LBB71_61:                              ;   in Loop: Header=BB71_56 Depth=3
	s_or_b64 exec, exec, s[34:35]
	s_waitcnt vmcnt(0)
	v_fma_f64 v[37:38], v[3:4], v[7:8], v[17:18]
	v_fma_f64 v[7:8], v[5:6], v[7:8], v[15:16]
	v_fma_f64 v[5:6], v[5:6], v[9:10], v[37:38]
	v_fma_f64 v[3:4], v[3:4], -v[9:10], v[7:8]
	s_branch .LBB71_65
.LBB71_62:                              ;   in Loop: Header=BB71_56 Depth=3
	v_add_u32_e32 v3, s38, v35
	v_ashrrev_i32_e32 v4, 31, v3
	v_lshlrev_b64 v[3:4], 4, v[3:4]
	v_mov_b32_e32 v5, s23
	v_add_co_u32_e32 v3, vcc, s22, v3
	v_addc_co_u32_e32 v4, vcc, v5, v4, vcc
	global_load_dwordx4 v[3:6], v[3:4], off
	v_mov_b32_e32 v7, 0
	v_mov_b32_e32 v9, 0
	;; [unrolled: 1-line block ×4, first 2 shown]
	s_and_saveexec_b64 s[34:35], s[2:3]
	s_cbranch_execz .LBB71_64
; %bb.63:                               ;   in Loop: Header=BB71_56 Depth=3
	v_add_u32_e32 v7, s38, v32
	v_ashrrev_i32_e32 v8, 31, v7
	v_lshlrev_b64 v[7:8], 4, v[7:8]
	v_mov_b32_e32 v9, s23
	v_add_co_u32_e32 v7, vcc, s22, v7
	v_addc_co_u32_e32 v8, vcc, v9, v8, vcc
	global_load_dwordx4 v[7:10], v[7:8], off
.LBB71_64:                              ;   in Loop: Header=BB71_56 Depth=3
	s_or_b64 exec, exec, s[34:35]
	s_waitcnt vmcnt(0)
	v_fma_f64 v[17:18], v[3:4], v[7:8], v[17:18]
	v_fma_f64 v[7:8], v[5:6], v[7:8], v[15:16]
	;; [unrolled: 1-line block ×3, first 2 shown]
	v_fma_f64 v[3:4], v[3:4], -v[9:10], v[7:8]
.LBB71_65:                              ;   in Loop: Header=BB71_56 Depth=3
	s_add_i32 s38, s38, 1
	v_add_u32_e32 v13, s44, v13
	s_cmp_eq_u32 s44, s38
	v_add_u32_e32 v11, s44, v11
	s_cbranch_scc0 .LBB71_57
; %bb.66:                               ;   in Loop: Header=BB71_56 Depth=3
	v_lshl_add_u32 v11, v36, 4, v22
	ds_read_b128 v[7:10], v11
	v_add_u32_e32 v36, 4, v36
	v_cmp_le_i32_e32 vcc, s44, v36
	v_add_u32_e32 v34, 4, v34
	s_or_b64 s[30:31], vcc, s[30:31]
	s_waitcnt lgkmcnt(0)
	v_add_f64 v[5:6], v[5:6], v[7:8]
	v_add_f64 v[7:8], v[3:4], v[9:10]
	v_add_u32_e32 v35, s48, v35
	ds_write_b128 v11, v[5:8]
	s_andn2_b64 exec, exec, s[30:31]
	s_cbranch_execnz .LBB71_56
	s_branch .LBB71_53
.LBB71_67:                              ;   in Loop: Header=BB71_10 Depth=1
	s_andn2_b64 vcc, exec, s[26:27]
	s_waitcnt lgkmcnt(0)
	s_cbranch_vccnz .LBB71_79
; %bb.68:                               ;   in Loop: Header=BB71_10 Depth=1
	s_mov_b32 s34, 0
	v_mov_b32_e32 v15, v29
	s_mov_b32 s35, 0
	s_branch .LBB71_70
.LBB71_69:                              ;   in Loop: Header=BB71_70 Depth=2
	s_or_b64 exec, exec, s[6:7]
	s_add_i32 s35, s35, 1
	s_addk_i32 s34, 0x110
	s_cmp_eq_u32 s35, s44
	v_add_u32_e32 v15, 16, v15
	s_waitcnt lgkmcnt(0)
	s_cbranch_scc1 .LBB71_79
.LBB71_70:                              ;   Parent Loop BB71_10 Depth=1
                                        ; =>  This Loop Header: Depth=2
                                        ;       Child Loop BB71_75 Depth 3
                                        ;       Child Loop BB71_78 Depth 3
	s_lshl_b32 s30, s35, 4
	s_mul_i32 s6, s35, 0x110
	s_add_i32 s6, s6, s30
	v_mov_b32_e32 v3, s6
	ds_read_b128 v[7:10], v3
	v_add_u32_e32 v16, s30, v21
	ds_read_b128 v[3:6], v16
	s_waitcnt lgkmcnt(1)
	v_cmp_neq_f64_e32 vcc, 0, v[7:8]
	v_cmp_neq_f64_e64 s[6:7], 0, v[9:10]
	s_or_b64 vcc, vcc, s[6:7]
	v_cndmask_b32_e32 v12, v31, v8, vcc
	s_nor_b64 s[30:31], vcc, s[4:5]
	v_cndmask_b32_e32 v11, 0, v7, vcc
	v_cndmask_b32_e32 v14, 0, v10, vcc
	;; [unrolled: 1-line block ×3, first 2 shown]
	s_and_saveexec_b64 s[6:7], s[30:31]
	s_cbranch_execz .LBB71_74
; %bb.71:                               ;   in Loop: Header=BB71_70 Depth=2
	v_mbcnt_lo_u32_b32 v7, exec_lo, 0
	v_mbcnt_hi_u32_b32 v7, exec_hi, v7
	v_cmp_eq_u32_e32 vcc, 0, v7
	s_and_saveexec_b64 s[30:31], vcc
	s_cbranch_execz .LBB71_73
; %bb.72:                               ;   in Loop: Header=BB71_70 Depth=2
	v_mov_b32_e32 v7, s49
	global_atomic_smin v2, v7, s[14:15]
.LBB71_73:                              ;   in Loop: Header=BB71_70 Depth=2
	s_or_b64 exec, exec, s[30:31]
	v_mov_b32_e32 v13, 0
	v_mov_b32_e32 v11, 0
	;; [unrolled: 1-line block ×4, first 2 shown]
.LBB71_74:                              ;   in Loop: Header=BB71_70 Depth=2
	s_or_b64 exec, exec, s[6:7]
	v_lshl_add_u32 v7, s35, 4, v22
	ds_read_b128 v[7:10], v7
	s_cmp_eq_u32 s35, 0
	v_mov_b32_e32 v17, v21
	s_mov_b32 s6, s34
	s_mov_b32 s7, s35
	s_cbranch_scc1 .LBB71_76
.LBB71_75:                              ;   Parent Loop BB71_10 Depth=1
                                        ;     Parent Loop BB71_70 Depth=2
                                        ; =>    This Inner Loop Header: Depth=3
	v_mov_b32_e32 v18, s6
	ds_read_b128 v[32:35], v17
	ds_read_b128 v[36:39], v18
	s_add_i32 s7, s7, -1
	s_add_i32 s6, s6, 16
	s_cmp_eq_u32 s7, 0
	v_add_u32_e32 v17, 16, v17
	s_waitcnt lgkmcnt(0)
	v_fma_f64 v[7:8], v[36:37], v[32:33], v[7:8]
	v_fma_f64 v[9:10], v[38:39], v[32:33], v[9:10]
	;; [unrolled: 1-line block ×3, first 2 shown]
	v_fma_f64 v[9:10], v[36:37], -v[34:35], v[9:10]
	s_cbranch_scc0 .LBB71_75
.LBB71_76:                              ;   in Loop: Header=BB71_70 Depth=2
	v_mul_f64 v[17:18], v[13:14], v[13:14]
	s_waitcnt lgkmcnt(0)
	v_add_f64 v[5:6], v[5:6], -v[9:10]
	v_add_f64 v[3:4], v[3:4], -v[7:8]
	v_fma_f64 v[17:18], v[11:12], v[11:12], v[17:18]
	v_mul_f64 v[7:8], v[13:14], v[5:6]
	v_mul_f64 v[13:14], v[13:14], -v[3:4]
	v_div_scale_f64 v[32:33], s[6:7], v[17:18], v[17:18], 1.0
	v_fma_f64 v[3:4], v[3:4], v[11:12], v[7:8]
	v_fma_f64 v[5:6], v[5:6], v[11:12], v[13:14]
	v_rcp_f64_e32 v[34:35], v[32:33]
	v_fma_f64 v[36:37], -v[32:33], v[34:35], 1.0
	v_fma_f64 v[34:35], v[34:35], v[36:37], v[34:35]
	v_div_scale_f64 v[36:37], vcc, 1.0, v[17:18], 1.0
	v_fma_f64 v[38:39], -v[32:33], v[34:35], 1.0
	v_fma_f64 v[34:35], v[34:35], v[38:39], v[34:35]
	v_mul_f64 v[38:39], v[36:37], v[34:35]
	v_fma_f64 v[32:33], -v[32:33], v[38:39], v[36:37]
	v_div_fmas_f64 v[9:10], v[32:33], v[34:35], v[38:39]
	v_div_fixup_f64 v[7:8], v[9:10], v[17:18], 1.0
	v_mul_f64 v[3:4], v[7:8], v[3:4]
	v_mul_f64 v[5:6], v[7:8], v[5:6]
	ds_write_b128 v16, v[3:6]
	s_waitcnt lgkmcnt(0)
	s_and_saveexec_b64 s[6:7], s[0:1]
	s_cbranch_execz .LBB71_69
; %bb.77:                               ;   in Loop: Header=BB71_70 Depth=2
	s_mov_b64 s[30:31], 0
	v_mov_b32_e32 v7, v15
	v_mov_b32_e32 v8, v28
	;; [unrolled: 1-line block ×3, first 2 shown]
.LBB71_78:                              ;   Parent Loop BB71_10 Depth=1
                                        ;     Parent Loop BB71_70 Depth=2
                                        ; =>    This Inner Loop Header: Depth=3
	ds_read_b128 v[10:13], v7
	ds_read_b128 v[32:35], v8
	v_add_u32_e32 v9, 4, v9
	v_cmp_le_i32_e32 vcc, s44, v9
	s_or_b64 s[30:31], vcc, s[30:31]
	v_add_u32_e32 v7, 0x440, v7
	s_waitcnt lgkmcnt(0)
	v_fma_f64 v[16:17], v[3:4], v[10:11], v[32:33]
	v_fma_f64 v[32:33], v[5:6], v[10:11], v[34:35]
	;; [unrolled: 1-line block ×3, first 2 shown]
	v_fma_f64 v[12:13], v[3:4], -v[12:13], v[32:33]
	ds_write_b128 v8, v[10:13]
	v_add_u32_e32 v8, 64, v8
	s_andn2_b64 exec, exec, s[30:31]
	s_cbranch_execnz .LBB71_78
	s_branch .LBB71_69
.LBB71_79:                              ;   in Loop: Header=BB71_10 Depth=1
	s_and_saveexec_b64 s[6:7], s[0:1]
	s_cbranch_execz .LBB71_9
; %bb.80:                               ;   in Loop: Header=BB71_10 Depth=1
	s_mov_b64 s[30:31], 0
	v_mov_b32_e32 v5, v30
	v_mov_b32_e32 v6, v0
	s_branch .LBB71_84
.LBB71_81:                              ;   in Loop: Header=BB71_84 Depth=2
	v_add_u32_e32 v3, v27, v6
.LBB71_82:                              ;   in Loop: Header=BB71_84 Depth=2
	v_ashrrev_i32_e32 v4, 31, v3
	ds_read2_b64 v[7:10], v5 offset1:1
	v_lshlrev_b64 v[3:4], 4, v[3:4]
	v_mov_b32_e32 v11, s23
	v_add_co_u32_e32 v3, vcc, s22, v3
	v_addc_co_u32_e32 v4, vcc, v11, v4, vcc
	s_waitcnt lgkmcnt(0)
	global_store_dwordx4 v[3:4], v[7:10], off
.LBB71_83:                              ;   in Loop: Header=BB71_84 Depth=2
	s_or_b64 exec, exec, s[34:35]
	v_add_u32_e32 v6, 4, v6
	v_cmp_le_i32_e32 vcc, s44, v6
	s_or_b64 s[30:31], vcc, s[30:31]
	v_add_u32_e32 v5, 64, v5
	s_andn2_b64 exec, exec, s[30:31]
	s_cbranch_execz .LBB71_9
.LBB71_84:                              ;   Parent Loop BB71_10 Depth=1
                                        ; =>  This Inner Loop Header: Depth=2
	s_and_saveexec_b64 s[34:35], s[2:3]
	s_cbranch_execz .LBB71_83
; %bb.85:                               ;   in Loop: Header=BB71_84 Depth=2
	s_and_b64 vcc, exec, s[24:25]
	s_cbranch_vccz .LBB71_87
; %bb.86:                               ;   in Loop: Header=BB71_84 Depth=2
	v_add_u32_e32 v3, s29, v6
	v_mad_u64_u32 v[3:4], s[36:37], v3, s44, v[1:2]
	s_cbranch_execnz .LBB71_82
	s_branch .LBB71_81
.LBB71_87:                              ;   in Loop: Header=BB71_84 Depth=2
                                        ; implicit-def: $vgpr3
	s_branch .LBB71_81
.LBB71_88:                              ;   in Loop: Header=BB71_10 Depth=1
                                        ; implicit-def: $sgpr28
                                        ; implicit-def: $vgpr27
	s_cbranch_execz .LBB71_10
.LBB71_89:
	v_cmp_gt_i32_e64 s[0:1], s44, v0
	s_and_saveexec_b64 s[4:5], s[0:1]
	s_cbranch_execz .LBB71_102
; %bb.90:
	s_mul_i32 s26, s33, s44
	v_add_u32_e32 v2, s26, v1
	v_mul_lo_u32 v8, v2, s44
	s_cmp_lg_u32 s45, 0
	v_mul_u32_u24_e32 v2, 0x110, v1
	s_movk_i32 s8, 0x2200
	s_cselect_b64 s[6:7], -1, 0
	v_cmp_gt_i32_e64 s[2:3], s44, v1
	v_add3_u32 v9, v2, v19, s8
	s_mov_b64 s[8:9], 0
	v_mov_b32_e32 v10, v0
	s_branch .LBB71_92
.LBB71_91:                              ;   in Loop: Header=BB71_92 Depth=1
	s_or_b64 exec, exec, s[18:19]
	v_add_u32_e32 v10, 4, v10
	v_cmp_le_i32_e32 vcc, s44, v10
	s_waitcnt vmcnt(0)
	ds_write_b128 v9, v[2:5]
	s_or_b64 s[8:9], vcc, s[8:9]
	v_add_u32_e32 v9, 64, v9
	s_andn2_b64 exec, exec, s[8:9]
	s_cbranch_execz .LBB71_102
.LBB71_92:                              ; =>This Inner Loop Header: Depth=1
	s_and_b64 vcc, exec, s[6:7]
	s_cbranch_vccz .LBB71_96
; %bb.93:                               ;   in Loop: Header=BB71_92 Depth=1
	s_mov_b64 s[18:19], 0
	s_mov_b64 s[16:17], 0
                                        ; implicit-def: $vgpr6
	s_and_saveexec_b64 s[24:25], s[2:3]
	s_xor_b64 s[24:25], exec, s[24:25]
; %bb.94:                               ;   in Loop: Header=BB71_92 Depth=1
	v_add_u32_e32 v2, s26, v10
	s_mov_b64 s[16:17], exec
	v_mad_u64_u32 v[6:7], s[28:29], v2, s44, v[1:2]
; %bb.95:                               ;   in Loop: Header=BB71_92 Depth=1
	s_or_b64 exec, exec, s[24:25]
	s_and_b64 vcc, exec, s[18:19]
	s_cbranch_vccnz .LBB71_97
	s_branch .LBB71_100
.LBB71_96:                              ;   in Loop: Header=BB71_92 Depth=1
	s_mov_b64 s[16:17], 0
                                        ; implicit-def: $vgpr6
	s_cbranch_execz .LBB71_100
.LBB71_97:                              ;   in Loop: Header=BB71_92 Depth=1
                                        ; implicit-def: $vgpr6
	s_and_saveexec_b64 s[18:19], s[2:3]
; %bb.98:                               ;   in Loop: Header=BB71_92 Depth=1
	v_add_u32_e32 v6, v8, v10
	s_or_b64 s[16:17], s[16:17], exec
; %bb.99:                               ;   in Loop: Header=BB71_92 Depth=1
	s_or_b64 exec, exec, s[18:19]
.LBB71_100:                             ;   in Loop: Header=BB71_92 Depth=1
	v_mov_b32_e32 v2, 0
	v_mov_b32_e32 v4, 0
	;; [unrolled: 1-line block ×4, first 2 shown]
	s_and_saveexec_b64 s[18:19], s[16:17]
	s_cbranch_execz .LBB71_91
; %bb.101:                              ;   in Loop: Header=BB71_92 Depth=1
	v_ashrrev_i32_e32 v7, 31, v6
	v_lshlrev_b64 v[2:3], 4, v[6:7]
	v_mov_b32_e32 v4, s23
	v_add_co_u32_e32 v2, vcc, s22, v2
	v_addc_co_u32_e32 v3, vcc, v4, v3, vcc
	global_load_dwordx4 v[2:5], v[2:3], off
	s_branch .LBB71_91
.LBB71_102:
	s_or_b64 exec, exec, s[4:5]
	s_cmp_lt_i32 s44, 1
	s_waitcnt lgkmcnt(0)
	s_cbranch_scc1 .LBB71_121
; %bb.103:
	v_or_b32_e32 v4, v0, v1
	s_movk_i32 s4, 0x110
	v_mov_b32_e32 v2, 0x2200
	v_cmp_ne_u32_e64 s[2:3], 0, v4
	v_mov_b32_e32 v4, 0x3300
	v_mad_u32_u24 v11, v1, s4, v2
	v_mul_u32_u24_e32 v3, 0x110, v1
	s_movk_i32 s5, 0x3300
	v_mad_u32_u24 v12, v1, s4, v4
	s_mov_b32 s6, 0
	s_mov_b32 s18, 0
	s_add_i32 s19, s20, s21
	v_add_u32_e32 v13, v11, v20
	v_add_u32_e32 v14, v12, v20
	v_add3_u32 v15, v3, v19, s5
	v_mad_u32_u24 v16, v0, s4, v2
	s_brev_b32 s7, 8
	v_mov_b32_e32 v17, 0x260
	v_mov_b32_e32 v4, 0
	;; [unrolled: 1-line block ×5, first 2 shown]
	s_branch .LBB71_105
.LBB71_104:                             ;   in Loop: Header=BB71_105 Depth=1
	s_or_b64 exec, exec, s[4:5]
	s_add_i32 s18, s18, 1
	s_cmp_eq_u32 s18, s44
	v_add_u32_e32 v16, 16, v16
	s_waitcnt lgkmcnt(0)
	s_cbranch_scc1 .LBB71_121
.LBB71_105:                             ; =>This Loop Header: Depth=1
                                        ;     Child Loop BB71_120 Depth 2
	v_cmp_eq_u32_e32 vcc, s18, v1
	s_and_saveexec_b64 s[4:5], vcc
	s_cbranch_execz .LBB71_113
; %bb.106:                              ;   in Loop: Header=BB71_105 Depth=1
	ds_read_b128 v[5:8], v14
	ds_read_b128 v[22:25], v13
	s_waitcnt lgkmcnt(0)
	v_add_f64 v[2:3], v[22:23], -v[5:6]
	v_add_f64 v[9:10], v[24:25], -v[7:8]
                                        ; implicit-def: $vgpr7_vgpr8
	v_cmp_gt_f64_e32 vcc, 0, v[2:3]
	v_xor_b32_e32 v5, 0x80000000, v3
	v_xor_b32_e32 v6, 0x80000000, v10
	v_cndmask_b32_e32 v3, v3, v5, vcc
	v_cmp_gt_f64_e32 vcc, 0, v[9:10]
	v_mov_b32_e32 v5, v9
	v_cndmask_b32_e32 v6, v10, v6, vcc
	v_cmp_ngt_f64_e32 vcc, v[2:3], v[5:6]
	s_and_saveexec_b64 s[8:9], vcc
	s_xor_b64 s[8:9], exec, s[8:9]
	s_cbranch_execz .LBB71_110
; %bb.107:                              ;   in Loop: Header=BB71_105 Depth=1
	v_cmp_neq_f64_e32 vcc, 0, v[9:10]
	v_mov_b32_e32 v7, 0
	v_mov_b32_e32 v8, 0
	s_and_saveexec_b64 s[16:17], vcc
	s_cbranch_execz .LBB71_109
; %bb.108:                              ;   in Loop: Header=BB71_105 Depth=1
	v_div_scale_f64 v[7:8], s[24:25], v[5:6], v[5:6], v[2:3]
	v_rcp_f64_e32 v[9:10], v[7:8]
	v_fma_f64 v[22:23], -v[7:8], v[9:10], 1.0
	v_fma_f64 v[9:10], v[9:10], v[22:23], v[9:10]
	v_div_scale_f64 v[22:23], vcc, v[2:3], v[5:6], v[2:3]
	v_fma_f64 v[24:25], -v[7:8], v[9:10], 1.0
	v_fma_f64 v[9:10], v[9:10], v[24:25], v[9:10]
	v_mul_f64 v[24:25], v[22:23], v[9:10]
	v_fma_f64 v[7:8], -v[7:8], v[24:25], v[22:23]
	v_div_fmas_f64 v[7:8], v[7:8], v[9:10], v[24:25]
	v_div_fixup_f64 v[2:3], v[7:8], v[5:6], v[2:3]
	v_fma_f64 v[2:3], v[2:3], v[2:3], 1.0
	v_cmp_gt_f64_e32 vcc, s[6:7], v[2:3]
	v_cndmask_b32_e32 v7, 0, v20, vcc
	v_ldexp_f64 v[2:3], v[2:3], v7
	v_rsq_f64_e32 v[7:8], v[2:3]
	v_mul_f64 v[9:10], v[2:3], v[7:8]
	v_mul_f64 v[7:8], v[7:8], 0.5
	v_fma_f64 v[22:23], -v[7:8], v[9:10], 0.5
	v_fma_f64 v[9:10], v[9:10], v[22:23], v[9:10]
	v_fma_f64 v[7:8], v[7:8], v[22:23], v[7:8]
	v_fma_f64 v[22:23], -v[9:10], v[9:10], v[2:3]
	v_fma_f64 v[9:10], v[22:23], v[7:8], v[9:10]
	v_fma_f64 v[22:23], -v[9:10], v[9:10], v[2:3]
	v_fma_f64 v[7:8], v[22:23], v[7:8], v[9:10]
	v_cndmask_b32_e32 v9, 0, v21, vcc
	v_cmp_class_f64_e32 vcc, v[2:3], v17
	v_ldexp_f64 v[7:8], v[7:8], v9
	v_cndmask_b32_e32 v3, v8, v3, vcc
	v_cndmask_b32_e32 v2, v7, v2, vcc
	v_mul_f64 v[7:8], v[5:6], v[2:3]
.LBB71_109:                             ;   in Loop: Header=BB71_105 Depth=1
	s_or_b64 exec, exec, s[16:17]
                                        ; implicit-def: $vgpr2_vgpr3
                                        ; implicit-def: $vgpr5_vgpr6
.LBB71_110:                             ;   in Loop: Header=BB71_105 Depth=1
	s_andn2_saveexec_b64 s[8:9], s[8:9]
	s_cbranch_execz .LBB71_112
; %bb.111:                              ;   in Loop: Header=BB71_105 Depth=1
	v_div_scale_f64 v[7:8], s[16:17], v[2:3], v[2:3], v[5:6]
	v_rcp_f64_e32 v[9:10], v[7:8]
	v_fma_f64 v[22:23], -v[7:8], v[9:10], 1.0
	v_fma_f64 v[9:10], v[9:10], v[22:23], v[9:10]
	v_div_scale_f64 v[22:23], vcc, v[5:6], v[2:3], v[5:6]
	v_fma_f64 v[24:25], -v[7:8], v[9:10], 1.0
	v_fma_f64 v[9:10], v[9:10], v[24:25], v[9:10]
	v_mul_f64 v[24:25], v[22:23], v[9:10]
	v_fma_f64 v[7:8], -v[7:8], v[24:25], v[22:23]
	v_div_fmas_f64 v[7:8], v[7:8], v[9:10], v[24:25]
	v_div_fixup_f64 v[5:6], v[7:8], v[2:3], v[5:6]
	v_fma_f64 v[5:6], v[5:6], v[5:6], 1.0
	v_cmp_gt_f64_e32 vcc, s[6:7], v[5:6]
	v_cndmask_b32_e32 v7, 0, v20, vcc
	v_ldexp_f64 v[5:6], v[5:6], v7
	v_rsq_f64_e32 v[7:8], v[5:6]
	v_mul_f64 v[9:10], v[5:6], v[7:8]
	v_mul_f64 v[7:8], v[7:8], 0.5
	v_fma_f64 v[22:23], -v[7:8], v[9:10], 0.5
	v_fma_f64 v[9:10], v[9:10], v[22:23], v[9:10]
	v_fma_f64 v[7:8], v[7:8], v[22:23], v[7:8]
	v_fma_f64 v[22:23], -v[9:10], v[9:10], v[5:6]
	v_fma_f64 v[9:10], v[22:23], v[7:8], v[9:10]
	v_fma_f64 v[22:23], -v[9:10], v[9:10], v[5:6]
	v_fma_f64 v[7:8], v[22:23], v[7:8], v[9:10]
	v_cndmask_b32_e32 v9, 0, v21, vcc
	v_cmp_class_f64_e32 vcc, v[5:6], v17
	v_ldexp_f64 v[7:8], v[7:8], v9
	v_cndmask_b32_e32 v6, v8, v6, vcc
	v_cndmask_b32_e32 v5, v7, v5, vcc
	v_mul_f64 v[7:8], v[2:3], v[5:6]
.LBB71_112:                             ;   in Loop: Header=BB71_105 Depth=1
	s_or_b64 exec, exec, s[8:9]
	v_cmp_gt_f64_e32 vcc, s[6:7], v[7:8]
	v_cndmask_b32_e32 v2, 0, v20, vcc
	v_ldexp_f64 v[2:3], v[7:8], v2
	v_rsq_f64_e32 v[5:6], v[2:3]
	v_mul_f64 v[7:8], v[2:3], v[5:6]
	v_mul_f64 v[5:6], v[5:6], 0.5
	v_fma_f64 v[9:10], -v[5:6], v[7:8], 0.5
	v_fma_f64 v[7:8], v[7:8], v[9:10], v[7:8]
	v_fma_f64 v[5:6], v[5:6], v[9:10], v[5:6]
	v_fma_f64 v[9:10], -v[7:8], v[7:8], v[2:3]
	v_fma_f64 v[7:8], v[9:10], v[5:6], v[7:8]
	v_fma_f64 v[9:10], -v[7:8], v[7:8], v[2:3]
	v_fma_f64 v[5:6], v[9:10], v[5:6], v[7:8]
	v_cndmask_b32_e32 v7, 0, v21, vcc
	v_cmp_class_f64_e32 vcc, v[2:3], v17
	v_ldexp_f64 v[5:6], v[5:6], v7
	v_cndmask_b32_e32 v3, v6, v3, vcc
	v_cndmask_b32_e32 v2, v5, v2, vcc
	v_mov_b32_e32 v5, v4
	ds_write_b128 v13, v[2:5]
.LBB71_113:                             ;   in Loop: Header=BB71_105 Depth=1
	s_or_b64 exec, exec, s[4:5]
	s_lshl_b32 s8, s18, 4
	s_mul_i32 s4, s18, 0x110
	s_add_i32 s4, s4, s8
	v_mov_b32_e32 v2, s4
	s_waitcnt lgkmcnt(0)
	ds_read_b128 v[23:26], v2 offset:8704
	v_add_u32_e32 v22, s8, v11
	ds_read_b128 v[5:8], v22
	s_waitcnt lgkmcnt(1)
	v_cmp_neq_f64_e32 vcc, 0, v[23:24]
	v_cmp_neq_f64_e64 s[4:5], 0, v[25:26]
	s_or_b64 vcc, vcc, s[4:5]
	v_cndmask_b32_e32 v3, 0, v26, vcc
	s_nor_b64 s[8:9], vcc, s[2:3]
	v_cndmask_b32_e32 v2, 0, v25, vcc
	v_cndmask_b32_e32 v10, v18, v24, vcc
	;; [unrolled: 1-line block ×3, first 2 shown]
	s_and_saveexec_b64 s[4:5], s[8:9]
	s_cbranch_execz .LBB71_117
; %bb.114:                              ;   in Loop: Header=BB71_105 Depth=1
	v_mbcnt_lo_u32_b32 v2, exec_lo, 0
	v_mbcnt_hi_u32_b32 v2, exec_hi, v2
	v_cmp_eq_u32_e32 vcc, 0, v2
	s_and_saveexec_b64 s[8:9], vcc
	s_cbranch_execz .LBB71_116
; %bb.115:                              ;   in Loop: Header=BB71_105 Depth=1
	v_mov_b32_e32 v2, s19
	global_atomic_smin v4, v2, s[14:15]
.LBB71_116:                             ;   in Loop: Header=BB71_105 Depth=1
	s_or_b64 exec, exec, s[8:9]
	v_mov_b32_e32 v9, 0
	v_mov_b32_e32 v2, 0
	;; [unrolled: 1-line block ×4, first 2 shown]
.LBB71_117:                             ;   in Loop: Header=BB71_105 Depth=1
	s_or_b64 exec, exec, s[4:5]
	v_cmp_lt_u32_e32 vcc, s18, v1
	s_and_saveexec_b64 s[4:5], vcc
	s_cbranch_execz .LBB71_104
; %bb.118:                              ;   in Loop: Header=BB71_105 Depth=1
	v_mul_f64 v[23:24], v[2:3], v[2:3]
	v_fma_f64 v[27:28], v[9:10], v[9:10], v[23:24]
	v_div_scale_f64 v[23:24], s[8:9], v[27:28], v[27:28], 1.0
	v_rcp_f64_e32 v[25:26], v[23:24]
	v_fma_f64 v[29:30], -v[23:24], v[25:26], 1.0
	v_fma_f64 v[25:26], v[25:26], v[29:30], v[25:26]
	v_div_scale_f64 v[29:30], vcc, 1.0, v[27:28], 1.0
	v_fma_f64 v[31:32], -v[23:24], v[25:26], 1.0
	v_fma_f64 v[31:32], v[25:26], v[31:32], v[25:26]
	v_lshl_add_u32 v25, s18, 4, v12
	v_mul_f64 v[33:34], v[29:30], v[31:32]
	v_fma_f64 v[29:30], -v[23:24], v[33:34], v[29:30]
	ds_read_b128 v[23:26], v25
	s_waitcnt lgkmcnt(0)
	v_add_f64 v[7:8], v[7:8], -v[25:26]
	v_add_f64 v[5:6], v[5:6], -v[23:24]
	v_div_fmas_f64 v[25:26], v[29:30], v[31:32], v[33:34]
	v_mul_f64 v[23:24], v[2:3], v[7:8]
	v_mul_f64 v[2:3], v[2:3], -v[5:6]
	v_fma_f64 v[5:6], v[5:6], v[9:10], v[23:24]
	v_fma_f64 v[2:3], v[7:8], v[9:10], v[2:3]
	v_div_fixup_f64 v[23:24], v[25:26], v[27:28], 1.0
	v_mul_f64 v[5:6], v[23:24], v[5:6]
	v_mul_f64 v[7:8], v[23:24], v[2:3]
	ds_write_b128 v22, v[5:8]
	s_waitcnt lgkmcnt(0)
	s_and_b64 exec, exec, s[0:1]
	s_cbranch_execz .LBB71_104
; %bb.119:                              ;   in Loop: Header=BB71_105 Depth=1
	s_mov_b64 s[8:9], 0
	v_mov_b32_e32 v2, v16
	v_mov_b32_e32 v3, v15
	;; [unrolled: 1-line block ×3, first 2 shown]
.LBB71_120:                             ;   Parent Loop BB71_105 Depth=1
                                        ; =>  This Inner Loop Header: Depth=2
	ds_read_b128 v[22:25], v2
	ds_read_b128 v[26:29], v3
	v_add_u32_e32 v9, 4, v9
	v_cmp_le_i32_e32 vcc, s44, v9
	s_or_b64 s[8:9], vcc, s[8:9]
	v_add_u32_e32 v2, 0x440, v2
	s_waitcnt lgkmcnt(0)
	v_fma_f64 v[26:27], v[5:6], v[22:23], v[26:27]
	v_fma_f64 v[28:29], v[7:8], v[22:23], v[28:29]
	;; [unrolled: 1-line block ×3, first 2 shown]
	v_fma_f64 v[24:25], v[5:6], -v[24:25], v[28:29]
	ds_write_b128 v3, v[22:25]
	v_add_u32_e32 v3, 64, v3
	s_andn2_b64 exec, exec, s[8:9]
	s_cbranch_execnz .LBB71_120
	s_branch .LBB71_104
.LBB71_121:
	s_and_saveexec_b64 s[2:3], s[0:1]
	s_cbranch_execz .LBB71_130
; %bb.122:
	s_mul_i32 s33, s33, s44
	v_add_u32_e32 v2, s33, v1
	v_mul_lo_u32 v4, v2, s44
	s_cmp_lg_u32 s45, 0
	v_mul_u32_u24_e32 v2, 0x110, v1
	s_movk_i32 s6, 0x2200
	v_cmp_gt_i32_e64 s[0:1], s44, v1
	s_cselect_b64 s[4:5], -1, 0
	v_add3_u32 v5, v2, v19, s6
	s_mov_b64 s[6:7], 0
	v_mov_b32_e32 v6, v0
	s_branch .LBB71_126
.LBB71_123:                             ;   in Loop: Header=BB71_126 Depth=1
	v_add_u32_e32 v2, v4, v6
.LBB71_124:                             ;   in Loop: Header=BB71_126 Depth=1
	v_ashrrev_i32_e32 v3, 31, v2
	ds_read2_b64 v[7:10], v5 offset1:1
	v_lshlrev_b64 v[2:3], 4, v[2:3]
	v_mov_b32_e32 v11, s23
	v_add_co_u32_e32 v2, vcc, s22, v2
	v_addc_co_u32_e32 v3, vcc, v11, v3, vcc
	s_waitcnt lgkmcnt(0)
	global_store_dwordx4 v[2:3], v[7:10], off
.LBB71_125:                             ;   in Loop: Header=BB71_126 Depth=1
	s_or_b64 exec, exec, s[8:9]
	v_add_u32_e32 v6, 4, v6
	v_cmp_le_i32_e32 vcc, s44, v6
	s_or_b64 s[6:7], vcc, s[6:7]
	v_add_u32_e32 v5, 64, v5
	s_andn2_b64 exec, exec, s[6:7]
	s_cbranch_execz .LBB71_130
.LBB71_126:                             ; =>This Inner Loop Header: Depth=1
	s_and_saveexec_b64 s[8:9], s[0:1]
	s_cbranch_execz .LBB71_125
; %bb.127:                              ;   in Loop: Header=BB71_126 Depth=1
	s_and_b64 vcc, exec, s[4:5]
	s_cbranch_vccz .LBB71_129
; %bb.128:                              ;   in Loop: Header=BB71_126 Depth=1
	v_add_u32_e32 v2, s33, v6
	v_mad_u64_u32 v[2:3], s[16:17], v2, s44, v[1:2]
	s_cbranch_execnz .LBB71_124
	s_branch .LBB71_123
.LBB71_129:                             ;   in Loop: Header=BB71_126 Depth=1
                                        ; implicit-def: $vgpr2
	s_branch .LBB71_123
.LBB71_130:
	s_or_b64 exec, exec, s[2:3]
	v_or_b32_e32 v2, v0, v1
	v_cmp_eq_u32_e32 vcc, 0, v2
	s_and_saveexec_b64 s[0:1], vcc
	s_cbranch_execz .LBB71_132
; %bb.131:
	s_add_u32 s2, s10, s12
	s_addc_u32 s3, s11, s13
	v_mov_b32_e32 v2, 0
	v_mov_b32_e32 v3, 1
	s_waitcnt vmcnt(0)
	global_store_dword v2, v3, s[2:3]
.LBB71_132:
	s_or_b64 exec, exec, s[0:1]
.LBB71_133:
	s_endpgm
.LBB71_134:
	s_cbranch_execz .LBB71_133
; %bb.135:
	v_or_b32_e32 v0, v0, v1
	v_cmp_eq_u32_e32 vcc, 0, v0
	s_and_saveexec_b64 s[0:1], vcc
	s_cbranch_execz .LBB71_133
; %bb.136:
	v_mbcnt_lo_u32_b32 v0, exec_lo, 0
	v_mbcnt_hi_u32_b32 v0, exec_hi, v0
	v_cmp_eq_u32_e32 vcc, 0, v0
	s_and_saveexec_b64 s[0:1], vcc
	s_cbranch_execz .LBB71_138
; %bb.137:
	s_add_i32 s2, s20, s21
	v_mov_b32_e32 v0, 0
	v_mov_b32_e32 v1, s2
	global_atomic_smin v0, v1, s[14:15]
.LBB71_138:
	s_or_b64 exec, exec, s[0:1]
	s_add_u32 s0, s10, s12
	s_addc_u32 s1, s11, s13
	v_mov_b32_e32 v0, 0
	v_mov_b32_e32 v1, 1
	s_waitcnt vmcnt(0)
	global_store_dword v0, v1, s[0:1]
	s_endpgm
	.section	.rodata,"a",@progbits
	.p2align	6, 0x0
	.amdhsa_kernel _ZN9rocsparseL18bsric0_9_16_kernelILi64ELi64ELi16E21rocsparse_complex_numIdEEEv20rocsparse_direction_iiPKiS5_PT2_S5_PiS5_S8_21rocsparse_index_base_
		.amdhsa_group_segment_fixed_size 18176
		.amdhsa_private_segment_fixed_size 0
		.amdhsa_kernarg_size 76
		.amdhsa_user_sgpr_count 6
		.amdhsa_user_sgpr_private_segment_buffer 1
		.amdhsa_user_sgpr_dispatch_ptr 0
		.amdhsa_user_sgpr_queue_ptr 0
		.amdhsa_user_sgpr_kernarg_segment_ptr 1
		.amdhsa_user_sgpr_dispatch_id 0
		.amdhsa_user_sgpr_flat_scratch_init 0
		.amdhsa_user_sgpr_private_segment_size 0
		.amdhsa_uses_dynamic_stack 0
		.amdhsa_system_sgpr_private_segment_wavefront_offset 0
		.amdhsa_system_sgpr_workgroup_id_x 1
		.amdhsa_system_sgpr_workgroup_id_y 0
		.amdhsa_system_sgpr_workgroup_id_z 0
		.amdhsa_system_sgpr_workgroup_info 0
		.amdhsa_system_vgpr_workitem_id 1
		.amdhsa_next_free_vgpr 129
		.amdhsa_next_free_sgpr 98
		.amdhsa_reserve_vcc 1
		.amdhsa_reserve_flat_scratch 0
		.amdhsa_float_round_mode_32 0
		.amdhsa_float_round_mode_16_64 0
		.amdhsa_float_denorm_mode_32 3
		.amdhsa_float_denorm_mode_16_64 3
		.amdhsa_dx10_clamp 1
		.amdhsa_ieee_mode 1
		.amdhsa_fp16_overflow 0
		.amdhsa_exception_fp_ieee_invalid_op 0
		.amdhsa_exception_fp_denorm_src 0
		.amdhsa_exception_fp_ieee_div_zero 0
		.amdhsa_exception_fp_ieee_overflow 0
		.amdhsa_exception_fp_ieee_underflow 0
		.amdhsa_exception_fp_ieee_inexact 0
		.amdhsa_exception_int_div_zero 0
	.end_amdhsa_kernel
	.section	.text._ZN9rocsparseL18bsric0_9_16_kernelILi64ELi64ELi16E21rocsparse_complex_numIdEEEv20rocsparse_direction_iiPKiS5_PT2_S5_PiS5_S8_21rocsparse_index_base_,"axG",@progbits,_ZN9rocsparseL18bsric0_9_16_kernelILi64ELi64ELi16E21rocsparse_complex_numIdEEEv20rocsparse_direction_iiPKiS5_PT2_S5_PiS5_S8_21rocsparse_index_base_,comdat
.Lfunc_end71:
	.size	_ZN9rocsparseL18bsric0_9_16_kernelILi64ELi64ELi16E21rocsparse_complex_numIdEEEv20rocsparse_direction_iiPKiS5_PT2_S5_PiS5_S8_21rocsparse_index_base_, .Lfunc_end71-_ZN9rocsparseL18bsric0_9_16_kernelILi64ELi64ELi16E21rocsparse_complex_numIdEEEv20rocsparse_direction_iiPKiS5_PT2_S5_PiS5_S8_21rocsparse_index_base_
                                        ; -- End function
	.set _ZN9rocsparseL18bsric0_9_16_kernelILi64ELi64ELi16E21rocsparse_complex_numIdEEEv20rocsparse_direction_iiPKiS5_PT2_S5_PiS5_S8_21rocsparse_index_base_.num_vgpr, 40
	.set _ZN9rocsparseL18bsric0_9_16_kernelILi64ELi64ELi16E21rocsparse_complex_numIdEEEv20rocsparse_direction_iiPKiS5_PT2_S5_PiS5_S8_21rocsparse_index_base_.num_agpr, 0
	.set _ZN9rocsparseL18bsric0_9_16_kernelILi64ELi64ELi16E21rocsparse_complex_numIdEEEv20rocsparse_direction_iiPKiS5_PT2_S5_PiS5_S8_21rocsparse_index_base_.numbered_sgpr, 54
	.set _ZN9rocsparseL18bsric0_9_16_kernelILi64ELi64ELi16E21rocsparse_complex_numIdEEEv20rocsparse_direction_iiPKiS5_PT2_S5_PiS5_S8_21rocsparse_index_base_.num_named_barrier, 0
	.set _ZN9rocsparseL18bsric0_9_16_kernelILi64ELi64ELi16E21rocsparse_complex_numIdEEEv20rocsparse_direction_iiPKiS5_PT2_S5_PiS5_S8_21rocsparse_index_base_.private_seg_size, 0
	.set _ZN9rocsparseL18bsric0_9_16_kernelILi64ELi64ELi16E21rocsparse_complex_numIdEEEv20rocsparse_direction_iiPKiS5_PT2_S5_PiS5_S8_21rocsparse_index_base_.uses_vcc, 1
	.set _ZN9rocsparseL18bsric0_9_16_kernelILi64ELi64ELi16E21rocsparse_complex_numIdEEEv20rocsparse_direction_iiPKiS5_PT2_S5_PiS5_S8_21rocsparse_index_base_.uses_flat_scratch, 0
	.set _ZN9rocsparseL18bsric0_9_16_kernelILi64ELi64ELi16E21rocsparse_complex_numIdEEEv20rocsparse_direction_iiPKiS5_PT2_S5_PiS5_S8_21rocsparse_index_base_.has_dyn_sized_stack, 0
	.set _ZN9rocsparseL18bsric0_9_16_kernelILi64ELi64ELi16E21rocsparse_complex_numIdEEEv20rocsparse_direction_iiPKiS5_PT2_S5_PiS5_S8_21rocsparse_index_base_.has_recursion, 0
	.set _ZN9rocsparseL18bsric0_9_16_kernelILi64ELi64ELi16E21rocsparse_complex_numIdEEEv20rocsparse_direction_iiPKiS5_PT2_S5_PiS5_S8_21rocsparse_index_base_.has_indirect_call, 0
	.section	.AMDGPU.csdata,"",@progbits
; Kernel info:
; codeLenInByte = 4716
; TotalNumSgprs: 58
; NumVgprs: 40
; ScratchSize: 0
; MemoryBound: 1
; FloatMode: 240
; IeeeMode: 1
; LDSByteSize: 18176 bytes/workgroup (compile time only)
; SGPRBlocks: 12
; VGPRBlocks: 32
; NumSGPRsForWavesPerEU: 102
; NumVGPRsForWavesPerEU: 129
; Occupancy: 1
; WaveLimiterHint : 1
; COMPUTE_PGM_RSRC2:SCRATCH_EN: 0
; COMPUTE_PGM_RSRC2:USER_SGPR: 6
; COMPUTE_PGM_RSRC2:TRAP_HANDLER: 0
; COMPUTE_PGM_RSRC2:TGID_X_EN: 1
; COMPUTE_PGM_RSRC2:TGID_Y_EN: 0
; COMPUTE_PGM_RSRC2:TGID_Z_EN: 0
; COMPUTE_PGM_RSRC2:TIDIG_COMP_CNT: 1
	.section	.text._ZN9rocsparseL19bsric0_17_32_kernelILi64ELi64ELi32E21rocsparse_complex_numIdEEEv20rocsparse_direction_iiPKiS5_PT2_S5_PiS5_S8_21rocsparse_index_base_,"axG",@progbits,_ZN9rocsparseL19bsric0_17_32_kernelILi64ELi64ELi32E21rocsparse_complex_numIdEEEv20rocsparse_direction_iiPKiS5_PT2_S5_PiS5_S8_21rocsparse_index_base_,comdat
	.globl	_ZN9rocsparseL19bsric0_17_32_kernelILi64ELi64ELi32E21rocsparse_complex_numIdEEEv20rocsparse_direction_iiPKiS5_PT2_S5_PiS5_S8_21rocsparse_index_base_ ; -- Begin function _ZN9rocsparseL19bsric0_17_32_kernelILi64ELi64ELi32E21rocsparse_complex_numIdEEEv20rocsparse_direction_iiPKiS5_PT2_S5_PiS5_S8_21rocsparse_index_base_
	.p2align	8
	.type	_ZN9rocsparseL19bsric0_17_32_kernelILi64ELi64ELi32E21rocsparse_complex_numIdEEEv20rocsparse_direction_iiPKiS5_PT2_S5_PiS5_S8_21rocsparse_index_base_,@function
_ZN9rocsparseL19bsric0_17_32_kernelILi64ELi64ELi32E21rocsparse_complex_numIdEEEv20rocsparse_direction_iiPKiS5_PT2_S5_PiS5_S8_21rocsparse_index_base_: ; @_ZN9rocsparseL19bsric0_17_32_kernelILi64ELi64ELi32E21rocsparse_complex_numIdEEEv20rocsparse_direction_iiPKiS5_PT2_S5_PiS5_S8_21rocsparse_index_base_
; %bb.0:
	s_load_dwordx8 s[8:15], s[4:5], 0x28
	s_mov_b32 s7, 0
	s_lshl_b64 s[0:1], s[6:7], 2
	s_waitcnt lgkmcnt(0)
	s_add_u32 s0, s12, s0
	s_addc_u32 s1, s13, s1
	s_load_dword s20, s[0:1], 0x0
	s_waitcnt lgkmcnt(0)
	s_ashr_i32 s21, s20, 31
	s_lshl_b64 s[12:13], s[20:21], 2
	s_add_u32 s0, s8, s12
	s_addc_u32 s1, s9, s13
	s_load_dword s33, s[0:1], 0x0
	s_load_dword s21, s[4:5], 0x48
	s_waitcnt lgkmcnt(0)
	s_cmp_lg_u32 s33, -1
	s_cbranch_scc0 .LBB72_124
; %bb.1:
	s_load_dwordx4 s[16:19], s[4:5], 0x10
	s_load_dwordx2 s[22:23], s[4:5], 0x20
	v_lshlrev_b32_e32 v2, 1, v1
	s_waitcnt lgkmcnt(0)
	s_add_u32 s0, s16, s12
	s_addc_u32 s1, s17, s13
	s_load_dword s0, s[0:1], 0x0
	s_waitcnt lgkmcnt(0)
	s_sub_i32 s48, s0, s21
	v_add3_u32 v2, v2, v0, s48
	v_cmp_ge_i32_e32 vcc, s33, v2
	s_and_saveexec_b64 s[0:1], vcc
	s_cbranch_execz .LBB72_4
; %bb.2:
	v_lshlrev_b32_e32 v3, 2, v0
	v_lshl_add_u32 v3, v1, 3, v3
	v_or_b32_e32 v4, 0xc800, v3
	s_mov_b64 s[2:3], 0
	v_mov_b32_e32 v5, s19
.LBB72_3:                               ; =>This Inner Loop Header: Depth=1
	v_ashrrev_i32_e32 v3, 31, v2
	v_lshlrev_b64 v[6:7], 2, v[2:3]
	v_add_u32_e32 v2, 64, v2
	v_add_co_u32_e32 v6, vcc, s18, v6
	v_addc_co_u32_e32 v7, vcc, v5, v7, vcc
	global_load_dword v3, v[6:7], off
	v_cmp_lt_i32_e32 vcc, s33, v2
	s_or_b64 s[2:3], vcc, s[2:3]
	s_waitcnt vmcnt(0)
	v_subrev_u32_e32 v3, s21, v3
	ds_write_b32 v4, v3
	v_add_u32_e32 v4, 0x100, v4
	s_andn2_b64 exec, exec, s[2:3]
	s_cbranch_execnz .LBB72_3
.LBB72_4:
	s_or_b64 exec, exec, s[0:1]
	v_cmp_gt_u32_e32 vcc, 32, v0
	v_lshlrev_b32_e32 v19, 4, v0
	s_and_saveexec_b64 s[0:1], vcc
	s_cbranch_execz .LBB72_7
; %bb.5:
	v_mul_u32_u24_e32 v2, 0x210, v1
	s_mov_b32 s2, 0x8400
	v_add3_u32 v7, v2, v19, s2
	v_mov_b32_e32 v2, 0
	v_add_u32_e32 v6, -2, v0
	s_mov_b64 s[2:3], 0
	v_mov_b32_e32 v3, v2
	v_mov_b32_e32 v4, v2
	v_mov_b32_e32 v5, v2
.LBB72_6:                               ; =>This Inner Loop Header: Depth=1
	v_add_u32_e32 v6, 2, v6
	v_cmp_lt_u32_e32 vcc, 29, v6
	ds_write_b128 v7, v[2:5]
	s_or_b64 s[2:3], vcc, s[2:3]
	v_add_u32_e32 v7, 32, v7
	s_andn2_b64 exec, exec, s[2:3]
	s_cbranch_execnz .LBB72_6
.LBB72_7:
	s_or_b64 exec, exec, s[0:1]
	s_load_dword s46, s[4:5], 0x8
	s_load_dword s47, s[4:5], 0x0
	s_cmp_ge_i32 s48, s33
	s_waitcnt lgkmcnt(0)
	v_cmp_gt_i32_e64 s[0:1], s46, v0
	s_cbranch_scc1 .LBB72_79
; %bb.8:
	v_or_b32_e32 v3, v0, v1
	s_mul_i32 s7, s46, s48
	v_cmp_ne_u32_e64 s[4:5], 0, v3
	v_add_u32_e32 v3, s7, v1
	s_cmp_eq_u32 s47, 0
	v_mul_lo_u32 v22, s46, v1
	v_mul_lo_u32 v25, s46, v3
	;; [unrolled: 1-line block ×3, first 2 shown]
	s_cselect_b64 s[24:25], -1, 0
	s_cmp_lg_u32 s47, 0
	s_movk_i32 s6, 0x210
	s_cselect_b64 s[26:27], -1, 0
	v_mov_b32_e32 v2, 0x4200
	s_cmp_gt_i32 s46, 0
	v_mad_u32_u24 v23, v1, s6, v19
	s_mul_i32 s49, s46, s46
	v_cmp_gt_i32_e64 s[2:3], s46, v1
	v_mul_u32_u24_e32 v20, 0x210, v1
	v_mad_u32_u24 v21, v1, s6, v2
	s_cselect_b64 s[28:29], -1, 0
	s_lshl_b32 s50, s46, 1
	v_add_u32_e32 v26, 0x8400, v23
	v_mad_u32_u24 v27, v0, s6, v2
	v_add_u32_e32 v28, 0x4200, v23
	v_mov_b32_e32 v2, 0
	v_mov_b32_e32 v29, 0x3ff00000
	s_mov_b32 s30, s48
	s_branch .LBB72_10
.LBB72_9:                               ;   in Loop: Header=BB72_10 Depth=1
	s_or_b64 exec, exec, s[6:7]
	s_add_i32 s30, s30, 1
	s_cmp_ge_i32 s30, s33
	s_waitcnt vmcnt(0)
	buffer_wbinvl1_vol
	v_add_u32_e32 v25, s49, v25
	s_cselect_b64 s[6:7], -1, 0
	s_and_b64 vcc, exec, s[6:7]
	s_cbranch_vccnz .LBB72_79
.LBB72_10:                              ; =>This Loop Header: Depth=1
                                        ;     Child Loop BB72_14 Depth 2
                                        ;     Child Loop BB72_26 Depth 2
	;; [unrolled: 1-line block ×4, first 2 shown]
                                        ;       Child Loop BB72_43 Depth 3
                                        ;         Child Loop BB72_48 Depth 4
                                        ;     Child Loop BB72_57 Depth 2
                                        ;       Child Loop BB72_64 Depth 3
                                        ;       Child Loop BB72_68 Depth 3
                                        ;     Child Loop BB72_73 Depth 2
	s_ashr_i32 s31, s30, 31
	s_lshl_b64 s[6:7], s[30:31], 2
	s_add_u32 s6, s18, s6
	s_addc_u32 s7, s19, s7
	s_load_dword s51, s[6:7], 0x0
	s_waitcnt lgkmcnt(0)
	s_sub_i32 s34, s51, s21
	s_ashr_i32 s35, s34, 31
	s_lshl_b64 s[6:7], s[34:35], 2
	s_add_u32 s36, s8, s6
	s_addc_u32 s37, s9, s7
	s_load_dword s52, s[36:37], 0x0
	s_waitcnt lgkmcnt(0)
	s_cmp_eq_u32 s52, -1
	s_cbranch_scc1 .LBB72_78
; %bb.11:                               ;   in Loop: Header=BB72_10 Depth=1
	s_add_u32 s36, s16, s6
	s_addc_u32 s37, s17, s7
	s_load_dword s35, s[36:37], 0x0
	s_mul_i32 s31, s30, s46
	s_and_saveexec_b64 s[36:37], s[0:1]
	s_cbranch_execz .LBB72_24
; %bb.12:                               ;   in Loop: Header=BB72_10 Depth=1
	s_mov_b64 s[38:39], 0
	v_mov_b32_e32 v9, v23
	v_mov_b32_e32 v10, v0
	s_branch .LBB72_14
.LBB72_13:                              ;   in Loop: Header=BB72_14 Depth=2
	s_or_b64 exec, exec, s[42:43]
	v_add_u32_e32 v10, 2, v10
	s_waitcnt vmcnt(0)
	ds_write_b128 v9, v[3:6] offset:16896
	v_mov_b32_e32 v3, v2
	v_mov_b32_e32 v4, v2
	;; [unrolled: 1-line block ×3, first 2 shown]
	v_cmp_le_i32_e32 vcc, s46, v10
	ds_write_b128 v9, v[2:5]
	s_or_b64 s[38:39], vcc, s[38:39]
	v_add_u32_e32 v9, 32, v9
	s_andn2_b64 exec, exec, s[38:39]
	s_cbranch_execz .LBB72_24
.LBB72_14:                              ;   Parent Loop BB72_10 Depth=1
                                        ; =>  This Inner Loop Header: Depth=2
	s_mov_b64 s[42:43], -1
	s_and_b64 vcc, exec, s[26:27]
	s_mov_b64 s[40:41], 0
                                        ; implicit-def: $vgpr7
	s_cbranch_vccz .LBB72_18
; %bb.15:                               ;   in Loop: Header=BB72_14 Depth=2
	s_mov_b64 s[42:43], 0
                                        ; implicit-def: $vgpr7
	s_and_saveexec_b64 s[44:45], s[2:3]
	s_xor_b64 s[44:45], exec, s[44:45]
; %bb.16:                               ;   in Loop: Header=BB72_14 Depth=2
	v_add_u32_e32 v3, s31, v10
	v_mad_u64_u32 v[7:8], s[54:55], v3, s46, v[1:2]
	s_mov_b64 s[40:41], exec
; %bb.17:                               ;   in Loop: Header=BB72_14 Depth=2
	s_or_b64 exec, exec, s[44:45]
.LBB72_18:                              ;   in Loop: Header=BB72_14 Depth=2
	s_and_b64 vcc, exec, s[42:43]
	s_cbranch_vccz .LBB72_22
; %bb.19:                               ;   in Loop: Header=BB72_14 Depth=2
                                        ; implicit-def: $vgpr7
	s_and_saveexec_b64 s[42:43], s[2:3]
; %bb.20:                               ;   in Loop: Header=BB72_14 Depth=2
	v_add_u32_e32 v7, v25, v10
	s_or_b64 s[40:41], s[40:41], exec
; %bb.21:                               ;   in Loop: Header=BB72_14 Depth=2
	s_or_b64 exec, exec, s[42:43]
.LBB72_22:                              ;   in Loop: Header=BB72_14 Depth=2
	v_mov_b32_e32 v3, 0
	v_mov_b32_e32 v5, 0
	;; [unrolled: 1-line block ×4, first 2 shown]
	s_and_saveexec_b64 s[42:43], s[40:41]
	s_cbranch_execz .LBB72_13
; %bb.23:                               ;   in Loop: Header=BB72_14 Depth=2
	v_ashrrev_i32_e32 v8, 31, v7
	v_lshlrev_b64 v[3:4], 4, v[7:8]
	v_mov_b32_e32 v5, s23
	v_add_co_u32_e32 v3, vcc, s22, v3
	v_addc_co_u32_e32 v4, vcc, v5, v4, vcc
	global_load_dwordx4 v[3:6], v[3:4], off
	s_branch .LBB72_13
.LBB72_24:                              ;   in Loop: Header=BB72_10 Depth=1
	s_or_b64 exec, exec, s[36:37]
	ds_read_b32 v3, v2 offset:51200
	s_waitcnt lgkmcnt(0)
	s_sub_i32 s36, s35, s21
	s_cmp_le_i32 s36, s52
	s_cselect_b64 s[38:39], -1, 0
	s_mov_b32 s37, 0
	v_cmp_ge_i32_e32 vcc, s34, v3
	s_and_b64 s[38:39], s[38:39], vcc
	s_andn2_b64 vcc, exec, s[38:39]
	s_cbranch_vccnz .LBB72_36
; %bb.25:                               ;   in Loop: Header=BB72_10 Depth=1
	s_mov_b32 s35, 0
	s_mov_b32 s40, 0
.LBB72_26:                              ;   Parent Loop BB72_10 Depth=1
                                        ; =>  This Inner Loop Header: Depth=2
	s_ashr_i32 s37, s36, 31
	s_lshl_b64 s[38:39], s[36:37], 2
	s_add_u32 s38, s18, s38
	s_addc_u32 s39, s19, s39
	s_load_dword s37, s[38:39], 0x0
	s_lshl_b32 s38, s40, 2
	v_mov_b32_e32 v3, s38
	ds_read_b32 v3, v3 offset:51200
	s_mov_b64 s[38:39], -1
	s_waitcnt lgkmcnt(0)
	s_sub_i32 s44, s37, s21
                                        ; implicit-def: $sgpr37
                                        ; implicit-def: $sgpr43
                                        ; implicit-def: $sgpr42
	v_cmp_ge_i32_e32 vcc, s44, v3
	v_readfirstlane_b32 s41, v3
	s_cbranch_vccz .LBB72_32
; %bb.27:                               ;   in Loop: Header=BB72_26 Depth=2
	s_cmp_le_i32 s44, s41
                                        ; implicit-def: $sgpr37
                                        ; implicit-def: $sgpr43
                                        ; implicit-def: $sgpr42
	s_cbranch_scc0 .LBB72_29
; %bb.28:                               ;   in Loop: Header=BB72_26 Depth=2
	s_add_i32 s37, s40, s48
	s_mul_i32 s37, s37, s49
	s_lshl_b32 s38, s35, 2
	v_mov_b32_e32 v4, s37
	s_mul_i32 s37, s36, s49
	v_mov_b32_e32 v3, s38
	v_mov_b32_e32 v5, s37
	ds_write2st64_b32 v3, v5, v4 offset0:198 offset1:199
	s_add_i32 s42, s40, 1
	s_add_i32 s43, s36, 1
	;; [unrolled: 1-line block ×3, first 2 shown]
	s_mov_b64 s[38:39], 0
.LBB72_29:                              ;   in Loop: Header=BB72_26 Depth=2
	s_andn2_b64 vcc, exec, s[38:39]
	s_cbranch_vccnz .LBB72_31
; %bb.30:                               ;   in Loop: Header=BB72_26 Depth=2
	s_add_i32 s42, s40, 1
	s_mov_b32 s37, s35
	s_mov_b32 s43, s36
.LBB72_31:                              ;   in Loop: Header=BB72_26 Depth=2
	s_mov_b64 s[38:39], 0
.LBB72_32:                              ;   in Loop: Header=BB72_26 Depth=2
	s_andn2_b64 vcc, exec, s[38:39]
	s_cbranch_vccnz .LBB72_34
; %bb.33:                               ;   in Loop: Header=BB72_26 Depth=2
	s_add_i32 s43, s36, 1
	s_mov_b32 s42, s40
	s_mov_b32 s37, s35
.LBB72_34:                              ;   in Loop: Header=BB72_26 Depth=2
	s_cmp_le_i32 s43, s52
	s_cselect_b64 s[38:39], -1, 0
	s_cmp_le_i32 s41, s34
	s_cselect_b64 s[40:41], -1, 0
	s_and_b64 s[38:39], s[38:39], s[40:41]
	s_and_b64 vcc, exec, s[38:39]
	s_cbranch_vccz .LBB72_36
; %bb.35:                               ;   in Loop: Header=BB72_26 Depth=2
	s_mov_b32 s35, s37
	s_mov_b32 s36, s43
	;; [unrolled: 1-line block ×3, first 2 shown]
	s_branch .LBB72_26
.LBB72_36:                              ;   in Loop: Header=BB72_10 Depth=1
	s_add_u32 s6, s10, s6
	s_addc_u32 s7, s11, s7
	s_waitcnt lgkmcnt(0)
.LBB72_37:                              ;   Parent Loop BB72_10 Depth=1
                                        ; =>  This Inner Loop Header: Depth=2
	global_load_dword v3, v2, s[6:7] glc
	s_waitcnt vmcnt(0)
	v_cmp_eq_u32_e32 vcc, 0, v3
	s_cbranch_vccnz .LBB72_37
; %bb.38:                               ;   in Loop: Header=BB72_10 Depth=1
	s_cmp_lt_i32 s37, 2
	buffer_wbinvl1_vol
	s_cbranch_scc1 .LBB72_54
; %bb.39:                               ;   in Loop: Header=BB72_10 Depth=1
	s_add_i32 s38, s37, -2
	s_mov_b32 s39, 0
	s_branch .LBB72_41
.LBB72_40:                              ;   in Loop: Header=BB72_41 Depth=2
	s_or_b64 exec, exec, s[6:7]
	s_add_i32 s6, s39, 1
	s_cmp_eq_u32 s39, s38
	s_mov_b32 s39, s6
	s_cbranch_scc1 .LBB72_54
.LBB72_41:                              ;   Parent Loop BB72_10 Depth=1
                                        ; =>  This Loop Header: Depth=2
                                        ;       Child Loop BB72_43 Depth 3
                                        ;         Child Loop BB72_48 Depth 4
	s_and_saveexec_b64 s[6:7], s[0:1]
	s_cbranch_execz .LBB72_40
; %bb.42:                               ;   in Loop: Header=BB72_41 Depth=2
	s_lshl_b32 s34, s39, 2
	v_mov_b32_e32 v3, s34
	ds_read2st64_b32 v[3:4], v3 offset0:198 offset1:199
	s_mov_b64 s[34:35], 0
	v_mov_b32_e32 v34, v0
	s_waitcnt lgkmcnt(0)
	v_add_u32_e32 v30, v4, v22
	v_add_u32_e32 v31, v1, v4
	;; [unrolled: 1-line block ×4, first 2 shown]
.LBB72_43:                              ;   Parent Loop BB72_10 Depth=1
                                        ;     Parent Loop BB72_41 Depth=2
                                        ; =>    This Loop Header: Depth=3
                                        ;         Child Loop BB72_48 Depth 4
	v_mov_b32_e32 v15, 0
	v_mov_b32_e32 v17, 0
	;; [unrolled: 1-line block ×3, first 2 shown]
	s_mov_b32 s40, 0
	v_mov_b32_e32 v11, v32
	v_mov_b32_e32 v18, 0
	;; [unrolled: 1-line block ×3, first 2 shown]
	s_mov_b64 s[36:37], -1
	s_and_b64 vcc, exec, s[26:27]
                                        ; implicit-def: $vgpr3_vgpr4
                                        ; implicit-def: $vgpr5_vgpr6
	s_cbranch_vccz .LBB72_48
	s_branch .LBB72_45
.LBB72_44:                              ;   in Loop: Header=BB72_48 Depth=4
	v_mov_b32_e32 v16, v4
	v_mov_b32_e32 v18, v6
	;; [unrolled: 1-line block ×4, first 2 shown]
	s_mov_b64 s[36:37], -1
	s_and_b64 vcc, exec, s[26:27]
                                        ; implicit-def: $vgpr3_vgpr4
                                        ; implicit-def: $vgpr5_vgpr6
	s_cbranch_vccz .LBB72_48
.LBB72_45:                              ;   in Loop: Header=BB72_43 Depth=3
	v_ashrrev_i32_e32 v12, 31, v11
	v_lshlrev_b64 v[3:4], 4, v[11:12]
	v_mov_b32_e32 v5, s23
	v_add_co_u32_e32 v3, vcc, s22, v3
	v_addc_co_u32_e32 v4, vcc, v5, v4, vcc
	global_load_dwordx4 v[3:6], v[3:4], off
	v_mov_b32_e32 v7, 0
	v_mov_b32_e32 v9, 0
	v_mov_b32_e32 v8, 0
	v_mov_b32_e32 v10, 0
	s_and_saveexec_b64 s[36:37], s[2:3]
	s_cbranch_execz .LBB72_47
; %bb.46:                               ;   in Loop: Header=BB72_43 Depth=3
	v_ashrrev_i32_e32 v14, 31, v13
	v_lshlrev_b64 v[7:8], 4, v[13:14]
	v_mov_b32_e32 v9, s23
	v_add_co_u32_e32 v7, vcc, s22, v7
	v_addc_co_u32_e32 v8, vcc, v9, v8, vcc
	global_load_dwordx4 v[7:10], v[7:8], off
.LBB72_47:                              ;   in Loop: Header=BB72_43 Depth=3
	s_or_b64 exec, exec, s[36:37]
	s_waitcnt vmcnt(0)
	v_fma_f64 v[35:36], v[3:4], v[7:8], v[17:18]
	v_fma_f64 v[7:8], v[5:6], v[7:8], v[15:16]
	s_mov_b64 s[36:37], 0
	v_fma_f64 v[5:6], v[5:6], v[9:10], v[35:36]
	v_fma_f64 v[3:4], v[3:4], -v[9:10], v[7:8]
.LBB72_48:                              ;   Parent Loop BB72_10 Depth=1
                                        ;     Parent Loop BB72_41 Depth=2
                                        ;       Parent Loop BB72_43 Depth=3
                                        ; =>      This Inner Loop Header: Depth=4
	s_and_b64 vcc, exec, s[36:37]
	s_cbranch_vccz .LBB72_52
; %bb.49:                               ;   in Loop: Header=BB72_48 Depth=4
	v_add_u32_e32 v3, s40, v33
	v_ashrrev_i32_e32 v4, 31, v3
	v_lshlrev_b64 v[3:4], 4, v[3:4]
	v_mov_b32_e32 v5, s23
	v_add_co_u32_e32 v3, vcc, s22, v3
	v_addc_co_u32_e32 v4, vcc, v5, v4, vcc
	global_load_dwordx4 v[3:6], v[3:4], off
	v_mov_b32_e32 v7, 0
	v_mov_b32_e32 v9, 0
	;; [unrolled: 1-line block ×4, first 2 shown]
	s_and_saveexec_b64 s[36:37], s[2:3]
	s_cbranch_execz .LBB72_51
; %bb.50:                               ;   in Loop: Header=BB72_48 Depth=4
	v_add_u32_e32 v7, s40, v30
	v_ashrrev_i32_e32 v8, 31, v7
	v_lshlrev_b64 v[7:8], 4, v[7:8]
	v_mov_b32_e32 v9, s23
	v_add_co_u32_e32 v7, vcc, s22, v7
	v_addc_co_u32_e32 v8, vcc, v9, v8, vcc
	global_load_dwordx4 v[7:10], v[7:8], off
.LBB72_51:                              ;   in Loop: Header=BB72_48 Depth=4
	s_or_b64 exec, exec, s[36:37]
	s_waitcnt vmcnt(0)
	v_fma_f64 v[17:18], v[3:4], v[7:8], v[17:18]
	v_fma_f64 v[7:8], v[5:6], v[7:8], v[15:16]
	;; [unrolled: 1-line block ×3, first 2 shown]
	v_fma_f64 v[3:4], v[3:4], -v[9:10], v[7:8]
.LBB72_52:                              ;   in Loop: Header=BB72_48 Depth=4
	s_add_i32 s40, s40, 1
	v_add_u32_e32 v13, s46, v13
	s_cmp_eq_u32 s46, s40
	v_add_u32_e32 v11, s46, v11
	s_cbranch_scc0 .LBB72_44
; %bb.53:                               ;   in Loop: Header=BB72_43 Depth=3
	v_lshl_add_u32 v11, v34, 4, v20
	ds_read_b128 v[7:10], v11
	v_add_u32_e32 v34, 2, v34
	v_cmp_le_i32_e32 vcc, s46, v34
	v_add_u32_e32 v32, 2, v32
	s_or_b64 s[34:35], vcc, s[34:35]
	s_waitcnt lgkmcnt(0)
	v_add_f64 v[5:6], v[5:6], v[7:8]
	v_add_f64 v[7:8], v[3:4], v[9:10]
	v_add_u32_e32 v33, s50, v33
	ds_write_b128 v11, v[5:8]
	s_andn2_b64 exec, exec, s[34:35]
	s_cbranch_execnz .LBB72_43
	s_branch .LBB72_40
.LBB72_54:                              ;   in Loop: Header=BB72_10 Depth=1
	s_andn2_b64 vcc, exec, s[28:29]
	s_waitcnt lgkmcnt(0)
	s_cbranch_vccnz .LBB72_69
; %bb.55:                               ;   in Loop: Header=BB72_10 Depth=1
	s_mul_i32 s36, s49, s52
	s_mov_b32 s37, 0
	v_mov_b32_e32 v15, v27
	s_mov_b32 s38, s36
	s_branch .LBB72_57
.LBB72_56:                              ;   in Loop: Header=BB72_57 Depth=2
	s_or_b64 exec, exec, s[6:7]
	s_add_i32 s37, s37, 1
	s_add_i32 s38, s38, 1
	s_cmp_eq_u32 s37, s46
	v_add_u32_e32 v15, 16, v15
	s_waitcnt lgkmcnt(0)
	s_cbranch_scc1 .LBB72_69
.LBB72_57:                              ;   Parent Loop BB72_10 Depth=1
                                        ; =>  This Loop Header: Depth=2
                                        ;       Child Loop BB72_64 Depth 3
                                        ;       Child Loop BB72_68 Depth 3
	s_mul_i32 s39, s37, s46
	s_add_i32 s39, s39, s36
	s_add_i32 s6, s39, s37
	s_ashr_i32 s7, s6, 31
	s_lshl_b64 s[6:7], s[6:7], 4
	s_add_u32 s6, s22, s6
	s_addc_u32 s7, s23, s7
	global_load_dwordx4 v[7:10], v2, s[6:7]
	v_lshl_add_u32 v16, s37, 4, v21
	ds_read_b128 v[3:6], v16
	s_waitcnt vmcnt(0)
	v_cmp_neq_f64_e32 vcc, 0, v[7:8]
	v_cmp_neq_f64_e64 s[6:7], 0, v[9:10]
	s_or_b64 vcc, vcc, s[6:7]
	v_cndmask_b32_e32 v12, v29, v8, vcc
	s_nor_b64 s[34:35], vcc, s[4:5]
	v_cndmask_b32_e32 v11, 0, v7, vcc
	v_cndmask_b32_e32 v14, 0, v10, vcc
	;; [unrolled: 1-line block ×3, first 2 shown]
	s_and_saveexec_b64 s[6:7], s[34:35]
	s_cbranch_execz .LBB72_61
; %bb.58:                               ;   in Loop: Header=BB72_57 Depth=2
	v_mbcnt_lo_u32_b32 v7, exec_lo, 0
	v_mbcnt_hi_u32_b32 v7, exec_hi, v7
	v_cmp_eq_u32_e32 vcc, 0, v7
	s_and_saveexec_b64 s[34:35], vcc
	s_cbranch_execz .LBB72_60
; %bb.59:                               ;   in Loop: Header=BB72_57 Depth=2
	v_mov_b32_e32 v7, s51
	global_atomic_smin v2, v7, s[14:15]
.LBB72_60:                              ;   in Loop: Header=BB72_57 Depth=2
	s_or_b64 exec, exec, s[34:35]
	v_mov_b32_e32 v13, 0
	v_mov_b32_e32 v11, 0
	v_mov_b32_e32 v14, 0
	v_mov_b32_e32 v12, 0x3ff00000
.LBB72_61:                              ;   in Loop: Header=BB72_57 Depth=2
	s_or_b64 exec, exec, s[6:7]
	v_lshl_add_u32 v7, s37, 4, v20
	ds_read_b128 v[7:10], v7
	s_cmp_eq_u32 s37, 0
	s_cbranch_scc1 .LBB72_66
; %bb.62:                               ;   in Loop: Header=BB72_57 Depth=2
	s_mov_b32 s34, 0
	s_mov_b32 s35, s37
	;; [unrolled: 1-line block ×3, first 2 shown]
	v_mov_b32_e32 v17, v21
	s_branch .LBB72_64
.LBB72_63:                              ;   in Loop: Header=BB72_64 Depth=3
	s_ashr_i32 s7, s6, 31
	s_lshl_b64 s[6:7], s[6:7], 4
	s_add_u32 s6, s22, s6
	s_addc_u32 s7, s23, s7
	global_load_dwordx4 v[30:33], v2, s[6:7]
	ds_read_b128 v[34:37], v17
	s_add_i32 s34, s34, 1
	s_add_i32 s40, s40, s46
	s_add_i32 s35, s35, -1
	s_cmp_eq_u32 s35, 0
	v_add_u32_e32 v17, 16, v17
	s_waitcnt vmcnt(0) lgkmcnt(0)
	v_fma_f64 v[7:8], v[30:31], v[34:35], v[7:8]
	v_fma_f64 v[9:10], v[32:33], v[34:35], v[9:10]
	;; [unrolled: 1-line block ×3, first 2 shown]
	v_fma_f64 v[9:10], v[30:31], -v[36:37], v[9:10]
	s_cbranch_scc1 .LBB72_66
.LBB72_64:                              ;   Parent Loop BB72_10 Depth=1
                                        ;     Parent Loop BB72_57 Depth=2
                                        ; =>    This Inner Loop Header: Depth=3
	s_andn2_b64 vcc, exec, s[24:25]
	s_mov_b32 s6, s40
	s_cbranch_vccnz .LBB72_63
; %bb.65:                               ;   in Loop: Header=BB72_64 Depth=3
	s_add_i32 s6, s34, s39
	s_branch .LBB72_63
.LBB72_66:                              ;   in Loop: Header=BB72_57 Depth=2
	v_mul_f64 v[17:18], v[13:14], v[13:14]
	s_waitcnt lgkmcnt(0)
	v_add_f64 v[5:6], v[5:6], -v[9:10]
	v_add_f64 v[3:4], v[3:4], -v[7:8]
	v_fma_f64 v[17:18], v[11:12], v[11:12], v[17:18]
	v_mul_f64 v[7:8], v[13:14], v[5:6]
	v_mul_f64 v[13:14], v[13:14], -v[3:4]
	v_div_scale_f64 v[30:31], s[6:7], v[17:18], v[17:18], 1.0
	v_fma_f64 v[3:4], v[3:4], v[11:12], v[7:8]
	v_fma_f64 v[5:6], v[5:6], v[11:12], v[13:14]
	v_rcp_f64_e32 v[32:33], v[30:31]
	v_fma_f64 v[34:35], -v[30:31], v[32:33], 1.0
	v_fma_f64 v[32:33], v[32:33], v[34:35], v[32:33]
	v_div_scale_f64 v[34:35], vcc, 1.0, v[17:18], 1.0
	v_fma_f64 v[36:37], -v[30:31], v[32:33], 1.0
	v_fma_f64 v[32:33], v[32:33], v[36:37], v[32:33]
	v_mul_f64 v[36:37], v[34:35], v[32:33]
	v_fma_f64 v[30:31], -v[30:31], v[36:37], v[34:35]
	v_div_fmas_f64 v[9:10], v[30:31], v[32:33], v[36:37]
	v_div_fixup_f64 v[7:8], v[9:10], v[17:18], 1.0
	v_mul_f64 v[3:4], v[7:8], v[3:4]
	v_mul_f64 v[5:6], v[7:8], v[5:6]
	ds_write_b128 v16, v[3:6]
	s_waitcnt lgkmcnt(0)
	s_and_saveexec_b64 s[6:7], s[0:1]
	s_cbranch_execz .LBB72_56
; %bb.67:                               ;   in Loop: Header=BB72_57 Depth=2
	s_mov_b64 s[34:35], 0
	v_mov_b32_e32 v7, v15
	v_mov_b32_e32 v8, v26
	;; [unrolled: 1-line block ×3, first 2 shown]
.LBB72_68:                              ;   Parent Loop BB72_10 Depth=1
                                        ;     Parent Loop BB72_57 Depth=2
                                        ; =>    This Inner Loop Header: Depth=3
	ds_read_b128 v[10:13], v7
	ds_read_b128 v[30:33], v8
	v_add_u32_e32 v9, 2, v9
	v_cmp_le_i32_e32 vcc, s46, v9
	s_or_b64 s[34:35], vcc, s[34:35]
	v_add_u32_e32 v7, 0x420, v7
	s_waitcnt lgkmcnt(0)
	v_fma_f64 v[16:17], v[3:4], v[10:11], v[30:31]
	v_fma_f64 v[30:31], v[5:6], v[10:11], v[32:33]
	;; [unrolled: 1-line block ×3, first 2 shown]
	v_fma_f64 v[12:13], v[3:4], -v[12:13], v[30:31]
	ds_write_b128 v8, v[10:13]
	v_add_u32_e32 v8, 32, v8
	s_andn2_b64 exec, exec, s[34:35]
	s_cbranch_execnz .LBB72_68
	s_branch .LBB72_56
.LBB72_69:                              ;   in Loop: Header=BB72_10 Depth=1
	s_and_saveexec_b64 s[6:7], s[0:1]
	s_cbranch_execz .LBB72_9
; %bb.70:                               ;   in Loop: Header=BB72_10 Depth=1
	s_mov_b64 s[34:35], 0
	v_mov_b32_e32 v5, v28
	v_mov_b32_e32 v6, v0
	s_branch .LBB72_73
.LBB72_71:                              ;   in Loop: Header=BB72_73 Depth=2
	v_ashrrev_i32_e32 v4, 31, v3
	ds_read2_b64 v[7:10], v5 offset1:1
	v_lshlrev_b64 v[3:4], 4, v[3:4]
	v_mov_b32_e32 v11, s23
	v_add_co_u32_e32 v3, vcc, s22, v3
	v_addc_co_u32_e32 v4, vcc, v11, v4, vcc
	s_waitcnt lgkmcnt(0)
	global_store_dwordx4 v[3:4], v[7:10], off
.LBB72_72:                              ;   in Loop: Header=BB72_73 Depth=2
	s_or_b64 exec, exec, s[36:37]
	v_add_u32_e32 v6, 2, v6
	v_cmp_le_i32_e32 vcc, s46, v6
	s_or_b64 s[34:35], vcc, s[34:35]
	v_add_u32_e32 v5, 32, v5
	s_andn2_b64 exec, exec, s[34:35]
	s_cbranch_execz .LBB72_9
.LBB72_73:                              ;   Parent Loop BB72_10 Depth=1
                                        ; =>  This Inner Loop Header: Depth=2
	s_and_saveexec_b64 s[36:37], s[2:3]
	s_cbranch_execz .LBB72_72
; %bb.74:                               ;   in Loop: Header=BB72_73 Depth=2
	s_mov_b64 s[38:39], -1
	s_and_b64 vcc, exec, s[26:27]
                                        ; implicit-def: $vgpr3
	s_cbranch_vccz .LBB72_76
; %bb.75:                               ;   in Loop: Header=BB72_73 Depth=2
	v_add_u32_e32 v3, s31, v6
	v_mad_u64_u32 v[3:4], s[38:39], v3, s46, v[1:2]
	s_mov_b64 s[38:39], 0
.LBB72_76:                              ;   in Loop: Header=BB72_73 Depth=2
	s_andn2_b64 vcc, exec, s[38:39]
	s_cbranch_vccnz .LBB72_71
; %bb.77:                               ;   in Loop: Header=BB72_73 Depth=2
	v_add_u32_e32 v3, v25, v6
	s_branch .LBB72_71
.LBB72_78:                              ;   in Loop: Header=BB72_10 Depth=1
                                        ; implicit-def: $sgpr30
                                        ; implicit-def: $vgpr25
	s_cbranch_execz .LBB72_10
.LBB72_79:
	v_cmp_gt_i32_e64 s[0:1], s46, v0
	s_and_saveexec_b64 s[4:5], s[0:1]
	s_cbranch_execz .LBB72_92
; %bb.80:
	s_mul_i32 s26, s33, s46
	v_add_u32_e32 v2, s26, v1
	v_mul_lo_u32 v8, v2, s46
	s_cmp_lg_u32 s47, 0
	v_mul_u32_u24_e32 v2, 0x210, v1
	s_movk_i32 s8, 0x4200
	s_cselect_b64 s[6:7], -1, 0
	v_cmp_gt_i32_e64 s[2:3], s46, v1
	v_add3_u32 v9, v2, v19, s8
	s_mov_b64 s[8:9], 0
	v_mov_b32_e32 v10, v0
	s_branch .LBB72_82
.LBB72_81:                              ;   in Loop: Header=BB72_82 Depth=1
	s_or_b64 exec, exec, s[18:19]
	v_add_u32_e32 v10, 2, v10
	v_cmp_le_i32_e32 vcc, s46, v10
	s_waitcnt vmcnt(0)
	ds_write_b128 v9, v[2:5]
	s_or_b64 s[8:9], vcc, s[8:9]
	v_add_u32_e32 v9, 32, v9
	s_andn2_b64 exec, exec, s[8:9]
	s_cbranch_execz .LBB72_92
.LBB72_82:                              ; =>This Inner Loop Header: Depth=1
	s_and_b64 vcc, exec, s[6:7]
	s_cbranch_vccz .LBB72_86
; %bb.83:                               ;   in Loop: Header=BB72_82 Depth=1
	s_mov_b64 s[18:19], 0
	s_mov_b64 s[16:17], 0
                                        ; implicit-def: $vgpr6
	s_and_saveexec_b64 s[24:25], s[2:3]
	s_xor_b64 s[24:25], exec, s[24:25]
; %bb.84:                               ;   in Loop: Header=BB72_82 Depth=1
	v_add_u32_e32 v2, s26, v10
	s_mov_b64 s[16:17], exec
	v_mad_u64_u32 v[6:7], s[28:29], v2, s46, v[1:2]
; %bb.85:                               ;   in Loop: Header=BB72_82 Depth=1
	s_or_b64 exec, exec, s[24:25]
	s_and_b64 vcc, exec, s[18:19]
	s_cbranch_vccnz .LBB72_87
	s_branch .LBB72_90
.LBB72_86:                              ;   in Loop: Header=BB72_82 Depth=1
	s_mov_b64 s[16:17], 0
                                        ; implicit-def: $vgpr6
	s_cbranch_execz .LBB72_90
.LBB72_87:                              ;   in Loop: Header=BB72_82 Depth=1
                                        ; implicit-def: $vgpr6
	s_and_saveexec_b64 s[18:19], s[2:3]
; %bb.88:                               ;   in Loop: Header=BB72_82 Depth=1
	v_add_u32_e32 v6, v8, v10
	s_or_b64 s[16:17], s[16:17], exec
; %bb.89:                               ;   in Loop: Header=BB72_82 Depth=1
	s_or_b64 exec, exec, s[18:19]
.LBB72_90:                              ;   in Loop: Header=BB72_82 Depth=1
	v_mov_b32_e32 v2, 0
	v_mov_b32_e32 v4, 0
	;; [unrolled: 1-line block ×4, first 2 shown]
	s_and_saveexec_b64 s[18:19], s[16:17]
	s_cbranch_execz .LBB72_81
; %bb.91:                               ;   in Loop: Header=BB72_82 Depth=1
	v_ashrrev_i32_e32 v7, 31, v6
	v_lshlrev_b64 v[2:3], 4, v[6:7]
	v_mov_b32_e32 v4, s23
	v_add_co_u32_e32 v2, vcc, s22, v2
	v_addc_co_u32_e32 v3, vcc, v4, v3, vcc
	global_load_dwordx4 v[2:5], v[2:3], off
	s_branch .LBB72_81
.LBB72_92:
	s_or_b64 exec, exec, s[4:5]
	s_cmp_lt_i32 s46, 1
	s_waitcnt lgkmcnt(0)
	s_cbranch_scc1 .LBB72_111
; %bb.93:
	v_or_b32_e32 v4, v0, v1
	s_movk_i32 s4, 0x210
	v_mov_b32_e32 v2, 0x4200
	v_cmp_ne_u32_e64 s[2:3], 0, v4
	v_mov_b32_e32 v4, 0x8400
	v_mad_u32_u24 v11, v1, s4, v2
	v_mul_u32_u24_e32 v3, 0x210, v1
	s_mov_b32 s5, 0x8400
	v_mad_u32_u24 v12, v1, s4, v4
	v_lshlrev_b32_e32 v4, 4, v1
	s_mov_b32 s6, 0
	s_mov_b32 s18, 0
	s_add_i32 s19, s20, s21
	v_add_u32_e32 v13, v11, v4
	v_add_u32_e32 v14, v12, v4
	v_add3_u32 v15, v3, v19, s5
	v_mad_u32_u24 v16, v0, s4, v2
	s_brev_b32 s7, 8
	v_mov_b32_e32 v17, 0x260
	v_mov_b32_e32 v4, 0
	;; [unrolled: 1-line block ×5, first 2 shown]
	s_branch .LBB72_95
.LBB72_94:                              ;   in Loop: Header=BB72_95 Depth=1
	s_or_b64 exec, exec, s[4:5]
	s_add_i32 s18, s18, 1
	s_cmp_eq_u32 s18, s46
	v_add_u32_e32 v16, 16, v16
	s_waitcnt lgkmcnt(0)
	s_cbranch_scc1 .LBB72_111
.LBB72_95:                              ; =>This Loop Header: Depth=1
                                        ;     Child Loop BB72_110 Depth 2
	v_cmp_eq_u32_e32 vcc, s18, v1
	s_and_saveexec_b64 s[4:5], vcc
	s_cbranch_execz .LBB72_103
; %bb.96:                               ;   in Loop: Header=BB72_95 Depth=1
	ds_read_b128 v[5:8], v14
	ds_read_b128 v[22:25], v13
	s_waitcnt lgkmcnt(0)
	v_add_f64 v[2:3], v[22:23], -v[5:6]
	v_add_f64 v[9:10], v[24:25], -v[7:8]
                                        ; implicit-def: $vgpr7_vgpr8
	v_cmp_gt_f64_e32 vcc, 0, v[2:3]
	v_xor_b32_e32 v5, 0x80000000, v3
	v_xor_b32_e32 v6, 0x80000000, v10
	v_cndmask_b32_e32 v3, v3, v5, vcc
	v_cmp_gt_f64_e32 vcc, 0, v[9:10]
	v_mov_b32_e32 v5, v9
	v_cndmask_b32_e32 v6, v10, v6, vcc
	v_cmp_ngt_f64_e32 vcc, v[2:3], v[5:6]
	s_and_saveexec_b64 s[8:9], vcc
	s_xor_b64 s[8:9], exec, s[8:9]
	s_cbranch_execz .LBB72_100
; %bb.97:                               ;   in Loop: Header=BB72_95 Depth=1
	v_cmp_neq_f64_e32 vcc, 0, v[9:10]
	v_mov_b32_e32 v7, 0
	v_mov_b32_e32 v8, 0
	s_and_saveexec_b64 s[16:17], vcc
	s_cbranch_execz .LBB72_99
; %bb.98:                               ;   in Loop: Header=BB72_95 Depth=1
	v_div_scale_f64 v[7:8], s[24:25], v[5:6], v[5:6], v[2:3]
	v_rcp_f64_e32 v[9:10], v[7:8]
	v_fma_f64 v[22:23], -v[7:8], v[9:10], 1.0
	v_fma_f64 v[9:10], v[9:10], v[22:23], v[9:10]
	v_div_scale_f64 v[22:23], vcc, v[2:3], v[5:6], v[2:3]
	v_fma_f64 v[24:25], -v[7:8], v[9:10], 1.0
	v_fma_f64 v[9:10], v[9:10], v[24:25], v[9:10]
	v_mul_f64 v[24:25], v[22:23], v[9:10]
	v_fma_f64 v[7:8], -v[7:8], v[24:25], v[22:23]
	v_div_fmas_f64 v[7:8], v[7:8], v[9:10], v[24:25]
	v_div_fixup_f64 v[2:3], v[7:8], v[5:6], v[2:3]
	v_fma_f64 v[2:3], v[2:3], v[2:3], 1.0
	v_cmp_gt_f64_e32 vcc, s[6:7], v[2:3]
	v_cndmask_b32_e32 v7, 0, v20, vcc
	v_ldexp_f64 v[2:3], v[2:3], v7
	v_rsq_f64_e32 v[7:8], v[2:3]
	v_mul_f64 v[9:10], v[2:3], v[7:8]
	v_mul_f64 v[7:8], v[7:8], 0.5
	v_fma_f64 v[22:23], -v[7:8], v[9:10], 0.5
	v_fma_f64 v[9:10], v[9:10], v[22:23], v[9:10]
	v_fma_f64 v[7:8], v[7:8], v[22:23], v[7:8]
	v_fma_f64 v[22:23], -v[9:10], v[9:10], v[2:3]
	v_fma_f64 v[9:10], v[22:23], v[7:8], v[9:10]
	v_fma_f64 v[22:23], -v[9:10], v[9:10], v[2:3]
	v_fma_f64 v[7:8], v[22:23], v[7:8], v[9:10]
	v_cndmask_b32_e32 v9, 0, v21, vcc
	v_cmp_class_f64_e32 vcc, v[2:3], v17
	v_ldexp_f64 v[7:8], v[7:8], v9
	v_cndmask_b32_e32 v3, v8, v3, vcc
	v_cndmask_b32_e32 v2, v7, v2, vcc
	v_mul_f64 v[7:8], v[5:6], v[2:3]
.LBB72_99:                              ;   in Loop: Header=BB72_95 Depth=1
	s_or_b64 exec, exec, s[16:17]
                                        ; implicit-def: $vgpr2_vgpr3
                                        ; implicit-def: $vgpr5_vgpr6
.LBB72_100:                             ;   in Loop: Header=BB72_95 Depth=1
	s_andn2_saveexec_b64 s[8:9], s[8:9]
	s_cbranch_execz .LBB72_102
; %bb.101:                              ;   in Loop: Header=BB72_95 Depth=1
	v_div_scale_f64 v[7:8], s[16:17], v[2:3], v[2:3], v[5:6]
	v_rcp_f64_e32 v[9:10], v[7:8]
	v_fma_f64 v[22:23], -v[7:8], v[9:10], 1.0
	v_fma_f64 v[9:10], v[9:10], v[22:23], v[9:10]
	v_div_scale_f64 v[22:23], vcc, v[5:6], v[2:3], v[5:6]
	v_fma_f64 v[24:25], -v[7:8], v[9:10], 1.0
	v_fma_f64 v[9:10], v[9:10], v[24:25], v[9:10]
	v_mul_f64 v[24:25], v[22:23], v[9:10]
	v_fma_f64 v[7:8], -v[7:8], v[24:25], v[22:23]
	v_div_fmas_f64 v[7:8], v[7:8], v[9:10], v[24:25]
	v_div_fixup_f64 v[5:6], v[7:8], v[2:3], v[5:6]
	v_fma_f64 v[5:6], v[5:6], v[5:6], 1.0
	v_cmp_gt_f64_e32 vcc, s[6:7], v[5:6]
	v_cndmask_b32_e32 v7, 0, v20, vcc
	v_ldexp_f64 v[5:6], v[5:6], v7
	v_rsq_f64_e32 v[7:8], v[5:6]
	v_mul_f64 v[9:10], v[5:6], v[7:8]
	v_mul_f64 v[7:8], v[7:8], 0.5
	v_fma_f64 v[22:23], -v[7:8], v[9:10], 0.5
	v_fma_f64 v[9:10], v[9:10], v[22:23], v[9:10]
	v_fma_f64 v[7:8], v[7:8], v[22:23], v[7:8]
	v_fma_f64 v[22:23], -v[9:10], v[9:10], v[5:6]
	v_fma_f64 v[9:10], v[22:23], v[7:8], v[9:10]
	v_fma_f64 v[22:23], -v[9:10], v[9:10], v[5:6]
	v_fma_f64 v[7:8], v[22:23], v[7:8], v[9:10]
	v_cndmask_b32_e32 v9, 0, v21, vcc
	v_cmp_class_f64_e32 vcc, v[5:6], v17
	v_ldexp_f64 v[7:8], v[7:8], v9
	v_cndmask_b32_e32 v6, v8, v6, vcc
	v_cndmask_b32_e32 v5, v7, v5, vcc
	v_mul_f64 v[7:8], v[2:3], v[5:6]
.LBB72_102:                             ;   in Loop: Header=BB72_95 Depth=1
	s_or_b64 exec, exec, s[8:9]
	v_cmp_gt_f64_e32 vcc, s[6:7], v[7:8]
	v_cndmask_b32_e32 v2, 0, v20, vcc
	v_ldexp_f64 v[2:3], v[7:8], v2
	v_rsq_f64_e32 v[5:6], v[2:3]
	v_mul_f64 v[7:8], v[2:3], v[5:6]
	v_mul_f64 v[5:6], v[5:6], 0.5
	v_fma_f64 v[9:10], -v[5:6], v[7:8], 0.5
	v_fma_f64 v[7:8], v[7:8], v[9:10], v[7:8]
	v_fma_f64 v[5:6], v[5:6], v[9:10], v[5:6]
	v_fma_f64 v[9:10], -v[7:8], v[7:8], v[2:3]
	v_fma_f64 v[7:8], v[9:10], v[5:6], v[7:8]
	v_fma_f64 v[9:10], -v[7:8], v[7:8], v[2:3]
	v_fma_f64 v[5:6], v[9:10], v[5:6], v[7:8]
	v_cndmask_b32_e32 v7, 0, v21, vcc
	v_cmp_class_f64_e32 vcc, v[2:3], v17
	v_ldexp_f64 v[5:6], v[5:6], v7
	v_cndmask_b32_e32 v3, v6, v3, vcc
	v_cndmask_b32_e32 v2, v5, v2, vcc
	v_mov_b32_e32 v5, v4
	ds_write_b128 v13, v[2:5]
.LBB72_103:                             ;   in Loop: Header=BB72_95 Depth=1
	s_or_b64 exec, exec, s[4:5]
	s_lshl_b32 s8, s18, 4
	s_mul_i32 s4, s18, 0x210
	s_add_i32 s4, s4, s8
	v_mov_b32_e32 v2, s4
	s_waitcnt lgkmcnt(0)
	ds_read_b128 v[23:26], v2 offset:16896
	v_add_u32_e32 v22, s8, v11
	ds_read_b128 v[5:8], v22
	s_waitcnt lgkmcnt(1)
	v_cmp_neq_f64_e32 vcc, 0, v[23:24]
	v_cmp_neq_f64_e64 s[4:5], 0, v[25:26]
	s_or_b64 vcc, vcc, s[4:5]
	v_cndmask_b32_e32 v3, 0, v26, vcc
	s_nor_b64 s[8:9], vcc, s[2:3]
	v_cndmask_b32_e32 v2, 0, v25, vcc
	v_cndmask_b32_e32 v10, v18, v24, vcc
	;; [unrolled: 1-line block ×3, first 2 shown]
	s_and_saveexec_b64 s[4:5], s[8:9]
	s_cbranch_execz .LBB72_107
; %bb.104:                              ;   in Loop: Header=BB72_95 Depth=1
	v_mbcnt_lo_u32_b32 v2, exec_lo, 0
	v_mbcnt_hi_u32_b32 v2, exec_hi, v2
	v_cmp_eq_u32_e32 vcc, 0, v2
	s_and_saveexec_b64 s[8:9], vcc
	s_cbranch_execz .LBB72_106
; %bb.105:                              ;   in Loop: Header=BB72_95 Depth=1
	v_mov_b32_e32 v2, s19
	global_atomic_smin v4, v2, s[14:15]
.LBB72_106:                             ;   in Loop: Header=BB72_95 Depth=1
	s_or_b64 exec, exec, s[8:9]
	v_mov_b32_e32 v9, 0
	v_mov_b32_e32 v2, 0
	v_mov_b32_e32 v10, 0x3ff00000
	v_mov_b32_e32 v3, 0
.LBB72_107:                             ;   in Loop: Header=BB72_95 Depth=1
	s_or_b64 exec, exec, s[4:5]
	v_cmp_lt_u32_e32 vcc, s18, v1
	s_and_saveexec_b64 s[4:5], vcc
	s_cbranch_execz .LBB72_94
; %bb.108:                              ;   in Loop: Header=BB72_95 Depth=1
	v_mul_f64 v[23:24], v[2:3], v[2:3]
	v_fma_f64 v[27:28], v[9:10], v[9:10], v[23:24]
	v_div_scale_f64 v[23:24], s[8:9], v[27:28], v[27:28], 1.0
	v_rcp_f64_e32 v[25:26], v[23:24]
	v_fma_f64 v[29:30], -v[23:24], v[25:26], 1.0
	v_fma_f64 v[25:26], v[25:26], v[29:30], v[25:26]
	v_div_scale_f64 v[29:30], vcc, 1.0, v[27:28], 1.0
	v_fma_f64 v[31:32], -v[23:24], v[25:26], 1.0
	v_fma_f64 v[31:32], v[25:26], v[31:32], v[25:26]
	v_lshl_add_u32 v25, s18, 4, v12
	v_mul_f64 v[33:34], v[29:30], v[31:32]
	v_fma_f64 v[29:30], -v[23:24], v[33:34], v[29:30]
	ds_read_b128 v[23:26], v25
	s_waitcnt lgkmcnt(0)
	v_add_f64 v[7:8], v[7:8], -v[25:26]
	v_add_f64 v[5:6], v[5:6], -v[23:24]
	v_div_fmas_f64 v[25:26], v[29:30], v[31:32], v[33:34]
	v_mul_f64 v[23:24], v[2:3], v[7:8]
	v_mul_f64 v[2:3], v[2:3], -v[5:6]
	v_fma_f64 v[5:6], v[5:6], v[9:10], v[23:24]
	v_fma_f64 v[2:3], v[7:8], v[9:10], v[2:3]
	v_div_fixup_f64 v[23:24], v[25:26], v[27:28], 1.0
	v_mul_f64 v[5:6], v[23:24], v[5:6]
	v_mul_f64 v[7:8], v[23:24], v[2:3]
	ds_write_b128 v22, v[5:8]
	s_waitcnt lgkmcnt(0)
	s_and_b64 exec, exec, s[0:1]
	s_cbranch_execz .LBB72_94
; %bb.109:                              ;   in Loop: Header=BB72_95 Depth=1
	s_mov_b64 s[8:9], 0
	v_mov_b32_e32 v2, v16
	v_mov_b32_e32 v3, v15
	;; [unrolled: 1-line block ×3, first 2 shown]
.LBB72_110:                             ;   Parent Loop BB72_95 Depth=1
                                        ; =>  This Inner Loop Header: Depth=2
	ds_read_b128 v[22:25], v2
	ds_read_b128 v[26:29], v3
	v_add_u32_e32 v9, 2, v9
	v_cmp_le_i32_e32 vcc, s46, v9
	s_or_b64 s[8:9], vcc, s[8:9]
	v_add_u32_e32 v2, 0x420, v2
	s_waitcnt lgkmcnt(0)
	v_fma_f64 v[26:27], v[5:6], v[22:23], v[26:27]
	v_fma_f64 v[28:29], v[7:8], v[22:23], v[28:29]
	;; [unrolled: 1-line block ×3, first 2 shown]
	v_fma_f64 v[24:25], v[5:6], -v[24:25], v[28:29]
	ds_write_b128 v3, v[22:25]
	v_add_u32_e32 v3, 32, v3
	s_andn2_b64 exec, exec, s[8:9]
	s_cbranch_execnz .LBB72_110
	s_branch .LBB72_94
.LBB72_111:
	s_and_saveexec_b64 s[2:3], s[0:1]
	s_cbranch_execz .LBB72_120
; %bb.112:
	s_mul_i32 s33, s33, s46
	v_add_u32_e32 v2, s33, v1
	v_mul_lo_u32 v4, v2, s46
	s_cmp_lg_u32 s47, 0
	v_mul_u32_u24_e32 v2, 0x210, v1
	s_movk_i32 s6, 0x4200
	v_cmp_gt_i32_e64 s[0:1], s46, v1
	s_cselect_b64 s[4:5], -1, 0
	v_add3_u32 v5, v2, v19, s6
	s_mov_b64 s[6:7], 0
	v_mov_b32_e32 v6, v0
	s_branch .LBB72_116
.LBB72_113:                             ;   in Loop: Header=BB72_116 Depth=1
	v_add_u32_e32 v2, v4, v6
.LBB72_114:                             ;   in Loop: Header=BB72_116 Depth=1
	v_ashrrev_i32_e32 v3, 31, v2
	ds_read2_b64 v[7:10], v5 offset1:1
	v_lshlrev_b64 v[2:3], 4, v[2:3]
	v_mov_b32_e32 v11, s23
	v_add_co_u32_e32 v2, vcc, s22, v2
	v_addc_co_u32_e32 v3, vcc, v11, v3, vcc
	s_waitcnt lgkmcnt(0)
	global_store_dwordx4 v[2:3], v[7:10], off
.LBB72_115:                             ;   in Loop: Header=BB72_116 Depth=1
	s_or_b64 exec, exec, s[8:9]
	v_add_u32_e32 v6, 2, v6
	v_cmp_le_i32_e32 vcc, s46, v6
	s_or_b64 s[6:7], vcc, s[6:7]
	v_add_u32_e32 v5, 32, v5
	s_andn2_b64 exec, exec, s[6:7]
	s_cbranch_execz .LBB72_120
.LBB72_116:                             ; =>This Inner Loop Header: Depth=1
	s_and_saveexec_b64 s[8:9], s[0:1]
	s_cbranch_execz .LBB72_115
; %bb.117:                              ;   in Loop: Header=BB72_116 Depth=1
	s_and_b64 vcc, exec, s[4:5]
	s_cbranch_vccz .LBB72_119
; %bb.118:                              ;   in Loop: Header=BB72_116 Depth=1
	v_add_u32_e32 v2, s33, v6
	v_mad_u64_u32 v[2:3], s[16:17], v2, s46, v[1:2]
	s_cbranch_execnz .LBB72_114
	s_branch .LBB72_113
.LBB72_119:                             ;   in Loop: Header=BB72_116 Depth=1
                                        ; implicit-def: $vgpr2
	s_branch .LBB72_113
.LBB72_120:
	s_or_b64 exec, exec, s[2:3]
	v_or_b32_e32 v2, v0, v1
	v_cmp_eq_u32_e32 vcc, 0, v2
	s_and_saveexec_b64 s[0:1], vcc
	s_cbranch_execz .LBB72_122
; %bb.121:
	s_add_u32 s2, s10, s12
	s_addc_u32 s3, s11, s13
	v_mov_b32_e32 v2, 0
	v_mov_b32_e32 v3, 1
	s_waitcnt vmcnt(0)
	global_store_dword v2, v3, s[2:3]
.LBB72_122:
	s_or_b64 exec, exec, s[0:1]
.LBB72_123:
	s_endpgm
.LBB72_124:
	s_cbranch_execz .LBB72_123
; %bb.125:
	v_or_b32_e32 v0, v0, v1
	v_cmp_eq_u32_e32 vcc, 0, v0
	s_and_saveexec_b64 s[0:1], vcc
	s_cbranch_execz .LBB72_123
; %bb.126:
	v_mbcnt_lo_u32_b32 v0, exec_lo, 0
	v_mbcnt_hi_u32_b32 v0, exec_hi, v0
	v_cmp_eq_u32_e32 vcc, 0, v0
	s_and_saveexec_b64 s[0:1], vcc
	s_cbranch_execz .LBB72_128
; %bb.127:
	s_add_i32 s2, s20, s21
	v_mov_b32_e32 v0, 0
	v_mov_b32_e32 v1, s2
	global_atomic_smin v0, v1, s[14:15]
.LBB72_128:
	s_or_b64 exec, exec, s[0:1]
	s_add_u32 s0, s10, s12
	s_addc_u32 s1, s11, s13
	v_mov_b32_e32 v0, 0
	v_mov_b32_e32 v1, 1
	s_waitcnt vmcnt(0)
	global_store_dword v0, v1, s[0:1]
	s_endpgm
	.section	.rodata,"a",@progbits
	.p2align	6, 0x0
	.amdhsa_kernel _ZN9rocsparseL19bsric0_17_32_kernelILi64ELi64ELi32E21rocsparse_complex_numIdEEEv20rocsparse_direction_iiPKiS5_PT2_S5_PiS5_S8_21rocsparse_index_base_
		.amdhsa_group_segment_fixed_size 51456
		.amdhsa_private_segment_fixed_size 0
		.amdhsa_kernarg_size 76
		.amdhsa_user_sgpr_count 6
		.amdhsa_user_sgpr_private_segment_buffer 1
		.amdhsa_user_sgpr_dispatch_ptr 0
		.amdhsa_user_sgpr_queue_ptr 0
		.amdhsa_user_sgpr_kernarg_segment_ptr 1
		.amdhsa_user_sgpr_dispatch_id 0
		.amdhsa_user_sgpr_flat_scratch_init 0
		.amdhsa_user_sgpr_private_segment_size 0
		.amdhsa_uses_dynamic_stack 0
		.amdhsa_system_sgpr_private_segment_wavefront_offset 0
		.amdhsa_system_sgpr_workgroup_id_x 1
		.amdhsa_system_sgpr_workgroup_id_y 0
		.amdhsa_system_sgpr_workgroup_id_z 0
		.amdhsa_system_sgpr_workgroup_info 0
		.amdhsa_system_vgpr_workitem_id 1
		.amdhsa_next_free_vgpr 129
		.amdhsa_next_free_sgpr 98
		.amdhsa_reserve_vcc 1
		.amdhsa_reserve_flat_scratch 0
		.amdhsa_float_round_mode_32 0
		.amdhsa_float_round_mode_16_64 0
		.amdhsa_float_denorm_mode_32 3
		.amdhsa_float_denorm_mode_16_64 3
		.amdhsa_dx10_clamp 1
		.amdhsa_ieee_mode 1
		.amdhsa_fp16_overflow 0
		.amdhsa_exception_fp_ieee_invalid_op 0
		.amdhsa_exception_fp_denorm_src 0
		.amdhsa_exception_fp_ieee_div_zero 0
		.amdhsa_exception_fp_ieee_overflow 0
		.amdhsa_exception_fp_ieee_underflow 0
		.amdhsa_exception_fp_ieee_inexact 0
		.amdhsa_exception_int_div_zero 0
	.end_amdhsa_kernel
	.section	.text._ZN9rocsparseL19bsric0_17_32_kernelILi64ELi64ELi32E21rocsparse_complex_numIdEEEv20rocsparse_direction_iiPKiS5_PT2_S5_PiS5_S8_21rocsparse_index_base_,"axG",@progbits,_ZN9rocsparseL19bsric0_17_32_kernelILi64ELi64ELi32E21rocsparse_complex_numIdEEEv20rocsparse_direction_iiPKiS5_PT2_S5_PiS5_S8_21rocsparse_index_base_,comdat
.Lfunc_end72:
	.size	_ZN9rocsparseL19bsric0_17_32_kernelILi64ELi64ELi32E21rocsparse_complex_numIdEEEv20rocsparse_direction_iiPKiS5_PT2_S5_PiS5_S8_21rocsparse_index_base_, .Lfunc_end72-_ZN9rocsparseL19bsric0_17_32_kernelILi64ELi64ELi32E21rocsparse_complex_numIdEEEv20rocsparse_direction_iiPKiS5_PT2_S5_PiS5_S8_21rocsparse_index_base_
                                        ; -- End function
	.set _ZN9rocsparseL19bsric0_17_32_kernelILi64ELi64ELi32E21rocsparse_complex_numIdEEEv20rocsparse_direction_iiPKiS5_PT2_S5_PiS5_S8_21rocsparse_index_base_.num_vgpr, 38
	.set _ZN9rocsparseL19bsric0_17_32_kernelILi64ELi64ELi32E21rocsparse_complex_numIdEEEv20rocsparse_direction_iiPKiS5_PT2_S5_PiS5_S8_21rocsparse_index_base_.num_agpr, 0
	.set _ZN9rocsparseL19bsric0_17_32_kernelILi64ELi64ELi32E21rocsparse_complex_numIdEEEv20rocsparse_direction_iiPKiS5_PT2_S5_PiS5_S8_21rocsparse_index_base_.numbered_sgpr, 56
	.set _ZN9rocsparseL19bsric0_17_32_kernelILi64ELi64ELi32E21rocsparse_complex_numIdEEEv20rocsparse_direction_iiPKiS5_PT2_S5_PiS5_S8_21rocsparse_index_base_.num_named_barrier, 0
	.set _ZN9rocsparseL19bsric0_17_32_kernelILi64ELi64ELi32E21rocsparse_complex_numIdEEEv20rocsparse_direction_iiPKiS5_PT2_S5_PiS5_S8_21rocsparse_index_base_.private_seg_size, 0
	.set _ZN9rocsparseL19bsric0_17_32_kernelILi64ELi64ELi32E21rocsparse_complex_numIdEEEv20rocsparse_direction_iiPKiS5_PT2_S5_PiS5_S8_21rocsparse_index_base_.uses_vcc, 1
	.set _ZN9rocsparseL19bsric0_17_32_kernelILi64ELi64ELi32E21rocsparse_complex_numIdEEEv20rocsparse_direction_iiPKiS5_PT2_S5_PiS5_S8_21rocsparse_index_base_.uses_flat_scratch, 0
	.set _ZN9rocsparseL19bsric0_17_32_kernelILi64ELi64ELi32E21rocsparse_complex_numIdEEEv20rocsparse_direction_iiPKiS5_PT2_S5_PiS5_S8_21rocsparse_index_base_.has_dyn_sized_stack, 0
	.set _ZN9rocsparseL19bsric0_17_32_kernelILi64ELi64ELi32E21rocsparse_complex_numIdEEEv20rocsparse_direction_iiPKiS5_PT2_S5_PiS5_S8_21rocsparse_index_base_.has_recursion, 0
	.set _ZN9rocsparseL19bsric0_17_32_kernelILi64ELi64ELi32E21rocsparse_complex_numIdEEEv20rocsparse_direction_iiPKiS5_PT2_S5_PiS5_S8_21rocsparse_index_base_.has_indirect_call, 0
	.section	.AMDGPU.csdata,"",@progbits
; Kernel info:
; codeLenInByte = 4564
; TotalNumSgprs: 60
; NumVgprs: 38
; ScratchSize: 0
; MemoryBound: 1
; FloatMode: 240
; IeeeMode: 1
; LDSByteSize: 51456 bytes/workgroup (compile time only)
; SGPRBlocks: 12
; VGPRBlocks: 32
; NumSGPRsForWavesPerEU: 102
; NumVGPRsForWavesPerEU: 129
; Occupancy: 1
; WaveLimiterHint : 1
; COMPUTE_PGM_RSRC2:SCRATCH_EN: 0
; COMPUTE_PGM_RSRC2:USER_SGPR: 6
; COMPUTE_PGM_RSRC2:TRAP_HANDLER: 0
; COMPUTE_PGM_RSRC2:TGID_X_EN: 1
; COMPUTE_PGM_RSRC2:TGID_Y_EN: 0
; COMPUTE_PGM_RSRC2:TGID_Z_EN: 0
; COMPUTE_PGM_RSRC2:TIDIG_COMP_CNT: 1
	.section	.text._ZN9rocsparseL17bsric0_2_8_kernelILi64ELi128ELi8E21rocsparse_complex_numIdEEEv20rocsparse_direction_iiPKiS5_PT2_S5_PiS5_S8_21rocsparse_index_base_,"axG",@progbits,_ZN9rocsparseL17bsric0_2_8_kernelILi64ELi128ELi8E21rocsparse_complex_numIdEEEv20rocsparse_direction_iiPKiS5_PT2_S5_PiS5_S8_21rocsparse_index_base_,comdat
	.globl	_ZN9rocsparseL17bsric0_2_8_kernelILi64ELi128ELi8E21rocsparse_complex_numIdEEEv20rocsparse_direction_iiPKiS5_PT2_S5_PiS5_S8_21rocsparse_index_base_ ; -- Begin function _ZN9rocsparseL17bsric0_2_8_kernelILi64ELi128ELi8E21rocsparse_complex_numIdEEEv20rocsparse_direction_iiPKiS5_PT2_S5_PiS5_S8_21rocsparse_index_base_
	.p2align	8
	.type	_ZN9rocsparseL17bsric0_2_8_kernelILi64ELi128ELi8E21rocsparse_complex_numIdEEEv20rocsparse_direction_iiPKiS5_PT2_S5_PiS5_S8_21rocsparse_index_base_,@function
_ZN9rocsparseL17bsric0_2_8_kernelILi64ELi128ELi8E21rocsparse_complex_numIdEEEv20rocsparse_direction_iiPKiS5_PT2_S5_PiS5_S8_21rocsparse_index_base_: ; @_ZN9rocsparseL17bsric0_2_8_kernelILi64ELi128ELi8E21rocsparse_complex_numIdEEEv20rocsparse_direction_iiPKiS5_PT2_S5_PiS5_S8_21rocsparse_index_base_
; %bb.0:
	s_load_dwordx8 s[12:19], s[4:5], 0x28
	s_mov_b32 s7, 0
	s_lshl_b64 s[0:1], s[6:7], 2
	s_waitcnt lgkmcnt(0)
	s_add_u32 s0, s16, s0
	s_addc_u32 s1, s17, s1
	s_load_dword s16, s[0:1], 0x0
	s_waitcnt lgkmcnt(0)
	s_ashr_i32 s17, s16, 31
	s_lshl_b64 s[10:11], s[16:17], 2
	s_add_u32 s0, s12, s10
	s_addc_u32 s1, s13, s11
	s_load_dword s40, s[0:1], 0x0
	s_load_dword s17, s[4:5], 0x48
	s_waitcnt lgkmcnt(0)
	s_cmp_lg_u32 s40, -1
	s_cbranch_scc0 .LBB73_82
; %bb.1:
	s_load_dwordx4 s[20:23], s[4:5], 0x10
	s_load_dwordx2 s[24:25], s[4:5], 0x20
	v_lshlrev_b32_e32 v2, 3, v1
	s_waitcnt lgkmcnt(0)
	s_add_u32 s0, s20, s10
	s_addc_u32 s1, s21, s11
	s_load_dword s0, s[0:1], 0x0
	s_waitcnt lgkmcnt(0)
	s_sub_i32 s41, s0, s17
	v_add3_u32 v2, v2, v0, s41
	v_cmp_ge_i32_e32 vcc, s40, v2
	s_and_saveexec_b64 s[0:1], vcc
	s_cbranch_execz .LBB73_4
; %bb.2:
	v_lshlrev_b32_e32 v3, 5, v1
	v_lshlrev_b32_e32 v4, 2, v0
	s_movk_i32 s2, 0x1600
	v_add3_u32 v5, v3, v4, s2
	v_ashrrev_i32_e32 v3, 31, v2
	v_lshlrev_b64 v[3:4], 2, v[2:3]
	v_mov_b32_e32 v6, s23
	v_add_co_u32_e32 v3, vcc, s22, v3
	v_addc_co_u32_e32 v4, vcc, v6, v4, vcc
	s_mov_b64 s[2:3], 0
.LBB73_3:                               ; =>This Inner Loop Header: Depth=1
	global_load_dword v6, v[3:4], off
	v_add_co_u32_e32 v3, vcc, 0x100, v3
	v_add_u32_e32 v2, 64, v2
	v_addc_co_u32_e32 v4, vcc, 0, v4, vcc
	v_cmp_lt_i32_e32 vcc, s40, v2
	s_or_b64 s[2:3], vcc, s[2:3]
	s_waitcnt vmcnt(0)
	v_subrev_u32_e32 v6, s17, v6
	ds_write_b32 v5, v6
	v_add_u32_e32 v5, 0x100, v5
	s_andn2_b64 exec, exec, s[2:3]
	s_cbranch_execnz .LBB73_3
.LBB73_4:
	s_or_b64 exec, exec, s[0:1]
	s_load_dword s42, s[4:5], 0x0
	s_load_dword s33, s[4:5], 0x8
	s_movk_i32 s6, 0x90
	v_mov_b32_e32 v2, 0xd80
	v_mad_u32_u24 v21, v1, s6, v2
	v_mov_b32_e32 v2, 0
	v_lshl_add_u32 v20, v0, 4, v21
	v_mov_b32_e32 v3, v2
	v_mov_b32_e32 v4, v2
	;; [unrolled: 1-line block ×3, first 2 shown]
	s_cmp_ge_i32 s41, s40
	ds_write_b128 v20, v[2:5]
	s_waitcnt lgkmcnt(0)
	s_cbranch_scc1 .LBB73_57
; %bb.5:
	s_cmp_lg_u32 s42, 0
	s_cselect_b64 s[26:27], -1, 0
	s_cmp_eq_u32 s42, 0
	v_cmp_gt_i32_e64 s[0:1], s33, v0
	v_cmp_gt_i32_e64 s[2:3], s33, v1
	s_cselect_b64 vcc, -1, 0
	s_and_b64 s[28:29], s[0:1], s[2:3]
	v_mov_b32_e32 v3, 0x900
	v_lshlrev_b32_e32 v4, 4, v0
	s_cmp_gt_i32 s33, 0
	v_mul_lo_u32 v25, s33, v0
	v_mul_lo_u32 v26, s33, v1
	v_mov_b32_e32 v5, 0x480
	v_mad_u32_u24 v22, v1, s6, v3
	v_mad_u32_u24 v24, v1, s6, v4
	;; [unrolled: 1-line block ×4, first 2 shown]
	s_cselect_b64 s[6:7], -1, 0
	v_add_u32_e32 v23, v22, v4
	v_add_u32_e32 v28, v27, v4
	v_or_b32_e32 v4, v0, v1
	v_cndmask_b32_e64 v3, 0, 1, s[6:7]
	s_mul_i32 s43, s33, s33
	v_cmp_ne_u32_e64 s[4:5], 0, v4
	v_cndmask_b32_e32 v11, v1, v0, vcc
	v_cndmask_b32_e32 v30, v0, v1, vcc
	v_cmp_ne_u32_e64 s[6:7], 1, v3
	v_mov_b32_e32 v31, 0x3ff00000
	s_mov_b32 s30, s41
	s_branch .LBB73_7
.LBB73_6:                               ;   in Loop: Header=BB73_7 Depth=1
	s_or_b64 exec, exec, s[8:9]
	s_add_i32 s30, s30, 1
	s_cmp_ge_i32 s30, s40
	s_cselect_b64 s[8:9], -1, 0
	s_waitcnt vmcnt(0)
	buffer_wbinvl1_vol
	s_and_b64 vcc, exec, s[8:9]
	s_cbranch_vccnz .LBB73_57
.LBB73_7:                               ; =>This Loop Header: Depth=1
                                        ;     Child Loop BB73_12 Depth 2
                                        ;     Child Loop BB73_23 Depth 2
	;; [unrolled: 1-line block ×4, first 2 shown]
                                        ;       Child Loop BB73_53 Depth 3
	s_ashr_i32 s31, s30, 31
	s_lshl_b64 s[8:9], s[30:31], 2
	s_add_u32 s8, s22, s8
	s_addc_u32 s9, s23, s9
	s_load_dword s31, s[8:9], 0x0
	s_waitcnt lgkmcnt(0)
	s_sub_i32 s34, s31, s17
	s_ashr_i32 s35, s34, 31
	s_lshl_b64 s[8:9], s[34:35], 2
	s_add_u32 s36, s12, s8
	s_addc_u32 s37, s13, s9
	s_load_dword s35, s[36:37], 0x0
	s_waitcnt lgkmcnt(0)
	s_cmp_eq_u32 s35, -1
	s_cbranch_scc1 .LBB73_56
; %bb.8:                                ;   in Loop: Header=BB73_7 Depth=1
	v_mov_b32_e32 v3, 0
	v_mov_b32_e32 v4, 0
	s_add_u32 s36, s20, s8
	s_mul_i32 s38, s30, s33
	v_mov_b32_e32 v6, v4
	s_addc_u32 s37, s21, s9
	v_add_u32_e32 v32, s38, v30
	v_mov_b32_e32 v5, v3
	s_and_saveexec_b64 s[38:39], s[28:29]
	s_cbranch_execz .LBB73_10
; %bb.9:                                ;   in Loop: Header=BB73_7 Depth=1
	v_mad_u64_u32 v[3:4], s[44:45], v32, s33, v[11:12]
	v_mov_b32_e32 v5, s25
	v_ashrrev_i32_e32 v4, 31, v3
	v_lshlrev_b64 v[3:4], 4, v[3:4]
	v_add_co_u32_e32 v3, vcc, s24, v3
	v_addc_co_u32_e32 v4, vcc, v5, v4, vcc
	global_load_dwordx4 v[3:6], v[3:4], off
.LBB73_10:                              ;   in Loop: Header=BB73_7 Depth=1
	s_or_b64 exec, exec, s[38:39]
	s_load_dword s36, s[36:37], 0x0
	ds_read_b32 v7, v2 offset:5632
	s_mov_b32 s37, 0
	s_waitcnt vmcnt(0)
	ds_write_b128 v23, v[3:6]
	s_waitcnt lgkmcnt(0)
	s_sub_i32 s36, s36, s17
	s_cmp_le_i32 s36, s35
	v_cmp_ge_i32_e32 vcc, s34, v7
	s_cselect_b64 s[38:39], -1, 0
	s_and_b64 s[38:39], s[38:39], vcc
	s_andn2_b64 vcc, exec, s[38:39]
	s_cbranch_vccnz .LBB73_22
; %bb.11:                               ;   in Loop: Header=BB73_7 Depth=1
	s_mov_b32 s44, 0
	s_mov_b32 s45, 0
.LBB73_12:                              ;   Parent Loop BB73_7 Depth=1
                                        ; =>  This Inner Loop Header: Depth=2
	s_ashr_i32 s37, s36, 31
	s_lshl_b64 s[38:39], s[36:37], 2
	s_add_u32 s38, s22, s38
	s_addc_u32 s39, s23, s39
	s_load_dword s37, s[38:39], 0x0
	s_lshl_b32 s38, s45, 2
	v_mov_b32_e32 v3, s38
	ds_read_b32 v3, v3 offset:5632
	s_mov_b64 s[38:39], -1
	s_waitcnt lgkmcnt(0)
	s_sub_i32 s49, s37, s17
                                        ; implicit-def: $sgpr37
                                        ; implicit-def: $sgpr48
                                        ; implicit-def: $sgpr47
	v_cmp_ge_i32_e32 vcc, s49, v3
	v_readfirstlane_b32 s46, v3
	s_cbranch_vccz .LBB73_18
; %bb.13:                               ;   in Loop: Header=BB73_12 Depth=2
	s_cmp_le_i32 s49, s46
                                        ; implicit-def: $sgpr37
                                        ; implicit-def: $sgpr48
                                        ; implicit-def: $sgpr47
	s_cbranch_scc0 .LBB73_15
; %bb.14:                               ;   in Loop: Header=BB73_12 Depth=2
	s_add_i32 s37, s45, s41
	s_mul_i32 s37, s37, s43
	s_lshl_b32 s38, s44, 2
	v_mov_b32_e32 v4, s37
	s_mul_i32 s37, s36, s43
	v_mov_b32_e32 v3, s38
	v_mov_b32_e32 v5, s37
	ds_write2st64_b32 v3, v5, v4 offset0:18 offset1:20
	s_add_i32 s47, s45, 1
	s_add_i32 s48, s36, 1
	;; [unrolled: 1-line block ×3, first 2 shown]
	s_mov_b64 s[38:39], 0
.LBB73_15:                              ;   in Loop: Header=BB73_12 Depth=2
	s_andn2_b64 vcc, exec, s[38:39]
	s_cbranch_vccnz .LBB73_17
; %bb.16:                               ;   in Loop: Header=BB73_12 Depth=2
	s_add_i32 s47, s45, 1
	s_mov_b32 s37, s44
	s_mov_b32 s48, s36
.LBB73_17:                              ;   in Loop: Header=BB73_12 Depth=2
	s_mov_b64 s[38:39], 0
.LBB73_18:                              ;   in Loop: Header=BB73_12 Depth=2
	s_andn2_b64 vcc, exec, s[38:39]
	s_cbranch_vccnz .LBB73_20
; %bb.19:                               ;   in Loop: Header=BB73_12 Depth=2
	s_add_i32 s48, s36, 1
	s_mov_b32 s47, s45
	s_mov_b32 s37, s44
.LBB73_20:                              ;   in Loop: Header=BB73_12 Depth=2
	s_cmp_le_i32 s48, s35
	s_cselect_b64 s[38:39], -1, 0
	s_cmp_le_i32 s46, s34
	s_cselect_b64 s[44:45], -1, 0
	s_and_b64 s[38:39], s[38:39], s[44:45]
	s_and_b64 vcc, exec, s[38:39]
	s_cbranch_vccz .LBB73_22
; %bb.21:                               ;   in Loop: Header=BB73_12 Depth=2
	s_mov_b32 s44, s37
	s_mov_b32 s36, s48
	;; [unrolled: 1-line block ×3, first 2 shown]
	s_branch .LBB73_12
.LBB73_22:                              ;   in Loop: Header=BB73_7 Depth=1
	s_add_u32 s8, s14, s8
	s_addc_u32 s9, s15, s9
	s_waitcnt lgkmcnt(0)
.LBB73_23:                              ;   Parent Loop BB73_7 Depth=1
                                        ; =>  This Inner Loop Header: Depth=2
	global_load_dword v3, v2, s[8:9] glc
	s_waitcnt vmcnt(0)
	v_cmp_eq_u32_e32 vcc, 0, v3
	s_cbranch_vccnz .LBB73_23
; %bb.24:                               ;   in Loop: Header=BB73_7 Depth=1
	v_mov_b32_e32 v5, 0
	v_mov_b32_e32 v7, 0
	;; [unrolled: 1-line block ×6, first 2 shown]
	buffer_wbinvl1_vol
	s_and_saveexec_b64 s[8:9], s[28:29]
	s_cbranch_execz .LBB73_26
; %bb.25:                               ;   in Loop: Header=BB73_7 Depth=1
	s_mul_i32 s35, s35, s33
	v_add_u32_e32 v3, s35, v30
	v_mad_u64_u32 v[3:4], s[34:35], v3, s33, v[11:12]
	v_mov_b32_e32 v7, s25
	v_ashrrev_i32_e32 v4, 31, v3
	v_lshlrev_b64 v[3:4], 4, v[3:4]
	v_add_co_u32_e32 v3, vcc, s24, v3
	v_addc_co_u32_e32 v4, vcc, v7, v4, vcc
	global_load_dwordx4 v[7:10], v[3:4], off
.LBB73_26:                              ;   in Loop: Header=BB73_7 Depth=1
	s_or_b64 exec, exec, s[8:9]
	v_mov_b32_e32 v3, 0
	s_cmp_lt_i32 s37, 2
	v_mov_b32_e32 v4, 0
	s_waitcnt vmcnt(0)
	ds_write_b128 v24, v[7:10]
	s_waitcnt lgkmcnt(0)
	s_cbranch_scc1 .LBB73_45
; %bb.27:                               ;   in Loop: Header=BB73_7 Depth=1
	v_mov_b32_e32 v12, 0
	v_mov_b32_e32 v18, 0
	s_add_i32 s34, s37, -2
	v_mov_b32_e32 v13, 0
	v_mov_b32_e32 v19, 0
	s_mov_b32 s35, 0
	s_and_b64 vcc, exec, s[6:7]
	s_cbranch_vccz .LBB73_30
	s_branch .LBB73_29
.LBB73_28:                              ;   in Loop: Header=BB73_7 Depth=1
	v_mov_b32_e32 v13, v6
	v_mov_b32_e32 v19, v4
	s_mov_b32 s35, s8
	v_mov_b32_e32 v12, v5
	v_mov_b32_e32 v18, v3
	s_and_b64 vcc, exec, s[6:7]
	s_cbranch_vccz .LBB73_30
.LBB73_29:                              ;   in Loop: Header=BB73_7 Depth=1
	v_mov_b32_e32 v5, v12
	v_mov_b32_e32 v3, v18
	;; [unrolled: 1-line block ×4, first 2 shown]
	s_branch .LBB73_44
.LBB73_30:                              ;   in Loop: Header=BB73_7 Depth=1
	s_lshl_b32 s8, s35, 2
	v_mov_b32_e32 v3, s8
	ds_read2st64_b32 v[3:4], v3 offset0:18 offset1:20
	s_mov_b32 s36, 0
	s_waitcnt lgkmcnt(0)
	v_add_u32_e32 v33, v3, v25
	v_add_u32_e32 v34, v4, v26
	v_add_u32_e32 v14, v1, v4
	v_add_u32_e32 v16, v0, v3
	s_mov_b64 s[8:9], -1
	s_and_b64 vcc, exec, s[26:27]
                                        ; implicit-def: $vgpr5_vgpr6
	s_cbranch_vccz .LBB73_37
	s_branch .LBB73_32
.LBB73_31:                              ;   in Loop: Header=BB73_37 Depth=2
	v_mov_b32_e32 v13, v6
	v_mov_b32_e32 v19, v4
	;; [unrolled: 1-line block ×4, first 2 shown]
	s_mov_b64 s[8:9], -1
	s_and_b64 vcc, exec, s[26:27]
                                        ; implicit-def: $vgpr5_vgpr6
	s_cbranch_vccz .LBB73_37
.LBB73_32:                              ;   in Loop: Header=BB73_7 Depth=1
	v_mov_b32_e32 v3, 0
	v_mov_b32_e32 v7, 0
	;; [unrolled: 1-line block ×6, first 2 shown]
	s_and_saveexec_b64 s[8:9], s[0:1]
	s_cbranch_execz .LBB73_34
; %bb.33:                               ;   in Loop: Header=BB73_7 Depth=1
	v_ashrrev_i32_e32 v17, 31, v16
	v_lshlrev_b64 v[5:6], 4, v[16:17]
	v_mov_b32_e32 v7, s25
	v_add_co_u32_e32 v5, vcc, s24, v5
	v_addc_co_u32_e32 v6, vcc, v7, v6, vcc
	global_load_dwordx4 v[7:10], v[5:6], off
.LBB73_34:                              ;   in Loop: Header=BB73_7 Depth=1
	s_or_b64 exec, exec, s[8:9]
	v_mov_b32_e32 v5, 0
	v_mov_b32_e32 v6, 0
	s_and_saveexec_b64 s[8:9], s[2:3]
	s_cbranch_execz .LBB73_36
; %bb.35:                               ;   in Loop: Header=BB73_7 Depth=1
	v_ashrrev_i32_e32 v15, 31, v14
	v_lshlrev_b64 v[3:4], 4, v[14:15]
	v_mov_b32_e32 v5, s25
	v_add_co_u32_e32 v3, vcc, s24, v3
	v_addc_co_u32_e32 v4, vcc, v5, v4, vcc
	global_load_dwordx4 v[3:6], v[3:4], off
.LBB73_36:                              ;   in Loop: Header=BB73_7 Depth=1
	s_or_b64 exec, exec, s[8:9]
	s_waitcnt vmcnt(0)
	v_fma_f64 v[35:36], v[7:8], v[3:4], v[18:19]
	v_fma_f64 v[37:38], v[9:10], v[3:4], v[12:13]
	s_mov_b64 s[8:9], 0
	v_fma_f64 v[3:4], v[9:10], v[5:6], v[35:36]
	v_fma_f64 v[5:6], v[7:8], -v[5:6], v[37:38]
.LBB73_37:                              ;   Parent Loop BB73_7 Depth=1
                                        ; =>  This Inner Loop Header: Depth=2
	s_and_b64 vcc, exec, s[8:9]
	s_cbranch_vccz .LBB73_43
; %bb.38:                               ;   in Loop: Header=BB73_37 Depth=2
	v_mov_b32_e32 v3, 0
	v_mov_b32_e32 v7, 0
	;; [unrolled: 1-line block ×6, first 2 shown]
	s_and_saveexec_b64 s[8:9], s[0:1]
	s_cbranch_execz .LBB73_40
; %bb.39:                               ;   in Loop: Header=BB73_37 Depth=2
	v_add_u32_e32 v5, s36, v33
	v_ashrrev_i32_e32 v6, 31, v5
	v_lshlrev_b64 v[5:6], 4, v[5:6]
	v_mov_b32_e32 v7, s25
	v_add_co_u32_e32 v5, vcc, s24, v5
	v_addc_co_u32_e32 v6, vcc, v7, v6, vcc
	global_load_dwordx4 v[7:10], v[5:6], off
.LBB73_40:                              ;   in Loop: Header=BB73_37 Depth=2
	s_or_b64 exec, exec, s[8:9]
	v_mov_b32_e32 v5, 0
	v_mov_b32_e32 v6, 0
	s_and_saveexec_b64 s[8:9], s[2:3]
	s_cbranch_execz .LBB73_42
; %bb.41:                               ;   in Loop: Header=BB73_37 Depth=2
	v_add_u32_e32 v3, s36, v34
	v_ashrrev_i32_e32 v4, 31, v3
	v_lshlrev_b64 v[3:4], 4, v[3:4]
	v_mov_b32_e32 v5, s25
	v_add_co_u32_e32 v3, vcc, s24, v3
	v_addc_co_u32_e32 v4, vcc, v5, v4, vcc
	global_load_dwordx4 v[3:6], v[3:4], off
.LBB73_42:                              ;   in Loop: Header=BB73_37 Depth=2
	s_or_b64 exec, exec, s[8:9]
	s_waitcnt vmcnt(0)
	v_fma_f64 v[17:18], v[7:8], v[3:4], v[18:19]
	v_fma_f64 v[12:13], v[9:10], v[3:4], v[12:13]
	v_fma_f64 v[3:4], v[9:10], v[5:6], v[17:18]
	v_fma_f64 v[5:6], v[7:8], -v[5:6], v[12:13]
.LBB73_43:                              ;   in Loop: Header=BB73_37 Depth=2
	s_add_i32 s36, s36, 1
	v_add_u32_e32 v14, s33, v14
	s_cmp_eq_u32 s33, s36
	v_add_u32_e32 v16, s33, v16
	s_cbranch_scc0 .LBB73_31
.LBB73_44:                              ;   in Loop: Header=BB73_7 Depth=1
	s_add_i32 s8, s35, 1
	s_cmp_eq_u32 s35, s34
	s_cbranch_scc0 .LBB73_28
.LBB73_45:                              ;   in Loop: Header=BB73_7 Depth=1
	s_and_b64 vcc, exec, s[6:7]
	ds_write_b128 v28, v[3:6]
	s_waitcnt lgkmcnt(0)
	s_cbranch_vccnz .LBB73_54
; %bb.46:                               ;   in Loop: Header=BB73_7 Depth=1
	s_mov_b32 s36, 0
	s_mov_b32 s37, 0
	s_branch .LBB73_48
.LBB73_47:                              ;   in Loop: Header=BB73_48 Depth=2
	v_mul_f64 v[17:18], v[12:13], v[12:13]
	s_waitcnt lgkmcnt(0)
	v_add_f64 v[5:6], v[5:6], -v[9:10]
	v_add_f64 v[3:4], v[3:4], -v[7:8]
	s_addk_i32 s36, 0x90
	v_fma_f64 v[17:18], v[14:15], v[14:15], v[17:18]
	v_mul_f64 v[7:8], v[12:13], v[5:6]
	v_mul_f64 v[12:13], v[12:13], -v[3:4]
	v_div_scale_f64 v[33:34], s[8:9], v[17:18], v[17:18], 1.0
	v_fma_f64 v[3:4], v[3:4], v[14:15], v[7:8]
	v_fma_f64 v[5:6], v[5:6], v[14:15], v[12:13]
	v_rcp_f64_e32 v[35:36], v[33:34]
	v_fma_f64 v[37:38], -v[33:34], v[35:36], 1.0
	v_fma_f64 v[35:36], v[35:36], v[37:38], v[35:36]
	v_div_scale_f64 v[37:38], vcc, 1.0, v[17:18], 1.0
	v_fma_f64 v[39:40], -v[33:34], v[35:36], 1.0
	v_fma_f64 v[35:36], v[35:36], v[39:40], v[35:36]
	v_mul_f64 v[39:40], v[37:38], v[35:36]
	v_fma_f64 v[33:34], -v[33:34], v[39:40], v[37:38]
	v_div_fmas_f64 v[9:10], v[33:34], v[35:36], v[39:40]
	v_div_fixup_f64 v[7:8], v[9:10], v[17:18], 1.0
	v_mul_f64 v[3:4], v[7:8], v[3:4]
	v_mul_f64 v[5:6], v[7:8], v[5:6]
	v_lshl_add_u32 v7, s37, 4, v29
	s_add_i32 s37, s37, 1
	s_cmp_eq_u32 s37, s33
	ds_write_b128 v16, v[3:6]
	s_waitcnt lgkmcnt(0)
	ds_read_b128 v[7:10], v7
	ds_read_b128 v[12:15], v20
	s_waitcnt lgkmcnt(0)
	v_fma_f64 v[12:13], v[3:4], v[7:8], v[12:13]
	v_fma_f64 v[7:8], v[5:6], v[7:8], v[14:15]
	;; [unrolled: 1-line block ×3, first 2 shown]
	v_fma_f64 v[7:8], v[3:4], -v[9:10], v[7:8]
	ds_write_b128 v20, v[5:8]
	s_waitcnt lgkmcnt(0)
	s_cbranch_scc1 .LBB73_54
.LBB73_48:                              ;   Parent Loop BB73_7 Depth=1
                                        ; =>  This Loop Header: Depth=2
                                        ;       Child Loop BB73_53 Depth 3
	s_lshl_b32 s34, s37, 4
	s_mul_i32 s8, s37, 0x90
	s_add_i32 s8, s8, s34
	v_mov_b32_e32 v3, s8
	ds_read_b128 v[7:10], v3
	v_add_u32_e32 v16, s34, v22
	ds_read_b128 v[3:6], v16
	s_waitcnt lgkmcnt(1)
	v_cmp_neq_f64_e32 vcc, 0, v[7:8]
	v_cmp_neq_f64_e64 s[8:9], 0, v[9:10]
	s_or_b64 vcc, vcc, s[8:9]
	v_cndmask_b32_e32 v13, 0, v10, vcc
	s_nor_b64 s[34:35], vcc, s[4:5]
	v_cndmask_b32_e32 v12, 0, v9, vcc
	v_cndmask_b32_e32 v15, v31, v8, vcc
	;; [unrolled: 1-line block ×3, first 2 shown]
	s_and_saveexec_b64 s[8:9], s[34:35]
	s_cbranch_execz .LBB73_52
; %bb.49:                               ;   in Loop: Header=BB73_48 Depth=2
	v_mbcnt_lo_u32_b32 v7, exec_lo, 0
	v_mbcnt_hi_u32_b32 v7, exec_hi, v7
	v_cmp_eq_u32_e32 vcc, 0, v7
	s_and_saveexec_b64 s[34:35], vcc
	s_cbranch_execz .LBB73_51
; %bb.50:                               ;   in Loop: Header=BB73_48 Depth=2
	v_mov_b32_e32 v7, s31
	global_atomic_smin v2, v7, s[18:19]
.LBB73_51:                              ;   in Loop: Header=BB73_48 Depth=2
	s_or_b64 exec, exec, s[34:35]
	v_mov_b32_e32 v14, 0
	v_mov_b32_e32 v12, 0
	;; [unrolled: 1-line block ×4, first 2 shown]
.LBB73_52:                              ;   in Loop: Header=BB73_48 Depth=2
	s_or_b64 exec, exec, s[8:9]
	v_lshl_add_u32 v7, s37, 4, v27
	ds_read_b128 v[7:10], v7
	s_cmp_eq_u32 s37, 0
	v_mov_b32_e32 v17, v22
	s_mov_b32 s8, s36
	s_mov_b32 s9, s37
	s_cbranch_scc1 .LBB73_47
.LBB73_53:                              ;   Parent Loop BB73_7 Depth=1
                                        ;     Parent Loop BB73_48 Depth=2
                                        ; =>    This Inner Loop Header: Depth=3
	v_mov_b32_e32 v18, s8
	ds_read_b128 v[33:36], v17
	ds_read_b128 v[37:40], v18
	s_add_i32 s9, s9, -1
	s_add_i32 s8, s8, 16
	s_cmp_eq_u32 s9, 0
	v_add_u32_e32 v17, 16, v17
	s_waitcnt lgkmcnt(0)
	v_fma_f64 v[7:8], v[37:38], v[33:34], v[7:8]
	v_fma_f64 v[9:10], v[39:40], v[33:34], v[9:10]
	;; [unrolled: 1-line block ×3, first 2 shown]
	v_fma_f64 v[9:10], v[37:38], -v[35:36], v[9:10]
	s_cbranch_scc0 .LBB73_53
	s_branch .LBB73_47
.LBB73_54:                              ;   in Loop: Header=BB73_7 Depth=1
	s_and_saveexec_b64 s[8:9], s[28:29]
	s_cbranch_execz .LBB73_6
; %bb.55:                               ;   in Loop: Header=BB73_7 Depth=1
	v_mad_u64_u32 v[7:8], s[34:35], v32, s33, v[11:12]
	ds_read2_b64 v[3:6], v23 offset1:1
	v_mov_b32_e32 v9, s25
	v_ashrrev_i32_e32 v8, 31, v7
	v_lshlrev_b64 v[7:8], 4, v[7:8]
	v_add_co_u32_e32 v7, vcc, s24, v7
	v_addc_co_u32_e32 v8, vcc, v9, v8, vcc
	s_waitcnt lgkmcnt(0)
	global_store_dwordx4 v[7:8], v[3:6], off
	s_branch .LBB73_6
.LBB73_56:                              ;   in Loop: Header=BB73_7 Depth=1
                                        ; implicit-def: $sgpr30
	s_cbranch_execz .LBB73_7
.LBB73_57:
	s_cmp_eq_u32 s42, 0
	v_max_i32_e32 v2, v0, v1
	s_cselect_b64 vcc, -1, 0
	v_cmp_gt_i32_e64 s[0:1], s33, v2
	v_mov_b32_e32 v2, 0
	v_cndmask_b32_e32 v7, v0, v1, vcc
	s_mul_i32 s40, s40, s33
	v_mov_b32_e32 v4, 0
	v_mov_b32_e32 v3, 0
	v_cndmask_b32_e32 v6, v1, v0, vcc
	v_mov_b32_e32 v5, 0
	v_add_u32_e32 v13, s40, v7
	s_and_saveexec_b64 s[2:3], s[0:1]
	s_cbranch_execz .LBB73_59
; %bb.58:
	v_mad_u64_u32 v[2:3], s[4:5], v13, s33, v[6:7]
	v_mov_b32_e32 v4, s25
	v_ashrrev_i32_e32 v3, 31, v2
	v_lshlrev_b64 v[2:3], 4, v[2:3]
	v_add_co_u32_e32 v2, vcc, s24, v2
	v_addc_co_u32_e32 v3, vcc, v4, v3, vcc
	global_load_dwordx4 v[2:5], v[2:3], off
.LBB73_59:
	s_or_b64 exec, exec, s[2:3]
	s_movk_i32 s4, 0x90
	v_mov_b32_e32 v7, 0x900
	v_mad_u32_u24 v15, v1, s4, v7
	s_movk_i32 s20, 0x900
	v_lshl_add_u32 v14, v0, 4, v15
	s_cmp_lt_i32 s33, 1
	s_waitcnt vmcnt(0)
	ds_write_b128 v14, v[2:5]
	s_waitcnt lgkmcnt(0)
	s_cbranch_scc1 .LBB73_76
; %bb.60:
	v_or_b32_e32 v2, v0, v1
	v_cmp_ne_u32_e64 s[2:3], 0, v2
	v_lshlrev_b32_e32 v2, 4, v1
	s_mov_b32 s6, 0
	s_mov_b32 s21, 0
	s_add_i32 s22, s16, s17
	v_add_u32_e32 v16, v15, v2
	v_add_u32_e32 v17, v21, v2
	v_mad_u32_u24 v18, v0, s4, v7
	s_brev_b32 s7, 8
	v_mov_b32_e32 v19, 0x260
	v_mov_b32_e32 v4, 0
	;; [unrolled: 1-line block ×5, first 2 shown]
	s_branch .LBB73_62
.LBB73_61:                              ;   in Loop: Header=BB73_62 Depth=1
	s_or_b64 exec, exec, s[4:5]
	s_add_i32 s21, s21, 1
	s_addk_i32 s20, 0xa0
	v_add_u32_e32 v15, 16, v15
	s_cmp_eq_u32 s33, s21
	v_add_u32_e32 v18, 16, v18
	s_waitcnt lgkmcnt(0)
	s_cbranch_scc1 .LBB73_76
.LBB73_62:                              ; =>This Inner Loop Header: Depth=1
	v_cmp_eq_u32_e32 vcc, s21, v1
	s_and_saveexec_b64 s[4:5], vcc
	s_cbranch_execz .LBB73_70
; %bb.63:                               ;   in Loop: Header=BB73_62 Depth=1
	ds_read_b128 v[7:10], v17
	ds_read_b128 v[24:27], v16
	s_waitcnt lgkmcnt(0)
	v_add_f64 v[2:3], v[24:25], -v[7:8]
	v_add_f64 v[11:12], v[26:27], -v[9:10]
                                        ; implicit-def: $vgpr9_vgpr10
	v_cmp_gt_f64_e32 vcc, 0, v[2:3]
	v_xor_b32_e32 v5, 0x80000000, v3
	v_xor_b32_e32 v7, 0x80000000, v12
	v_cndmask_b32_e32 v3, v3, v5, vcc
	v_cmp_gt_f64_e32 vcc, 0, v[11:12]
	v_cndmask_b32_e32 v8, v12, v7, vcc
	v_mov_b32_e32 v7, v11
	v_cmp_ngt_f64_e32 vcc, v[2:3], v[7:8]
	s_and_saveexec_b64 s[8:9], vcc
	s_xor_b64 s[8:9], exec, s[8:9]
	s_cbranch_execz .LBB73_67
; %bb.64:                               ;   in Loop: Header=BB73_62 Depth=1
	v_cmp_neq_f64_e32 vcc, 0, v[11:12]
	v_mov_b32_e32 v9, 0
	v_mov_b32_e32 v10, 0
	s_and_saveexec_b64 s[12:13], vcc
	s_cbranch_execz .LBB73_66
; %bb.65:                               ;   in Loop: Header=BB73_62 Depth=1
	v_div_scale_f64 v[9:10], s[26:27], v[7:8], v[7:8], v[2:3]
	v_rcp_f64_e32 v[11:12], v[9:10]
	v_fma_f64 v[24:25], -v[9:10], v[11:12], 1.0
	v_fma_f64 v[11:12], v[11:12], v[24:25], v[11:12]
	v_div_scale_f64 v[24:25], vcc, v[2:3], v[7:8], v[2:3]
	v_fma_f64 v[26:27], -v[9:10], v[11:12], 1.0
	v_fma_f64 v[11:12], v[11:12], v[26:27], v[11:12]
	v_mul_f64 v[26:27], v[24:25], v[11:12]
	v_fma_f64 v[9:10], -v[9:10], v[26:27], v[24:25]
	v_div_fmas_f64 v[9:10], v[9:10], v[11:12], v[26:27]
	v_div_fixup_f64 v[2:3], v[9:10], v[7:8], v[2:3]
	v_fma_f64 v[2:3], v[2:3], v[2:3], 1.0
	v_cmp_gt_f64_e32 vcc, s[6:7], v[2:3]
	v_cndmask_b32_e32 v5, 0, v21, vcc
	v_ldexp_f64 v[2:3], v[2:3], v5
	v_cndmask_b32_e32 v5, 0, v22, vcc
	v_rsq_f64_e32 v[9:10], v[2:3]
	v_cmp_class_f64_e32 vcc, v[2:3], v19
	v_mul_f64 v[11:12], v[2:3], v[9:10]
	v_mul_f64 v[9:10], v[9:10], 0.5
	v_fma_f64 v[24:25], -v[9:10], v[11:12], 0.5
	v_fma_f64 v[11:12], v[11:12], v[24:25], v[11:12]
	v_fma_f64 v[9:10], v[9:10], v[24:25], v[9:10]
	v_fma_f64 v[24:25], -v[11:12], v[11:12], v[2:3]
	v_fma_f64 v[11:12], v[24:25], v[9:10], v[11:12]
	v_fma_f64 v[24:25], -v[11:12], v[11:12], v[2:3]
	v_fma_f64 v[9:10], v[24:25], v[9:10], v[11:12]
	v_ldexp_f64 v[9:10], v[9:10], v5
	v_cndmask_b32_e32 v3, v10, v3, vcc
	v_cndmask_b32_e32 v2, v9, v2, vcc
	v_mul_f64 v[9:10], v[7:8], v[2:3]
.LBB73_66:                              ;   in Loop: Header=BB73_62 Depth=1
	s_or_b64 exec, exec, s[12:13]
                                        ; implicit-def: $vgpr2_vgpr3
                                        ; implicit-def: $vgpr7_vgpr8
.LBB73_67:                              ;   in Loop: Header=BB73_62 Depth=1
	s_andn2_saveexec_b64 s[8:9], s[8:9]
	s_cbranch_execz .LBB73_69
; %bb.68:                               ;   in Loop: Header=BB73_62 Depth=1
	v_div_scale_f64 v[9:10], s[12:13], v[2:3], v[2:3], v[7:8]
	v_rcp_f64_e32 v[11:12], v[9:10]
	v_fma_f64 v[24:25], -v[9:10], v[11:12], 1.0
	v_fma_f64 v[11:12], v[11:12], v[24:25], v[11:12]
	v_div_scale_f64 v[24:25], vcc, v[7:8], v[2:3], v[7:8]
	v_fma_f64 v[26:27], -v[9:10], v[11:12], 1.0
	v_fma_f64 v[11:12], v[11:12], v[26:27], v[11:12]
	v_mul_f64 v[26:27], v[24:25], v[11:12]
	v_fma_f64 v[9:10], -v[9:10], v[26:27], v[24:25]
	v_div_fmas_f64 v[9:10], v[9:10], v[11:12], v[26:27]
	v_div_fixup_f64 v[7:8], v[9:10], v[2:3], v[7:8]
	v_fma_f64 v[7:8], v[7:8], v[7:8], 1.0
	v_cmp_gt_f64_e32 vcc, s[6:7], v[7:8]
	v_cndmask_b32_e32 v5, 0, v21, vcc
	v_ldexp_f64 v[7:8], v[7:8], v5
	v_cndmask_b32_e32 v5, 0, v22, vcc
	v_rsq_f64_e32 v[9:10], v[7:8]
	v_cmp_class_f64_e32 vcc, v[7:8], v19
	v_mul_f64 v[11:12], v[7:8], v[9:10]
	v_mul_f64 v[9:10], v[9:10], 0.5
	v_fma_f64 v[24:25], -v[9:10], v[11:12], 0.5
	v_fma_f64 v[11:12], v[11:12], v[24:25], v[11:12]
	v_fma_f64 v[9:10], v[9:10], v[24:25], v[9:10]
	v_fma_f64 v[24:25], -v[11:12], v[11:12], v[7:8]
	v_fma_f64 v[11:12], v[24:25], v[9:10], v[11:12]
	v_fma_f64 v[24:25], -v[11:12], v[11:12], v[7:8]
	v_fma_f64 v[9:10], v[24:25], v[9:10], v[11:12]
	v_ldexp_f64 v[9:10], v[9:10], v5
	v_cndmask_b32_e32 v8, v10, v8, vcc
	v_cndmask_b32_e32 v7, v9, v7, vcc
	v_mul_f64 v[9:10], v[2:3], v[7:8]
.LBB73_69:                              ;   in Loop: Header=BB73_62 Depth=1
	s_or_b64 exec, exec, s[8:9]
	v_cmp_gt_f64_e32 vcc, s[6:7], v[9:10]
	v_cndmask_b32_e32 v2, 0, v21, vcc
	v_ldexp_f64 v[2:3], v[9:10], v2
	v_cndmask_b32_e32 v5, 0, v22, vcc
	v_rsq_f64_e32 v[7:8], v[2:3]
	v_cmp_class_f64_e32 vcc, v[2:3], v19
	v_mul_f64 v[9:10], v[2:3], v[7:8]
	v_mul_f64 v[7:8], v[7:8], 0.5
	v_fma_f64 v[11:12], -v[7:8], v[9:10], 0.5
	v_fma_f64 v[9:10], v[9:10], v[11:12], v[9:10]
	v_fma_f64 v[7:8], v[7:8], v[11:12], v[7:8]
	v_fma_f64 v[11:12], -v[9:10], v[9:10], v[2:3]
	v_fma_f64 v[9:10], v[11:12], v[7:8], v[9:10]
	v_fma_f64 v[11:12], -v[9:10], v[9:10], v[2:3]
	v_fma_f64 v[7:8], v[11:12], v[7:8], v[9:10]
	v_ldexp_f64 v[7:8], v[7:8], v5
	v_mov_b32_e32 v5, v4
	v_cndmask_b32_e32 v3, v8, v3, vcc
	v_cndmask_b32_e32 v2, v7, v2, vcc
	ds_write_b128 v16, v[2:5]
.LBB73_70:                              ;   in Loop: Header=BB73_62 Depth=1
	s_or_b64 exec, exec, s[4:5]
	v_mov_b32_e32 v2, s20
	s_waitcnt lgkmcnt(0)
	ds_read_b128 v[7:10], v2
	s_waitcnt lgkmcnt(0)
	v_cmp_neq_f64_e32 vcc, 0, v[7:8]
	v_cmp_neq_f64_e64 s[4:5], 0, v[9:10]
	s_or_b64 vcc, vcc, s[4:5]
	v_cndmask_b32_e32 v3, 0, v10, vcc
	s_nor_b64 s[8:9], vcc, s[2:3]
	v_cndmask_b32_e32 v2, 0, v9, vcc
	v_cndmask_b32_e32 v8, v23, v8, vcc
	;; [unrolled: 1-line block ×3, first 2 shown]
	s_and_saveexec_b64 s[4:5], s[8:9]
	s_cbranch_execz .LBB73_74
; %bb.71:                               ;   in Loop: Header=BB73_62 Depth=1
	v_mbcnt_lo_u32_b32 v2, exec_lo, 0
	v_mbcnt_hi_u32_b32 v2, exec_hi, v2
	v_cmp_eq_u32_e32 vcc, 0, v2
	s_and_saveexec_b64 s[8:9], vcc
	s_cbranch_execz .LBB73_73
; %bb.72:                               ;   in Loop: Header=BB73_62 Depth=1
	v_mov_b32_e32 v2, s22
	global_atomic_smin v4, v2, s[18:19]
.LBB73_73:                              ;   in Loop: Header=BB73_62 Depth=1
	s_or_b64 exec, exec, s[8:9]
	v_mov_b32_e32 v7, 0
	v_mov_b32_e32 v2, 0
	v_mov_b32_e32 v8, 0x3ff00000
	v_mov_b32_e32 v3, 0
.LBB73_74:                              ;   in Loop: Header=BB73_62 Depth=1
	s_or_b64 exec, exec, s[4:5]
	v_cmp_lt_u32_e32 vcc, s21, v1
	s_and_saveexec_b64 s[4:5], vcc
	s_cbranch_execz .LBB73_61
; %bb.75:                               ;   in Loop: Header=BB73_62 Depth=1
	v_mul_f64 v[9:10], v[2:3], v[2:3]
	v_fma_f64 v[28:29], v[7:8], v[7:8], v[9:10]
	v_div_scale_f64 v[9:10], s[8:9], v[28:29], v[28:29], 1.0
	v_rcp_f64_e32 v[11:12], v[9:10]
	v_fma_f64 v[24:25], -v[9:10], v[11:12], 1.0
	v_fma_f64 v[11:12], v[11:12], v[24:25], v[11:12]
	v_div_scale_f64 v[24:25], vcc, 1.0, v[28:29], 1.0
	v_fma_f64 v[26:27], -v[9:10], v[11:12], 1.0
	v_fma_f64 v[30:31], v[11:12], v[26:27], v[11:12]
	v_mul_f64 v[32:33], v[24:25], v[30:31]
	v_fma_f64 v[34:35], -v[9:10], v[32:33], v[24:25]
	ds_read_b128 v[9:12], v15
	ds_read_b128 v[24:27], v15 offset:1152
	s_waitcnt lgkmcnt(0)
	v_add_f64 v[11:12], v[11:12], -v[26:27]
	v_add_f64 v[9:10], v[9:10], -v[24:25]
	v_div_fmas_f64 v[26:27], v[34:35], v[30:31], v[32:33]
	v_mul_f64 v[24:25], v[2:3], v[11:12]
	v_mul_f64 v[2:3], v[2:3], -v[9:10]
	v_fma_f64 v[9:10], v[9:10], v[7:8], v[24:25]
	v_fma_f64 v[2:3], v[11:12], v[7:8], v[2:3]
	v_div_fixup_f64 v[24:25], v[26:27], v[28:29], 1.0
	v_mul_f64 v[7:8], v[24:25], v[9:10]
	v_mul_f64 v[9:10], v[24:25], v[2:3]
	ds_write_b128 v15, v[7:10]
	s_waitcnt lgkmcnt(0)
	ds_read_b128 v[24:27], v18
	ds_read_b128 v[28:31], v20
	s_waitcnt lgkmcnt(0)
	v_fma_f64 v[2:3], v[7:8], v[24:25], v[28:29]
	v_fma_f64 v[11:12], v[9:10], v[24:25], v[30:31]
	;; [unrolled: 1-line block ×3, first 2 shown]
	v_fma_f64 v[11:12], v[7:8], -v[26:27], v[11:12]
	ds_write_b128 v20, v[9:12]
	s_branch .LBB73_61
.LBB73_76:
	s_and_saveexec_b64 s[2:3], s[0:1]
	s_cbranch_execz .LBB73_78
; %bb.77:
	v_mad_u64_u32 v[6:7], s[0:1], v13, s33, v[6:7]
	ds_read2_b64 v[2:5], v14 offset1:1
	v_mov_b32_e32 v8, s25
	v_ashrrev_i32_e32 v7, 31, v6
	v_lshlrev_b64 v[6:7], 4, v[6:7]
	v_add_co_u32_e32 v6, vcc, s24, v6
	v_addc_co_u32_e32 v7, vcc, v8, v7, vcc
	s_waitcnt lgkmcnt(0)
	global_store_dwordx4 v[6:7], v[2:5], off
.LBB73_78:
	s_or_b64 exec, exec, s[2:3]
	v_or_b32_e32 v2, v0, v1
	v_cmp_eq_u32_e32 vcc, 0, v2
	s_and_saveexec_b64 s[0:1], vcc
	s_cbranch_execz .LBB73_80
; %bb.79:
	s_add_u32 s2, s14, s10
	s_addc_u32 s3, s15, s11
	v_mov_b32_e32 v2, 0
	v_mov_b32_e32 v3, 1
	s_waitcnt vmcnt(0)
	global_store_dword v2, v3, s[2:3]
.LBB73_80:
	s_or_b64 exec, exec, s[0:1]
.LBB73_81:
	s_endpgm
.LBB73_82:
	s_cbranch_execz .LBB73_81
; %bb.83:
	v_or_b32_e32 v0, v0, v1
	v_cmp_eq_u32_e32 vcc, 0, v0
	s_and_saveexec_b64 s[0:1], vcc
	s_cbranch_execz .LBB73_81
; %bb.84:
	v_mbcnt_lo_u32_b32 v0, exec_lo, 0
	v_mbcnt_hi_u32_b32 v0, exec_hi, v0
	v_cmp_eq_u32_e32 vcc, 0, v0
	s_and_saveexec_b64 s[0:1], vcc
	s_cbranch_execz .LBB73_86
; %bb.85:
	s_add_i32 s2, s16, s17
	v_mov_b32_e32 v0, 0
	v_mov_b32_e32 v1, s2
	global_atomic_smin v0, v1, s[18:19]
.LBB73_86:
	s_or_b64 exec, exec, s[0:1]
	s_add_u32 s0, s14, s10
	s_addc_u32 s1, s15, s11
	v_mov_b32_e32 v0, 0
	v_mov_b32_e32 v1, 1
	s_waitcnt vmcnt(0)
	global_store_dword v0, v1, s[0:1]
	s_endpgm
	.section	.rodata,"a",@progbits
	.p2align	6, 0x0
	.amdhsa_kernel _ZN9rocsparseL17bsric0_2_8_kernelILi64ELi128ELi8E21rocsparse_complex_numIdEEEv20rocsparse_direction_iiPKiS5_PT2_S5_PiS5_S8_21rocsparse_index_base_
		.amdhsa_group_segment_fixed_size 6144
		.amdhsa_private_segment_fixed_size 0
		.amdhsa_kernarg_size 76
		.amdhsa_user_sgpr_count 6
		.amdhsa_user_sgpr_private_segment_buffer 1
		.amdhsa_user_sgpr_dispatch_ptr 0
		.amdhsa_user_sgpr_queue_ptr 0
		.amdhsa_user_sgpr_kernarg_segment_ptr 1
		.amdhsa_user_sgpr_dispatch_id 0
		.amdhsa_user_sgpr_flat_scratch_init 0
		.amdhsa_user_sgpr_private_segment_size 0
		.amdhsa_uses_dynamic_stack 0
		.amdhsa_system_sgpr_private_segment_wavefront_offset 0
		.amdhsa_system_sgpr_workgroup_id_x 1
		.amdhsa_system_sgpr_workgroup_id_y 0
		.amdhsa_system_sgpr_workgroup_id_z 0
		.amdhsa_system_sgpr_workgroup_info 0
		.amdhsa_system_vgpr_workitem_id 1
		.amdhsa_next_free_vgpr 65
		.amdhsa_next_free_sgpr 98
		.amdhsa_reserve_vcc 1
		.amdhsa_reserve_flat_scratch 0
		.amdhsa_float_round_mode_32 0
		.amdhsa_float_round_mode_16_64 0
		.amdhsa_float_denorm_mode_32 3
		.amdhsa_float_denorm_mode_16_64 3
		.amdhsa_dx10_clamp 1
		.amdhsa_ieee_mode 1
		.amdhsa_fp16_overflow 0
		.amdhsa_exception_fp_ieee_invalid_op 0
		.amdhsa_exception_fp_denorm_src 0
		.amdhsa_exception_fp_ieee_div_zero 0
		.amdhsa_exception_fp_ieee_overflow 0
		.amdhsa_exception_fp_ieee_underflow 0
		.amdhsa_exception_fp_ieee_inexact 0
		.amdhsa_exception_int_div_zero 0
	.end_amdhsa_kernel
	.section	.text._ZN9rocsparseL17bsric0_2_8_kernelILi64ELi128ELi8E21rocsparse_complex_numIdEEEv20rocsparse_direction_iiPKiS5_PT2_S5_PiS5_S8_21rocsparse_index_base_,"axG",@progbits,_ZN9rocsparseL17bsric0_2_8_kernelILi64ELi128ELi8E21rocsparse_complex_numIdEEEv20rocsparse_direction_iiPKiS5_PT2_S5_PiS5_S8_21rocsparse_index_base_,comdat
.Lfunc_end73:
	.size	_ZN9rocsparseL17bsric0_2_8_kernelILi64ELi128ELi8E21rocsparse_complex_numIdEEEv20rocsparse_direction_iiPKiS5_PT2_S5_PiS5_S8_21rocsparse_index_base_, .Lfunc_end73-_ZN9rocsparseL17bsric0_2_8_kernelILi64ELi128ELi8E21rocsparse_complex_numIdEEEv20rocsparse_direction_iiPKiS5_PT2_S5_PiS5_S8_21rocsparse_index_base_
                                        ; -- End function
	.set _ZN9rocsparseL17bsric0_2_8_kernelILi64ELi128ELi8E21rocsparse_complex_numIdEEEv20rocsparse_direction_iiPKiS5_PT2_S5_PiS5_S8_21rocsparse_index_base_.num_vgpr, 41
	.set _ZN9rocsparseL17bsric0_2_8_kernelILi64ELi128ELi8E21rocsparse_complex_numIdEEEv20rocsparse_direction_iiPKiS5_PT2_S5_PiS5_S8_21rocsparse_index_base_.num_agpr, 0
	.set _ZN9rocsparseL17bsric0_2_8_kernelILi64ELi128ELi8E21rocsparse_complex_numIdEEEv20rocsparse_direction_iiPKiS5_PT2_S5_PiS5_S8_21rocsparse_index_base_.numbered_sgpr, 50
	.set _ZN9rocsparseL17bsric0_2_8_kernelILi64ELi128ELi8E21rocsparse_complex_numIdEEEv20rocsparse_direction_iiPKiS5_PT2_S5_PiS5_S8_21rocsparse_index_base_.num_named_barrier, 0
	.set _ZN9rocsparseL17bsric0_2_8_kernelILi64ELi128ELi8E21rocsparse_complex_numIdEEEv20rocsparse_direction_iiPKiS5_PT2_S5_PiS5_S8_21rocsparse_index_base_.private_seg_size, 0
	.set _ZN9rocsparseL17bsric0_2_8_kernelILi64ELi128ELi8E21rocsparse_complex_numIdEEEv20rocsparse_direction_iiPKiS5_PT2_S5_PiS5_S8_21rocsparse_index_base_.uses_vcc, 1
	.set _ZN9rocsparseL17bsric0_2_8_kernelILi64ELi128ELi8E21rocsparse_complex_numIdEEEv20rocsparse_direction_iiPKiS5_PT2_S5_PiS5_S8_21rocsparse_index_base_.uses_flat_scratch, 0
	.set _ZN9rocsparseL17bsric0_2_8_kernelILi64ELi128ELi8E21rocsparse_complex_numIdEEEv20rocsparse_direction_iiPKiS5_PT2_S5_PiS5_S8_21rocsparse_index_base_.has_dyn_sized_stack, 0
	.set _ZN9rocsparseL17bsric0_2_8_kernelILi64ELi128ELi8E21rocsparse_complex_numIdEEEv20rocsparse_direction_iiPKiS5_PT2_S5_PiS5_S8_21rocsparse_index_base_.has_recursion, 0
	.set _ZN9rocsparseL17bsric0_2_8_kernelILi64ELi128ELi8E21rocsparse_complex_numIdEEEv20rocsparse_direction_iiPKiS5_PT2_S5_PiS5_S8_21rocsparse_index_base_.has_indirect_call, 0
	.section	.AMDGPU.csdata,"",@progbits
; Kernel info:
; codeLenInByte = 3928
; TotalNumSgprs: 54
; NumVgprs: 41
; ScratchSize: 0
; MemoryBound: 1
; FloatMode: 240
; IeeeMode: 1
; LDSByteSize: 6144 bytes/workgroup (compile time only)
; SGPRBlocks: 12
; VGPRBlocks: 16
; NumSGPRsForWavesPerEU: 102
; NumVGPRsForWavesPerEU: 65
; Occupancy: 3
; WaveLimiterHint : 1
; COMPUTE_PGM_RSRC2:SCRATCH_EN: 0
; COMPUTE_PGM_RSRC2:USER_SGPR: 6
; COMPUTE_PGM_RSRC2:TRAP_HANDLER: 0
; COMPUTE_PGM_RSRC2:TGID_X_EN: 1
; COMPUTE_PGM_RSRC2:TGID_Y_EN: 0
; COMPUTE_PGM_RSRC2:TGID_Z_EN: 0
; COMPUTE_PGM_RSRC2:TIDIG_COMP_CNT: 1
	.section	.text._ZN9rocsparseL18bsric0_9_16_kernelILi64ELi128ELi16E21rocsparse_complex_numIdEEEv20rocsparse_direction_iiPKiS5_PT2_S5_PiS5_S8_21rocsparse_index_base_,"axG",@progbits,_ZN9rocsparseL18bsric0_9_16_kernelILi64ELi128ELi16E21rocsparse_complex_numIdEEEv20rocsparse_direction_iiPKiS5_PT2_S5_PiS5_S8_21rocsparse_index_base_,comdat
	.globl	_ZN9rocsparseL18bsric0_9_16_kernelILi64ELi128ELi16E21rocsparse_complex_numIdEEEv20rocsparse_direction_iiPKiS5_PT2_S5_PiS5_S8_21rocsparse_index_base_ ; -- Begin function _ZN9rocsparseL18bsric0_9_16_kernelILi64ELi128ELi16E21rocsparse_complex_numIdEEEv20rocsparse_direction_iiPKiS5_PT2_S5_PiS5_S8_21rocsparse_index_base_
	.p2align	8
	.type	_ZN9rocsparseL18bsric0_9_16_kernelILi64ELi128ELi16E21rocsparse_complex_numIdEEEv20rocsparse_direction_iiPKiS5_PT2_S5_PiS5_S8_21rocsparse_index_base_,@function
_ZN9rocsparseL18bsric0_9_16_kernelILi64ELi128ELi16E21rocsparse_complex_numIdEEEv20rocsparse_direction_iiPKiS5_PT2_S5_PiS5_S8_21rocsparse_index_base_: ; @_ZN9rocsparseL18bsric0_9_16_kernelILi64ELi128ELi16E21rocsparse_complex_numIdEEEv20rocsparse_direction_iiPKiS5_PT2_S5_PiS5_S8_21rocsparse_index_base_
; %bb.0:
	s_load_dwordx8 s[8:15], s[4:5], 0x28
	s_mov_b32 s7, 0
	s_lshl_b64 s[0:1], s[6:7], 2
	s_waitcnt lgkmcnt(0)
	s_add_u32 s0, s12, s0
	s_addc_u32 s1, s13, s1
	s_load_dword s20, s[0:1], 0x0
	s_waitcnt lgkmcnt(0)
	s_ashr_i32 s21, s20, 31
	s_lshl_b64 s[12:13], s[20:21], 2
	s_add_u32 s0, s8, s12
	s_addc_u32 s1, s9, s13
	s_load_dword s33, s[0:1], 0x0
	s_load_dword s21, s[4:5], 0x48
	s_waitcnt lgkmcnt(0)
	s_cmp_lg_u32 s33, -1
	s_cbranch_scc0 .LBB74_134
; %bb.1:
	s_load_dwordx4 s[16:19], s[4:5], 0x10
	s_load_dwordx2 s[22:23], s[4:5], 0x20
	v_lshlrev_b32_e32 v2, 2, v1
	s_waitcnt lgkmcnt(0)
	s_add_u32 s0, s16, s12
	s_addc_u32 s1, s17, s13
	s_load_dword s0, s[0:1], 0x0
	s_waitcnt lgkmcnt(0)
	s_sub_i32 s46, s0, s21
	v_add3_u32 v2, v2, v0, s46
	v_cmp_ge_i32_e32 vcc, s33, v2
	s_and_saveexec_b64 s[0:1], vcc
	s_cbranch_execz .LBB74_4
; %bb.2:
	v_lshlrev_b32_e32 v3, 2, v0
	v_lshl_add_u32 v3, v1, 4, v3
	v_or_b32_e32 v4, 0x4800, v3
	s_mov_b64 s[2:3], 0
	v_mov_b32_e32 v5, s19
.LBB74_3:                               ; =>This Inner Loop Header: Depth=1
	v_ashrrev_i32_e32 v3, 31, v2
	v_lshlrev_b64 v[6:7], 2, v[2:3]
	v_add_u32_e32 v2, 64, v2
	v_add_co_u32_e32 v6, vcc, s18, v6
	v_addc_co_u32_e32 v7, vcc, v5, v7, vcc
	global_load_dword v3, v[6:7], off
	v_cmp_lt_i32_e32 vcc, s33, v2
	s_or_b64 s[2:3], vcc, s[2:3]
	s_waitcnt vmcnt(0)
	v_subrev_u32_e32 v3, s21, v3
	ds_write_b32 v4, v3
	v_add_u32_e32 v4, 0x100, v4
	s_andn2_b64 exec, exec, s[2:3]
	s_cbranch_execnz .LBB74_3
.LBB74_4:
	s_or_b64 exec, exec, s[0:1]
	v_cmp_gt_u32_e32 vcc, 16, v0
	v_lshlrev_b32_e32 v19, 4, v0
	s_and_saveexec_b64 s[0:1], vcc
	s_cbranch_execz .LBB74_7
; %bb.5:
	v_mul_u32_u24_e32 v2, 0x110, v1
	s_movk_i32 s2, 0x3300
	v_add3_u32 v7, v2, v19, s2
	v_mov_b32_e32 v2, 0
	v_add_u32_e32 v6, -4, v0
	s_mov_b64 s[2:3], 0
	v_mov_b32_e32 v3, v2
	v_mov_b32_e32 v4, v2
	;; [unrolled: 1-line block ×3, first 2 shown]
.LBB74_6:                               ; =>This Inner Loop Header: Depth=1
	v_add_u32_e32 v6, 4, v6
	v_cmp_lt_u32_e32 vcc, 11, v6
	ds_write_b128 v7, v[2:5]
	s_or_b64 s[2:3], vcc, s[2:3]
	v_add_u32_e32 v7, 64, v7
	s_andn2_b64 exec, exec, s[2:3]
	s_cbranch_execnz .LBB74_6
.LBB74_7:
	s_or_b64 exec, exec, s[0:1]
	s_load_dword s44, s[4:5], 0x8
	s_load_dword s45, s[4:5], 0x0
	s_cmp_ge_i32 s46, s33
	s_waitcnt lgkmcnt(0)
	v_cmp_gt_i32_e64 s[0:1], s44, v0
	s_cbranch_scc1 .LBB74_89
; %bb.8:
	s_movk_i32 s6, 0x110
	v_mov_b32_e32 v3, 0x1100
	v_mad_u32_u24 v21, v1, s6, v3
	v_or_b32_e32 v3, v0, v1
	s_mul_i32 s7, s44, s46
	v_cmp_ne_u32_e64 s[4:5], 0, v3
	v_add_u32_e32 v3, s7, v1
	v_mul_lo_u32 v22, s44, v1
	v_mul_lo_u32 v26, s44, v3
	;; [unrolled: 1-line block ×3, first 2 shown]
	s_cmp_lg_u32 s45, 0
	s_cselect_b64 s[24:25], -1, 0
	v_mov_b32_e32 v2, 0x2200
	s_cmp_gt_i32 s44, 0
	v_mad_u32_u24 v23, v1, s6, v19
	v_cmp_gt_i32_e64 s[2:3], s44, v1
	v_mad_u32_u24 v20, v1, s6, v2
	s_mul_i32 s47, s44, s44
	s_cselect_b64 s[26:27], -1, 0
	v_add_u32_e32 v24, 0x1100, v23
	s_lshl_b32 s48, s44, 2
	v_add_u32_e32 v27, 0x3300, v23
	v_mad_u32_u24 v28, v0, s6, v2
	v_add_u32_e32 v29, 0x2200, v23
	v_mov_b32_e32 v2, 0
	v_mov_b32_e32 v30, 0x3ff00000
	s_mov_b32 s28, s46
	s_branch .LBB74_10
.LBB74_9:                               ;   in Loop: Header=BB74_10 Depth=1
	s_or_b64 exec, exec, s[6:7]
	s_add_i32 s28, s28, 1
	s_cmp_ge_i32 s28, s33
	s_waitcnt vmcnt(0)
	buffer_wbinvl1_vol
	v_add_u32_e32 v26, s47, v26
	s_cselect_b64 s[6:7], -1, 0
	s_and_b64 vcc, exec, s[6:7]
	s_cbranch_vccnz .LBB74_89
.LBB74_10:                              ; =>This Loop Header: Depth=1
                                        ;     Child Loop BB74_14 Depth 2
                                        ;     Child Loop BB74_26 Depth 2
	;; [unrolled: 1-line block ×5, first 2 shown]
                                        ;       Child Loop BB74_56 Depth 3
                                        ;     Child Loop BB74_70 Depth 2
                                        ;       Child Loop BB74_75 Depth 3
                                        ;       Child Loop BB74_78 Depth 3
                                        ;     Child Loop BB74_84 Depth 2
	s_ashr_i32 s29, s28, 31
	s_lshl_b64 s[6:7], s[28:29], 2
	s_add_u32 s6, s18, s6
	s_addc_u32 s7, s19, s7
	s_load_dword s49, s[6:7], 0x0
	s_waitcnt lgkmcnt(0)
	s_sub_i32 s30, s49, s21
	s_ashr_i32 s31, s30, 31
	s_lshl_b64 s[6:7], s[30:31], 2
	s_add_u32 s34, s8, s6
	s_addc_u32 s35, s9, s7
	s_load_dword s31, s[34:35], 0x0
	s_waitcnt lgkmcnt(0)
	s_cmp_eq_u32 s31, -1
	s_cbranch_scc1 .LBB74_88
; %bb.11:                               ;   in Loop: Header=BB74_10 Depth=1
	s_add_u32 s34, s16, s6
	s_addc_u32 s35, s17, s7
	s_load_dword s50, s[34:35], 0x0
	s_mul_i32 s29, s28, s44
	s_and_saveexec_b64 s[34:35], s[0:1]
	s_cbranch_execz .LBB74_24
; %bb.12:                               ;   in Loop: Header=BB74_10 Depth=1
	s_mov_b64 s[36:37], 0
	v_mov_b32_e32 v9, v24
	v_mov_b32_e32 v10, v0
	s_branch .LBB74_14
.LBB74_13:                              ;   in Loop: Header=BB74_14 Depth=2
	s_or_b64 exec, exec, s[40:41]
	v_add_u32_e32 v10, 4, v10
	s_waitcnt vmcnt(0)
	ds_write_b128 v9, v[3:6] offset:4352
	v_mov_b32_e32 v3, v2
	v_mov_b32_e32 v4, v2
	;; [unrolled: 1-line block ×3, first 2 shown]
	v_cmp_le_i32_e32 vcc, s44, v10
	ds_write_b128 v9, v[2:5]
	s_or_b64 s[36:37], vcc, s[36:37]
	v_add_u32_e32 v9, 64, v9
	s_andn2_b64 exec, exec, s[36:37]
	s_cbranch_execz .LBB74_24
.LBB74_14:                              ;   Parent Loop BB74_10 Depth=1
                                        ; =>  This Inner Loop Header: Depth=2
	s_and_b64 vcc, exec, s[24:25]
	s_cbranch_vccz .LBB74_18
; %bb.15:                               ;   in Loop: Header=BB74_14 Depth=2
	s_mov_b64 s[40:41], 0
	s_mov_b64 s[38:39], 0
                                        ; implicit-def: $vgpr7
	s_and_saveexec_b64 s[42:43], s[2:3]
	s_xor_b64 s[42:43], exec, s[42:43]
; %bb.16:                               ;   in Loop: Header=BB74_14 Depth=2
	v_add_u32_e32 v3, s29, v10
	s_mov_b64 s[38:39], exec
	v_mad_u64_u32 v[7:8], s[52:53], v3, s44, v[1:2]
; %bb.17:                               ;   in Loop: Header=BB74_14 Depth=2
	s_or_b64 exec, exec, s[42:43]
	s_and_b64 vcc, exec, s[40:41]
	s_cbranch_vccnz .LBB74_19
	s_branch .LBB74_22
.LBB74_18:                              ;   in Loop: Header=BB74_14 Depth=2
	s_mov_b64 s[38:39], 0
                                        ; implicit-def: $vgpr7
	s_cbranch_execz .LBB74_22
.LBB74_19:                              ;   in Loop: Header=BB74_14 Depth=2
                                        ; implicit-def: $vgpr7
	s_and_saveexec_b64 s[40:41], s[2:3]
; %bb.20:                               ;   in Loop: Header=BB74_14 Depth=2
	v_add_u32_e32 v7, v26, v10
	s_or_b64 s[38:39], s[38:39], exec
; %bb.21:                               ;   in Loop: Header=BB74_14 Depth=2
	s_or_b64 exec, exec, s[40:41]
.LBB74_22:                              ;   in Loop: Header=BB74_14 Depth=2
	v_mov_b32_e32 v3, 0
	v_mov_b32_e32 v5, 0
	;; [unrolled: 1-line block ×4, first 2 shown]
	s_and_saveexec_b64 s[40:41], s[38:39]
	s_cbranch_execz .LBB74_13
; %bb.23:                               ;   in Loop: Header=BB74_14 Depth=2
	v_ashrrev_i32_e32 v8, 31, v7
	v_lshlrev_b64 v[3:4], 4, v[7:8]
	v_mov_b32_e32 v5, s23
	v_add_co_u32_e32 v3, vcc, s22, v3
	v_addc_co_u32_e32 v4, vcc, v5, v4, vcc
	global_load_dwordx4 v[3:6], v[3:4], off
	s_branch .LBB74_13
.LBB74_24:                              ;   in Loop: Header=BB74_10 Depth=1
	s_or_b64 exec, exec, s[34:35]
	ds_read_b32 v3, v2 offset:18432
	s_waitcnt lgkmcnt(0)
	s_sub_i32 s34, s50, s21
	s_cmp_le_i32 s34, s31
	s_cselect_b64 s[36:37], -1, 0
	s_mov_b32 s40, 0
	v_cmp_ge_i32_e32 vcc, s30, v3
	s_and_b64 s[36:37], s[36:37], vcc
	s_andn2_b64 vcc, exec, s[36:37]
	s_cbranch_vccnz .LBB74_36
; %bb.25:                               ;   in Loop: Header=BB74_10 Depth=1
	s_mov_b32 s38, 0
	s_mov_b32 s39, 0
.LBB74_26:                              ;   Parent Loop BB74_10 Depth=1
                                        ; =>  This Inner Loop Header: Depth=2
	s_ashr_i32 s35, s34, 31
	s_lshl_b64 s[36:37], s[34:35], 2
	s_add_u32 s36, s18, s36
	s_addc_u32 s37, s19, s37
	s_load_dword s35, s[36:37], 0x0
	s_lshl_b32 s36, s39, 2
	v_mov_b32_e32 v3, s36
	ds_read_b32 v3, v3 offset:18432
	s_mov_b64 s[36:37], -1
	s_waitcnt lgkmcnt(0)
	s_sub_i32 s43, s35, s21
                                        ; implicit-def: $sgpr40
                                        ; implicit-def: $sgpr42
                                        ; implicit-def: $sgpr41
	v_cmp_ge_i32_e32 vcc, s43, v3
	v_readfirstlane_b32 s35, v3
	s_cbranch_vccz .LBB74_32
; %bb.27:                               ;   in Loop: Header=BB74_26 Depth=2
	s_cmp_le_i32 s43, s35
                                        ; implicit-def: $sgpr40
                                        ; implicit-def: $sgpr42
                                        ; implicit-def: $sgpr41
	s_cbranch_scc0 .LBB74_29
; %bb.28:                               ;   in Loop: Header=BB74_26 Depth=2
	s_add_i32 s36, s39, s46
	s_mul_i32 s36, s36, s47
	s_lshl_b32 s37, s38, 2
	v_mov_b32_e32 v4, s36
	s_mul_i32 s36, s34, s47
	v_mov_b32_e32 v3, s37
	v_mov_b32_e32 v5, s36
	ds_write2st64_b32 v3, v5, v4 offset0:68 offset1:70
	s_add_i32 s41, s39, 1
	s_add_i32 s42, s34, 1
	;; [unrolled: 1-line block ×3, first 2 shown]
	s_mov_b64 s[36:37], 0
.LBB74_29:                              ;   in Loop: Header=BB74_26 Depth=2
	s_andn2_b64 vcc, exec, s[36:37]
	s_cbranch_vccnz .LBB74_31
; %bb.30:                               ;   in Loop: Header=BB74_26 Depth=2
	s_add_i32 s41, s39, 1
	s_mov_b32 s40, s38
	s_mov_b32 s42, s34
.LBB74_31:                              ;   in Loop: Header=BB74_26 Depth=2
	s_mov_b64 s[36:37], 0
.LBB74_32:                              ;   in Loop: Header=BB74_26 Depth=2
	s_andn2_b64 vcc, exec, s[36:37]
	s_cbranch_vccnz .LBB74_34
; %bb.33:                               ;   in Loop: Header=BB74_26 Depth=2
	s_add_i32 s42, s34, 1
	s_mov_b32 s41, s39
	s_mov_b32 s40, s38
.LBB74_34:                              ;   in Loop: Header=BB74_26 Depth=2
	s_cmp_le_i32 s42, s31
	s_cselect_b64 s[36:37], -1, 0
	s_cmp_le_i32 s35, s30
	s_cselect_b64 s[34:35], -1, 0
	s_and_b64 s[34:35], s[36:37], s[34:35]
	s_and_b64 vcc, exec, s[34:35]
	s_cbranch_vccz .LBB74_36
; %bb.35:                               ;   in Loop: Header=BB74_26 Depth=2
	s_mov_b32 s38, s40
	s_mov_b32 s34, s42
	;; [unrolled: 1-line block ×3, first 2 shown]
	s_branch .LBB74_26
.LBB74_36:                              ;   in Loop: Header=BB74_10 Depth=1
	s_add_u32 s6, s10, s6
	s_addc_u32 s7, s11, s7
	s_waitcnt lgkmcnt(0)
.LBB74_37:                              ;   Parent Loop BB74_10 Depth=1
                                        ; =>  This Inner Loop Header: Depth=2
	global_load_dword v3, v2, s[6:7] glc
	s_waitcnt vmcnt(0)
	v_cmp_eq_u32_e32 vcc, 0, v3
	s_cbranch_vccnz .LBB74_37
; %bb.38:                               ;   in Loop: Header=BB74_10 Depth=1
	buffer_wbinvl1_vol
	s_and_saveexec_b64 s[6:7], s[0:1]
	s_cbranch_execz .LBB74_51
; %bb.39:                               ;   in Loop: Header=BB74_10 Depth=1
	s_mul_i32 s41, s31, s44
	v_add_u32_e32 v3, s41, v1
	v_mul_lo_u32 v9, v3, s44
	s_mov_b64 s[30:31], 0
	v_mov_b32_e32 v10, v23
	v_mov_b32_e32 v11, v0
	s_branch .LBB74_41
.LBB74_40:                              ;   in Loop: Header=BB74_41 Depth=2
	s_or_b64 exec, exec, s[36:37]
	v_add_u32_e32 v11, 4, v11
	v_cmp_le_i32_e32 vcc, s44, v11
	s_waitcnt vmcnt(0)
	ds_write_b128 v10, v[3:6]
	s_or_b64 s[30:31], vcc, s[30:31]
	v_add_u32_e32 v10, 64, v10
	s_andn2_b64 exec, exec, s[30:31]
	s_cbranch_execz .LBB74_51
.LBB74_41:                              ;   Parent Loop BB74_10 Depth=1
                                        ; =>  This Inner Loop Header: Depth=2
	s_and_b64 vcc, exec, s[24:25]
	s_cbranch_vccz .LBB74_45
; %bb.42:                               ;   in Loop: Header=BB74_41 Depth=2
	s_mov_b64 s[36:37], 0
	s_mov_b64 s[34:35], 0
                                        ; implicit-def: $vgpr7
	s_and_saveexec_b64 s[38:39], s[2:3]
	s_xor_b64 s[38:39], exec, s[38:39]
; %bb.43:                               ;   in Loop: Header=BB74_41 Depth=2
	v_add_u32_e32 v3, s41, v11
	s_mov_b64 s[34:35], exec
	v_mad_u64_u32 v[7:8], s[42:43], v3, s44, v[1:2]
; %bb.44:                               ;   in Loop: Header=BB74_41 Depth=2
	s_or_b64 exec, exec, s[38:39]
	s_and_b64 vcc, exec, s[36:37]
	s_cbranch_vccnz .LBB74_46
	s_branch .LBB74_49
.LBB74_45:                              ;   in Loop: Header=BB74_41 Depth=2
	s_mov_b64 s[34:35], 0
                                        ; implicit-def: $vgpr7
	s_cbranch_execz .LBB74_49
.LBB74_46:                              ;   in Loop: Header=BB74_41 Depth=2
                                        ; implicit-def: $vgpr7
	s_and_saveexec_b64 s[36:37], s[2:3]
; %bb.47:                               ;   in Loop: Header=BB74_41 Depth=2
	v_add_u32_e32 v7, v9, v11
	s_or_b64 s[34:35], s[34:35], exec
; %bb.48:                               ;   in Loop: Header=BB74_41 Depth=2
	s_or_b64 exec, exec, s[36:37]
.LBB74_49:                              ;   in Loop: Header=BB74_41 Depth=2
	v_mov_b32_e32 v3, 0
	v_mov_b32_e32 v5, 0
	v_mov_b32_e32 v4, 0
	v_mov_b32_e32 v6, 0
	s_and_saveexec_b64 s[36:37], s[34:35]
	s_cbranch_execz .LBB74_40
; %bb.50:                               ;   in Loop: Header=BB74_41 Depth=2
	v_ashrrev_i32_e32 v8, 31, v7
	v_lshlrev_b64 v[3:4], 4, v[7:8]
	v_mov_b32_e32 v5, s23
	v_add_co_u32_e32 v3, vcc, s22, v3
	v_addc_co_u32_e32 v4, vcc, v5, v4, vcc
	global_load_dwordx4 v[3:6], v[3:4], off
	s_branch .LBB74_40
.LBB74_51:                              ;   in Loop: Header=BB74_10 Depth=1
	s_or_b64 exec, exec, s[6:7]
	s_cmp_lt_i32 s40, 2
	s_cbranch_scc1 .LBB74_67
; %bb.52:                               ;   in Loop: Header=BB74_10 Depth=1
	s_add_i32 s36, s40, -2
	s_mov_b32 s37, 0
	s_branch .LBB74_54
.LBB74_53:                              ;   in Loop: Header=BB74_54 Depth=2
	s_or_b64 exec, exec, s[6:7]
	s_add_i32 s6, s37, 1
	s_cmp_eq_u32 s37, s36
	s_mov_b32 s37, s6
	s_cbranch_scc1 .LBB74_67
.LBB74_54:                              ;   Parent Loop BB74_10 Depth=1
                                        ; =>  This Loop Header: Depth=2
                                        ;       Child Loop BB74_56 Depth 3
	s_and_saveexec_b64 s[6:7], s[0:1]
	s_cbranch_execz .LBB74_53
; %bb.55:                               ;   in Loop: Header=BB74_54 Depth=2
	s_lshl_b32 s30, s37, 2
	v_mov_b32_e32 v3, s30
	ds_read2st64_b32 v[3:4], v3 offset0:68 offset1:70
	s_mov_b64 s[30:31], 0
	v_mov_b32_e32 v35, v0
	s_waitcnt lgkmcnt(0)
	v_add_u32_e32 v31, v4, v22
	v_add_u32_e32 v32, v1, v4
	;; [unrolled: 1-line block ×4, first 2 shown]
.LBB74_56:                              ;   Parent Loop BB74_10 Depth=1
                                        ;     Parent Loop BB74_54 Depth=2
                                        ; =>    This Inner Loop Header: Depth=3
	v_mov_b32_e32 v15, 0
	v_mov_b32_e32 v17, 0
	;; [unrolled: 1-line block ×3, first 2 shown]
	s_mov_b32 s38, 0
	v_mov_b32_e32 v11, v33
	v_mov_b32_e32 v18, 0
	;; [unrolled: 1-line block ×3, first 2 shown]
	s_and_b64 vcc, exec, s[24:25]
	s_cbranch_vccnz .LBB74_59
	s_branch .LBB74_58
.LBB74_57:                              ;   in Loop: Header=BB74_56 Depth=3
	v_mov_b32_e32 v16, v4
	v_mov_b32_e32 v18, v6
	;; [unrolled: 1-line block ×4, first 2 shown]
	s_and_b64 vcc, exec, s[24:25]
	s_cbranch_vccnz .LBB74_59
.LBB74_58:                              ;   in Loop: Header=BB74_56 Depth=3
                                        ; implicit-def: $vgpr3_vgpr4
                                        ; implicit-def: $vgpr5_vgpr6
	s_cbranch_execz .LBB74_65
	s_branch .LBB74_62
.LBB74_59:                              ;   in Loop: Header=BB74_56 Depth=3
	v_ashrrev_i32_e32 v12, 31, v11
	v_lshlrev_b64 v[3:4], 4, v[11:12]
	v_mov_b32_e32 v5, s23
	v_add_co_u32_e32 v3, vcc, s22, v3
	v_addc_co_u32_e32 v4, vcc, v5, v4, vcc
	global_load_dwordx4 v[3:6], v[3:4], off
	v_mov_b32_e32 v7, 0
	v_mov_b32_e32 v9, 0
	;; [unrolled: 1-line block ×4, first 2 shown]
	s_and_saveexec_b64 s[34:35], s[2:3]
	s_cbranch_execz .LBB74_61
; %bb.60:                               ;   in Loop: Header=BB74_56 Depth=3
	v_ashrrev_i32_e32 v14, 31, v13
	v_lshlrev_b64 v[7:8], 4, v[13:14]
	v_mov_b32_e32 v9, s23
	v_add_co_u32_e32 v7, vcc, s22, v7
	v_addc_co_u32_e32 v8, vcc, v9, v8, vcc
	global_load_dwordx4 v[7:10], v[7:8], off
.LBB74_61:                              ;   in Loop: Header=BB74_56 Depth=3
	s_or_b64 exec, exec, s[34:35]
	s_waitcnt vmcnt(0)
	v_fma_f64 v[36:37], v[3:4], v[7:8], v[17:18]
	v_fma_f64 v[7:8], v[5:6], v[7:8], v[15:16]
	;; [unrolled: 1-line block ×3, first 2 shown]
	v_fma_f64 v[3:4], v[3:4], -v[9:10], v[7:8]
	s_branch .LBB74_65
.LBB74_62:                              ;   in Loop: Header=BB74_56 Depth=3
	v_add_u32_e32 v3, s38, v34
	v_ashrrev_i32_e32 v4, 31, v3
	v_lshlrev_b64 v[3:4], 4, v[3:4]
	v_mov_b32_e32 v5, s23
	v_add_co_u32_e32 v3, vcc, s22, v3
	v_addc_co_u32_e32 v4, vcc, v5, v4, vcc
	global_load_dwordx4 v[3:6], v[3:4], off
	v_mov_b32_e32 v7, 0
	v_mov_b32_e32 v9, 0
	;; [unrolled: 1-line block ×4, first 2 shown]
	s_and_saveexec_b64 s[34:35], s[2:3]
	s_cbranch_execz .LBB74_64
; %bb.63:                               ;   in Loop: Header=BB74_56 Depth=3
	v_add_u32_e32 v7, s38, v31
	v_ashrrev_i32_e32 v8, 31, v7
	v_lshlrev_b64 v[7:8], 4, v[7:8]
	v_mov_b32_e32 v9, s23
	v_add_co_u32_e32 v7, vcc, s22, v7
	v_addc_co_u32_e32 v8, vcc, v9, v8, vcc
	global_load_dwordx4 v[7:10], v[7:8], off
.LBB74_64:                              ;   in Loop: Header=BB74_56 Depth=3
	s_or_b64 exec, exec, s[34:35]
	s_waitcnt vmcnt(0)
	v_fma_f64 v[17:18], v[3:4], v[7:8], v[17:18]
	v_fma_f64 v[7:8], v[5:6], v[7:8], v[15:16]
	;; [unrolled: 1-line block ×3, first 2 shown]
	v_fma_f64 v[3:4], v[3:4], -v[9:10], v[7:8]
.LBB74_65:                              ;   in Loop: Header=BB74_56 Depth=3
	s_add_i32 s38, s38, 1
	v_add_u32_e32 v13, s44, v13
	s_cmp_eq_u32 s44, s38
	v_add_u32_e32 v11, s44, v11
	s_cbranch_scc0 .LBB74_57
; %bb.66:                               ;   in Loop: Header=BB74_56 Depth=3
	v_lshl_add_u32 v11, v35, 4, v21
	ds_read_b128 v[7:10], v11
	v_add_u32_e32 v35, 4, v35
	v_cmp_le_i32_e32 vcc, s44, v35
	v_add_u32_e32 v33, 4, v33
	s_or_b64 s[30:31], vcc, s[30:31]
	s_waitcnt lgkmcnt(0)
	v_add_f64 v[5:6], v[5:6], v[7:8]
	v_add_f64 v[7:8], v[3:4], v[9:10]
	v_add_u32_e32 v34, s48, v34
	ds_write_b128 v11, v[5:8]
	s_andn2_b64 exec, exec, s[30:31]
	s_cbranch_execnz .LBB74_56
	s_branch .LBB74_53
.LBB74_67:                              ;   in Loop: Header=BB74_10 Depth=1
	s_andn2_b64 vcc, exec, s[26:27]
	s_waitcnt lgkmcnt(0)
	s_cbranch_vccnz .LBB74_79
; %bb.68:                               ;   in Loop: Header=BB74_10 Depth=1
	s_mov_b32 s34, 0
	v_mov_b32_e32 v15, v28
	s_mov_b32 s35, 0
	s_branch .LBB74_70
.LBB74_69:                              ;   in Loop: Header=BB74_70 Depth=2
	s_or_b64 exec, exec, s[6:7]
	s_add_i32 s35, s35, 1
	s_addk_i32 s34, 0x110
	s_cmp_eq_u32 s35, s44
	v_add_u32_e32 v15, 16, v15
	s_waitcnt lgkmcnt(0)
	s_cbranch_scc1 .LBB74_79
.LBB74_70:                              ;   Parent Loop BB74_10 Depth=1
                                        ; =>  This Loop Header: Depth=2
                                        ;       Child Loop BB74_75 Depth 3
                                        ;       Child Loop BB74_78 Depth 3
	s_lshl_b32 s30, s35, 4
	s_mul_i32 s6, s35, 0x110
	s_add_i32 s6, s6, s30
	v_mov_b32_e32 v3, s6
	ds_read_b128 v[7:10], v3
	v_add_u32_e32 v16, s30, v20
	ds_read_b128 v[3:6], v16
	s_waitcnt lgkmcnt(1)
	v_cmp_neq_f64_e32 vcc, 0, v[7:8]
	v_cmp_neq_f64_e64 s[6:7], 0, v[9:10]
	s_or_b64 vcc, vcc, s[6:7]
	v_cndmask_b32_e32 v12, v30, v8, vcc
	s_nor_b64 s[30:31], vcc, s[4:5]
	v_cndmask_b32_e32 v11, 0, v7, vcc
	v_cndmask_b32_e32 v14, 0, v10, vcc
	;; [unrolled: 1-line block ×3, first 2 shown]
	s_and_saveexec_b64 s[6:7], s[30:31]
	s_cbranch_execz .LBB74_74
; %bb.71:                               ;   in Loop: Header=BB74_70 Depth=2
	v_mbcnt_lo_u32_b32 v7, exec_lo, 0
	v_mbcnt_hi_u32_b32 v7, exec_hi, v7
	v_cmp_eq_u32_e32 vcc, 0, v7
	s_and_saveexec_b64 s[30:31], vcc
	s_cbranch_execz .LBB74_73
; %bb.72:                               ;   in Loop: Header=BB74_70 Depth=2
	v_mov_b32_e32 v7, s49
	global_atomic_smin v2, v7, s[14:15]
.LBB74_73:                              ;   in Loop: Header=BB74_70 Depth=2
	s_or_b64 exec, exec, s[30:31]
	v_mov_b32_e32 v13, 0
	v_mov_b32_e32 v11, 0
	;; [unrolled: 1-line block ×4, first 2 shown]
.LBB74_74:                              ;   in Loop: Header=BB74_70 Depth=2
	s_or_b64 exec, exec, s[6:7]
	v_lshl_add_u32 v7, s35, 4, v21
	ds_read_b128 v[7:10], v7
	s_cmp_eq_u32 s35, 0
	v_mov_b32_e32 v17, v20
	s_mov_b32 s6, s34
	s_mov_b32 s7, s35
	s_cbranch_scc1 .LBB74_76
.LBB74_75:                              ;   Parent Loop BB74_10 Depth=1
                                        ;     Parent Loop BB74_70 Depth=2
                                        ; =>    This Inner Loop Header: Depth=3
	v_mov_b32_e32 v18, s6
	ds_read_b128 v[31:34], v17
	ds_read_b128 v[35:38], v18
	s_add_i32 s7, s7, -1
	s_add_i32 s6, s6, 16
	s_cmp_eq_u32 s7, 0
	v_add_u32_e32 v17, 16, v17
	s_waitcnt lgkmcnt(0)
	v_fma_f64 v[7:8], v[35:36], v[31:32], v[7:8]
	v_fma_f64 v[9:10], v[37:38], v[31:32], v[9:10]
	;; [unrolled: 1-line block ×3, first 2 shown]
	v_fma_f64 v[9:10], v[35:36], -v[33:34], v[9:10]
	s_cbranch_scc0 .LBB74_75
.LBB74_76:                              ;   in Loop: Header=BB74_70 Depth=2
	v_mul_f64 v[17:18], v[13:14], v[13:14]
	s_waitcnt lgkmcnt(0)
	v_add_f64 v[5:6], v[5:6], -v[9:10]
	v_add_f64 v[3:4], v[3:4], -v[7:8]
	v_fma_f64 v[17:18], v[11:12], v[11:12], v[17:18]
	v_mul_f64 v[7:8], v[13:14], v[5:6]
	v_mul_f64 v[13:14], v[13:14], -v[3:4]
	v_div_scale_f64 v[31:32], s[6:7], v[17:18], v[17:18], 1.0
	v_fma_f64 v[3:4], v[3:4], v[11:12], v[7:8]
	v_fma_f64 v[5:6], v[5:6], v[11:12], v[13:14]
	v_rcp_f64_e32 v[33:34], v[31:32]
	v_fma_f64 v[35:36], -v[31:32], v[33:34], 1.0
	v_fma_f64 v[33:34], v[33:34], v[35:36], v[33:34]
	v_div_scale_f64 v[35:36], vcc, 1.0, v[17:18], 1.0
	v_fma_f64 v[37:38], -v[31:32], v[33:34], 1.0
	v_fma_f64 v[33:34], v[33:34], v[37:38], v[33:34]
	v_mul_f64 v[37:38], v[35:36], v[33:34]
	v_fma_f64 v[31:32], -v[31:32], v[37:38], v[35:36]
	v_div_fmas_f64 v[9:10], v[31:32], v[33:34], v[37:38]
	v_div_fixup_f64 v[7:8], v[9:10], v[17:18], 1.0
	v_mul_f64 v[3:4], v[7:8], v[3:4]
	v_mul_f64 v[5:6], v[7:8], v[5:6]
	ds_write_b128 v16, v[3:6]
	s_waitcnt lgkmcnt(0)
	s_and_saveexec_b64 s[6:7], s[0:1]
	s_cbranch_execz .LBB74_69
; %bb.77:                               ;   in Loop: Header=BB74_70 Depth=2
	s_mov_b64 s[30:31], 0
	v_mov_b32_e32 v7, v15
	v_mov_b32_e32 v8, v27
	v_mov_b32_e32 v9, v0
.LBB74_78:                              ;   Parent Loop BB74_10 Depth=1
                                        ;     Parent Loop BB74_70 Depth=2
                                        ; =>    This Inner Loop Header: Depth=3
	ds_read_b128 v[10:13], v7
	ds_read_b128 v[31:34], v8
	v_add_u32_e32 v9, 4, v9
	v_cmp_le_i32_e32 vcc, s44, v9
	s_or_b64 s[30:31], vcc, s[30:31]
	v_add_u32_e32 v7, 0x440, v7
	s_waitcnt lgkmcnt(0)
	v_fma_f64 v[16:17], v[3:4], v[10:11], v[31:32]
	v_fma_f64 v[31:32], v[5:6], v[10:11], v[33:34]
	;; [unrolled: 1-line block ×3, first 2 shown]
	v_fma_f64 v[12:13], v[3:4], -v[12:13], v[31:32]
	ds_write_b128 v8, v[10:13]
	v_add_u32_e32 v8, 64, v8
	s_andn2_b64 exec, exec, s[30:31]
	s_cbranch_execnz .LBB74_78
	s_branch .LBB74_69
.LBB74_79:                              ;   in Loop: Header=BB74_10 Depth=1
	s_and_saveexec_b64 s[6:7], s[0:1]
	s_cbranch_execz .LBB74_9
; %bb.80:                               ;   in Loop: Header=BB74_10 Depth=1
	s_mov_b64 s[30:31], 0
	v_mov_b32_e32 v5, v29
	v_mov_b32_e32 v6, v0
	s_branch .LBB74_84
.LBB74_81:                              ;   in Loop: Header=BB74_84 Depth=2
	v_add_u32_e32 v3, v26, v6
.LBB74_82:                              ;   in Loop: Header=BB74_84 Depth=2
	v_ashrrev_i32_e32 v4, 31, v3
	ds_read2_b64 v[7:10], v5 offset1:1
	v_lshlrev_b64 v[3:4], 4, v[3:4]
	v_mov_b32_e32 v11, s23
	v_add_co_u32_e32 v3, vcc, s22, v3
	v_addc_co_u32_e32 v4, vcc, v11, v4, vcc
	s_waitcnt lgkmcnt(0)
	global_store_dwordx4 v[3:4], v[7:10], off
.LBB74_83:                              ;   in Loop: Header=BB74_84 Depth=2
	s_or_b64 exec, exec, s[34:35]
	v_add_u32_e32 v6, 4, v6
	v_cmp_le_i32_e32 vcc, s44, v6
	s_or_b64 s[30:31], vcc, s[30:31]
	v_add_u32_e32 v5, 64, v5
	s_andn2_b64 exec, exec, s[30:31]
	s_cbranch_execz .LBB74_9
.LBB74_84:                              ;   Parent Loop BB74_10 Depth=1
                                        ; =>  This Inner Loop Header: Depth=2
	s_and_saveexec_b64 s[34:35], s[2:3]
	s_cbranch_execz .LBB74_83
; %bb.85:                               ;   in Loop: Header=BB74_84 Depth=2
	s_and_b64 vcc, exec, s[24:25]
	s_cbranch_vccz .LBB74_87
; %bb.86:                               ;   in Loop: Header=BB74_84 Depth=2
	v_add_u32_e32 v3, s29, v6
	v_mad_u64_u32 v[3:4], s[36:37], v3, s44, v[1:2]
	s_cbranch_execnz .LBB74_82
	s_branch .LBB74_81
.LBB74_87:                              ;   in Loop: Header=BB74_84 Depth=2
                                        ; implicit-def: $vgpr3
	s_branch .LBB74_81
.LBB74_88:                              ;   in Loop: Header=BB74_10 Depth=1
                                        ; implicit-def: $sgpr28
                                        ; implicit-def: $vgpr26
	s_cbranch_execz .LBB74_10
.LBB74_89:
	v_cmp_gt_i32_e64 s[0:1], s44, v0
	s_and_saveexec_b64 s[4:5], s[0:1]
	s_cbranch_execz .LBB74_102
; %bb.90:
	s_mul_i32 s26, s33, s44
	v_add_u32_e32 v2, s26, v1
	v_mul_lo_u32 v8, v2, s44
	s_cmp_lg_u32 s45, 0
	v_mul_u32_u24_e32 v2, 0x110, v1
	s_movk_i32 s8, 0x2200
	s_cselect_b64 s[6:7], -1, 0
	v_cmp_gt_i32_e64 s[2:3], s44, v1
	v_add3_u32 v9, v2, v19, s8
	s_mov_b64 s[8:9], 0
	v_mov_b32_e32 v10, v0
	s_branch .LBB74_92
.LBB74_91:                              ;   in Loop: Header=BB74_92 Depth=1
	s_or_b64 exec, exec, s[18:19]
	v_add_u32_e32 v10, 4, v10
	v_cmp_le_i32_e32 vcc, s44, v10
	s_waitcnt vmcnt(0)
	ds_write_b128 v9, v[2:5]
	s_or_b64 s[8:9], vcc, s[8:9]
	v_add_u32_e32 v9, 64, v9
	s_andn2_b64 exec, exec, s[8:9]
	s_cbranch_execz .LBB74_102
.LBB74_92:                              ; =>This Inner Loop Header: Depth=1
	s_and_b64 vcc, exec, s[6:7]
	s_cbranch_vccz .LBB74_96
; %bb.93:                               ;   in Loop: Header=BB74_92 Depth=1
	s_mov_b64 s[18:19], 0
	s_mov_b64 s[16:17], 0
                                        ; implicit-def: $vgpr6
	s_and_saveexec_b64 s[24:25], s[2:3]
	s_xor_b64 s[24:25], exec, s[24:25]
; %bb.94:                               ;   in Loop: Header=BB74_92 Depth=1
	v_add_u32_e32 v2, s26, v10
	s_mov_b64 s[16:17], exec
	v_mad_u64_u32 v[6:7], s[28:29], v2, s44, v[1:2]
; %bb.95:                               ;   in Loop: Header=BB74_92 Depth=1
	s_or_b64 exec, exec, s[24:25]
	s_and_b64 vcc, exec, s[18:19]
	s_cbranch_vccnz .LBB74_97
	s_branch .LBB74_100
.LBB74_96:                              ;   in Loop: Header=BB74_92 Depth=1
	s_mov_b64 s[16:17], 0
                                        ; implicit-def: $vgpr6
	s_cbranch_execz .LBB74_100
.LBB74_97:                              ;   in Loop: Header=BB74_92 Depth=1
                                        ; implicit-def: $vgpr6
	s_and_saveexec_b64 s[18:19], s[2:3]
; %bb.98:                               ;   in Loop: Header=BB74_92 Depth=1
	v_add_u32_e32 v6, v8, v10
	s_or_b64 s[16:17], s[16:17], exec
; %bb.99:                               ;   in Loop: Header=BB74_92 Depth=1
	s_or_b64 exec, exec, s[18:19]
.LBB74_100:                             ;   in Loop: Header=BB74_92 Depth=1
	v_mov_b32_e32 v2, 0
	v_mov_b32_e32 v4, 0
	;; [unrolled: 1-line block ×4, first 2 shown]
	s_and_saveexec_b64 s[18:19], s[16:17]
	s_cbranch_execz .LBB74_91
; %bb.101:                              ;   in Loop: Header=BB74_92 Depth=1
	v_ashrrev_i32_e32 v7, 31, v6
	v_lshlrev_b64 v[2:3], 4, v[6:7]
	v_mov_b32_e32 v4, s23
	v_add_co_u32_e32 v2, vcc, s22, v2
	v_addc_co_u32_e32 v3, vcc, v4, v3, vcc
	global_load_dwordx4 v[2:5], v[2:3], off
	s_branch .LBB74_91
.LBB74_102:
	s_or_b64 exec, exec, s[4:5]
	s_cmp_lt_i32 s44, 1
	s_waitcnt lgkmcnt(0)
	s_cbranch_scc1 .LBB74_121
; %bb.103:
	v_or_b32_e32 v4, v0, v1
	s_movk_i32 s4, 0x110
	v_mov_b32_e32 v2, 0x2200
	v_cmp_ne_u32_e64 s[2:3], 0, v4
	v_mov_b32_e32 v4, 0x3300
	v_mad_u32_u24 v11, v1, s4, v2
	v_mul_u32_u24_e32 v3, 0x110, v1
	s_movk_i32 s5, 0x3300
	v_mad_u32_u24 v12, v1, s4, v4
	v_lshlrev_b32_e32 v4, 4, v1
	s_mov_b32 s6, 0
	s_mov_b32 s18, 0
	s_add_i32 s19, s20, s21
	v_add_u32_e32 v13, v11, v4
	v_add_u32_e32 v14, v12, v4
	v_add3_u32 v15, v3, v19, s5
	v_mad_u32_u24 v16, v0, s4, v2
	s_brev_b32 s7, 8
	v_mov_b32_e32 v17, 0x260
	v_mov_b32_e32 v4, 0
	;; [unrolled: 1-line block ×5, first 2 shown]
	s_branch .LBB74_105
.LBB74_104:                             ;   in Loop: Header=BB74_105 Depth=1
	s_or_b64 exec, exec, s[4:5]
	s_add_i32 s18, s18, 1
	s_cmp_eq_u32 s18, s44
	v_add_u32_e32 v16, 16, v16
	s_waitcnt lgkmcnt(0)
	s_cbranch_scc1 .LBB74_121
.LBB74_105:                             ; =>This Loop Header: Depth=1
                                        ;     Child Loop BB74_120 Depth 2
	v_cmp_eq_u32_e32 vcc, s18, v1
	s_and_saveexec_b64 s[4:5], vcc
	s_cbranch_execz .LBB74_113
; %bb.106:                              ;   in Loop: Header=BB74_105 Depth=1
	ds_read_b128 v[5:8], v14
	ds_read_b128 v[22:25], v13
	s_waitcnt lgkmcnt(0)
	v_add_f64 v[2:3], v[22:23], -v[5:6]
	v_add_f64 v[9:10], v[24:25], -v[7:8]
                                        ; implicit-def: $vgpr7_vgpr8
	v_cmp_gt_f64_e32 vcc, 0, v[2:3]
	v_xor_b32_e32 v5, 0x80000000, v3
	v_xor_b32_e32 v6, 0x80000000, v10
	v_cndmask_b32_e32 v3, v3, v5, vcc
	v_cmp_gt_f64_e32 vcc, 0, v[9:10]
	v_mov_b32_e32 v5, v9
	v_cndmask_b32_e32 v6, v10, v6, vcc
	v_cmp_ngt_f64_e32 vcc, v[2:3], v[5:6]
	s_and_saveexec_b64 s[8:9], vcc
	s_xor_b64 s[8:9], exec, s[8:9]
	s_cbranch_execz .LBB74_110
; %bb.107:                              ;   in Loop: Header=BB74_105 Depth=1
	v_cmp_neq_f64_e32 vcc, 0, v[9:10]
	v_mov_b32_e32 v7, 0
	v_mov_b32_e32 v8, 0
	s_and_saveexec_b64 s[16:17], vcc
	s_cbranch_execz .LBB74_109
; %bb.108:                              ;   in Loop: Header=BB74_105 Depth=1
	v_div_scale_f64 v[7:8], s[24:25], v[5:6], v[5:6], v[2:3]
	v_rcp_f64_e32 v[9:10], v[7:8]
	v_fma_f64 v[22:23], -v[7:8], v[9:10], 1.0
	v_fma_f64 v[9:10], v[9:10], v[22:23], v[9:10]
	v_div_scale_f64 v[22:23], vcc, v[2:3], v[5:6], v[2:3]
	v_fma_f64 v[24:25], -v[7:8], v[9:10], 1.0
	v_fma_f64 v[9:10], v[9:10], v[24:25], v[9:10]
	v_mul_f64 v[24:25], v[22:23], v[9:10]
	v_fma_f64 v[7:8], -v[7:8], v[24:25], v[22:23]
	v_div_fmas_f64 v[7:8], v[7:8], v[9:10], v[24:25]
	v_div_fixup_f64 v[2:3], v[7:8], v[5:6], v[2:3]
	v_fma_f64 v[2:3], v[2:3], v[2:3], 1.0
	v_cmp_gt_f64_e32 vcc, s[6:7], v[2:3]
	v_cndmask_b32_e32 v7, 0, v20, vcc
	v_ldexp_f64 v[2:3], v[2:3], v7
	v_rsq_f64_e32 v[7:8], v[2:3]
	v_mul_f64 v[9:10], v[2:3], v[7:8]
	v_mul_f64 v[7:8], v[7:8], 0.5
	v_fma_f64 v[22:23], -v[7:8], v[9:10], 0.5
	v_fma_f64 v[9:10], v[9:10], v[22:23], v[9:10]
	v_fma_f64 v[7:8], v[7:8], v[22:23], v[7:8]
	v_fma_f64 v[22:23], -v[9:10], v[9:10], v[2:3]
	v_fma_f64 v[9:10], v[22:23], v[7:8], v[9:10]
	v_fma_f64 v[22:23], -v[9:10], v[9:10], v[2:3]
	v_fma_f64 v[7:8], v[22:23], v[7:8], v[9:10]
	v_cndmask_b32_e32 v9, 0, v21, vcc
	v_cmp_class_f64_e32 vcc, v[2:3], v17
	v_ldexp_f64 v[7:8], v[7:8], v9
	v_cndmask_b32_e32 v3, v8, v3, vcc
	v_cndmask_b32_e32 v2, v7, v2, vcc
	v_mul_f64 v[7:8], v[5:6], v[2:3]
.LBB74_109:                             ;   in Loop: Header=BB74_105 Depth=1
	s_or_b64 exec, exec, s[16:17]
                                        ; implicit-def: $vgpr2_vgpr3
                                        ; implicit-def: $vgpr5_vgpr6
.LBB74_110:                             ;   in Loop: Header=BB74_105 Depth=1
	s_andn2_saveexec_b64 s[8:9], s[8:9]
	s_cbranch_execz .LBB74_112
; %bb.111:                              ;   in Loop: Header=BB74_105 Depth=1
	v_div_scale_f64 v[7:8], s[16:17], v[2:3], v[2:3], v[5:6]
	v_rcp_f64_e32 v[9:10], v[7:8]
	v_fma_f64 v[22:23], -v[7:8], v[9:10], 1.0
	v_fma_f64 v[9:10], v[9:10], v[22:23], v[9:10]
	v_div_scale_f64 v[22:23], vcc, v[5:6], v[2:3], v[5:6]
	v_fma_f64 v[24:25], -v[7:8], v[9:10], 1.0
	v_fma_f64 v[9:10], v[9:10], v[24:25], v[9:10]
	v_mul_f64 v[24:25], v[22:23], v[9:10]
	v_fma_f64 v[7:8], -v[7:8], v[24:25], v[22:23]
	v_div_fmas_f64 v[7:8], v[7:8], v[9:10], v[24:25]
	v_div_fixup_f64 v[5:6], v[7:8], v[2:3], v[5:6]
	v_fma_f64 v[5:6], v[5:6], v[5:6], 1.0
	v_cmp_gt_f64_e32 vcc, s[6:7], v[5:6]
	v_cndmask_b32_e32 v7, 0, v20, vcc
	v_ldexp_f64 v[5:6], v[5:6], v7
	v_rsq_f64_e32 v[7:8], v[5:6]
	v_mul_f64 v[9:10], v[5:6], v[7:8]
	v_mul_f64 v[7:8], v[7:8], 0.5
	v_fma_f64 v[22:23], -v[7:8], v[9:10], 0.5
	v_fma_f64 v[9:10], v[9:10], v[22:23], v[9:10]
	v_fma_f64 v[7:8], v[7:8], v[22:23], v[7:8]
	v_fma_f64 v[22:23], -v[9:10], v[9:10], v[5:6]
	v_fma_f64 v[9:10], v[22:23], v[7:8], v[9:10]
	v_fma_f64 v[22:23], -v[9:10], v[9:10], v[5:6]
	v_fma_f64 v[7:8], v[22:23], v[7:8], v[9:10]
	v_cndmask_b32_e32 v9, 0, v21, vcc
	v_cmp_class_f64_e32 vcc, v[5:6], v17
	v_ldexp_f64 v[7:8], v[7:8], v9
	v_cndmask_b32_e32 v6, v8, v6, vcc
	v_cndmask_b32_e32 v5, v7, v5, vcc
	v_mul_f64 v[7:8], v[2:3], v[5:6]
.LBB74_112:                             ;   in Loop: Header=BB74_105 Depth=1
	s_or_b64 exec, exec, s[8:9]
	v_cmp_gt_f64_e32 vcc, s[6:7], v[7:8]
	v_cndmask_b32_e32 v2, 0, v20, vcc
	v_ldexp_f64 v[2:3], v[7:8], v2
	v_rsq_f64_e32 v[5:6], v[2:3]
	v_mul_f64 v[7:8], v[2:3], v[5:6]
	v_mul_f64 v[5:6], v[5:6], 0.5
	v_fma_f64 v[9:10], -v[5:6], v[7:8], 0.5
	v_fma_f64 v[7:8], v[7:8], v[9:10], v[7:8]
	v_fma_f64 v[5:6], v[5:6], v[9:10], v[5:6]
	v_fma_f64 v[9:10], -v[7:8], v[7:8], v[2:3]
	v_fma_f64 v[7:8], v[9:10], v[5:6], v[7:8]
	v_fma_f64 v[9:10], -v[7:8], v[7:8], v[2:3]
	v_fma_f64 v[5:6], v[9:10], v[5:6], v[7:8]
	v_cndmask_b32_e32 v7, 0, v21, vcc
	v_cmp_class_f64_e32 vcc, v[2:3], v17
	v_ldexp_f64 v[5:6], v[5:6], v7
	v_cndmask_b32_e32 v3, v6, v3, vcc
	v_cndmask_b32_e32 v2, v5, v2, vcc
	v_mov_b32_e32 v5, v4
	ds_write_b128 v13, v[2:5]
.LBB74_113:                             ;   in Loop: Header=BB74_105 Depth=1
	s_or_b64 exec, exec, s[4:5]
	s_lshl_b32 s8, s18, 4
	s_mul_i32 s4, s18, 0x110
	s_add_i32 s4, s4, s8
	v_mov_b32_e32 v2, s4
	s_waitcnt lgkmcnt(0)
	ds_read_b128 v[23:26], v2 offset:8704
	v_add_u32_e32 v22, s8, v11
	ds_read_b128 v[5:8], v22
	s_waitcnt lgkmcnt(1)
	v_cmp_neq_f64_e32 vcc, 0, v[23:24]
	v_cmp_neq_f64_e64 s[4:5], 0, v[25:26]
	s_or_b64 vcc, vcc, s[4:5]
	v_cndmask_b32_e32 v3, 0, v26, vcc
	s_nor_b64 s[8:9], vcc, s[2:3]
	v_cndmask_b32_e32 v2, 0, v25, vcc
	v_cndmask_b32_e32 v10, v18, v24, vcc
	;; [unrolled: 1-line block ×3, first 2 shown]
	s_and_saveexec_b64 s[4:5], s[8:9]
	s_cbranch_execz .LBB74_117
; %bb.114:                              ;   in Loop: Header=BB74_105 Depth=1
	v_mbcnt_lo_u32_b32 v2, exec_lo, 0
	v_mbcnt_hi_u32_b32 v2, exec_hi, v2
	v_cmp_eq_u32_e32 vcc, 0, v2
	s_and_saveexec_b64 s[8:9], vcc
	s_cbranch_execz .LBB74_116
; %bb.115:                              ;   in Loop: Header=BB74_105 Depth=1
	v_mov_b32_e32 v2, s19
	global_atomic_smin v4, v2, s[14:15]
.LBB74_116:                             ;   in Loop: Header=BB74_105 Depth=1
	s_or_b64 exec, exec, s[8:9]
	v_mov_b32_e32 v9, 0
	v_mov_b32_e32 v2, 0
	;; [unrolled: 1-line block ×4, first 2 shown]
.LBB74_117:                             ;   in Loop: Header=BB74_105 Depth=1
	s_or_b64 exec, exec, s[4:5]
	v_cmp_lt_u32_e32 vcc, s18, v1
	s_and_saveexec_b64 s[4:5], vcc
	s_cbranch_execz .LBB74_104
; %bb.118:                              ;   in Loop: Header=BB74_105 Depth=1
	v_mul_f64 v[23:24], v[2:3], v[2:3]
	v_fma_f64 v[27:28], v[9:10], v[9:10], v[23:24]
	v_div_scale_f64 v[23:24], s[8:9], v[27:28], v[27:28], 1.0
	v_rcp_f64_e32 v[25:26], v[23:24]
	v_fma_f64 v[29:30], -v[23:24], v[25:26], 1.0
	v_fma_f64 v[25:26], v[25:26], v[29:30], v[25:26]
	v_div_scale_f64 v[29:30], vcc, 1.0, v[27:28], 1.0
	v_fma_f64 v[31:32], -v[23:24], v[25:26], 1.0
	v_fma_f64 v[31:32], v[25:26], v[31:32], v[25:26]
	v_lshl_add_u32 v25, s18, 4, v12
	v_mul_f64 v[33:34], v[29:30], v[31:32]
	v_fma_f64 v[29:30], -v[23:24], v[33:34], v[29:30]
	ds_read_b128 v[23:26], v25
	s_waitcnt lgkmcnt(0)
	v_add_f64 v[7:8], v[7:8], -v[25:26]
	v_add_f64 v[5:6], v[5:6], -v[23:24]
	v_div_fmas_f64 v[25:26], v[29:30], v[31:32], v[33:34]
	v_mul_f64 v[23:24], v[2:3], v[7:8]
	v_mul_f64 v[2:3], v[2:3], -v[5:6]
	v_fma_f64 v[5:6], v[5:6], v[9:10], v[23:24]
	v_fma_f64 v[2:3], v[7:8], v[9:10], v[2:3]
	v_div_fixup_f64 v[23:24], v[25:26], v[27:28], 1.0
	v_mul_f64 v[5:6], v[23:24], v[5:6]
	v_mul_f64 v[7:8], v[23:24], v[2:3]
	ds_write_b128 v22, v[5:8]
	s_waitcnt lgkmcnt(0)
	s_and_b64 exec, exec, s[0:1]
	s_cbranch_execz .LBB74_104
; %bb.119:                              ;   in Loop: Header=BB74_105 Depth=1
	s_mov_b64 s[8:9], 0
	v_mov_b32_e32 v2, v16
	v_mov_b32_e32 v3, v15
	;; [unrolled: 1-line block ×3, first 2 shown]
.LBB74_120:                             ;   Parent Loop BB74_105 Depth=1
                                        ; =>  This Inner Loop Header: Depth=2
	ds_read_b128 v[22:25], v2
	ds_read_b128 v[26:29], v3
	v_add_u32_e32 v9, 4, v9
	v_cmp_le_i32_e32 vcc, s44, v9
	s_or_b64 s[8:9], vcc, s[8:9]
	v_add_u32_e32 v2, 0x440, v2
	s_waitcnt lgkmcnt(0)
	v_fma_f64 v[26:27], v[5:6], v[22:23], v[26:27]
	v_fma_f64 v[28:29], v[7:8], v[22:23], v[28:29]
	;; [unrolled: 1-line block ×3, first 2 shown]
	v_fma_f64 v[24:25], v[5:6], -v[24:25], v[28:29]
	ds_write_b128 v3, v[22:25]
	v_add_u32_e32 v3, 64, v3
	s_andn2_b64 exec, exec, s[8:9]
	s_cbranch_execnz .LBB74_120
	s_branch .LBB74_104
.LBB74_121:
	s_and_saveexec_b64 s[2:3], s[0:1]
	s_cbranch_execz .LBB74_130
; %bb.122:
	s_mul_i32 s33, s33, s44
	v_add_u32_e32 v2, s33, v1
	v_mul_lo_u32 v4, v2, s44
	s_cmp_lg_u32 s45, 0
	v_mul_u32_u24_e32 v2, 0x110, v1
	s_movk_i32 s6, 0x2200
	v_cmp_gt_i32_e64 s[0:1], s44, v1
	s_cselect_b64 s[4:5], -1, 0
	v_add3_u32 v5, v2, v19, s6
	s_mov_b64 s[6:7], 0
	v_mov_b32_e32 v6, v0
	s_branch .LBB74_126
.LBB74_123:                             ;   in Loop: Header=BB74_126 Depth=1
	v_add_u32_e32 v2, v4, v6
.LBB74_124:                             ;   in Loop: Header=BB74_126 Depth=1
	v_ashrrev_i32_e32 v3, 31, v2
	ds_read2_b64 v[7:10], v5 offset1:1
	v_lshlrev_b64 v[2:3], 4, v[2:3]
	v_mov_b32_e32 v11, s23
	v_add_co_u32_e32 v2, vcc, s22, v2
	v_addc_co_u32_e32 v3, vcc, v11, v3, vcc
	s_waitcnt lgkmcnt(0)
	global_store_dwordx4 v[2:3], v[7:10], off
.LBB74_125:                             ;   in Loop: Header=BB74_126 Depth=1
	s_or_b64 exec, exec, s[8:9]
	v_add_u32_e32 v6, 4, v6
	v_cmp_le_i32_e32 vcc, s44, v6
	s_or_b64 s[6:7], vcc, s[6:7]
	v_add_u32_e32 v5, 64, v5
	s_andn2_b64 exec, exec, s[6:7]
	s_cbranch_execz .LBB74_130
.LBB74_126:                             ; =>This Inner Loop Header: Depth=1
	s_and_saveexec_b64 s[8:9], s[0:1]
	s_cbranch_execz .LBB74_125
; %bb.127:                              ;   in Loop: Header=BB74_126 Depth=1
	s_and_b64 vcc, exec, s[4:5]
	s_cbranch_vccz .LBB74_129
; %bb.128:                              ;   in Loop: Header=BB74_126 Depth=1
	v_add_u32_e32 v2, s33, v6
	v_mad_u64_u32 v[2:3], s[16:17], v2, s44, v[1:2]
	s_cbranch_execnz .LBB74_124
	s_branch .LBB74_123
.LBB74_129:                             ;   in Loop: Header=BB74_126 Depth=1
                                        ; implicit-def: $vgpr2
	s_branch .LBB74_123
.LBB74_130:
	s_or_b64 exec, exec, s[2:3]
	v_or_b32_e32 v2, v0, v1
	v_cmp_eq_u32_e32 vcc, 0, v2
	s_and_saveexec_b64 s[0:1], vcc
	s_cbranch_execz .LBB74_132
; %bb.131:
	s_add_u32 s2, s10, s12
	s_addc_u32 s3, s11, s13
	v_mov_b32_e32 v2, 0
	v_mov_b32_e32 v3, 1
	s_waitcnt vmcnt(0)
	global_store_dword v2, v3, s[2:3]
.LBB74_132:
	s_or_b64 exec, exec, s[0:1]
.LBB74_133:
	s_endpgm
.LBB74_134:
	s_cbranch_execz .LBB74_133
; %bb.135:
	v_or_b32_e32 v0, v0, v1
	v_cmp_eq_u32_e32 vcc, 0, v0
	s_and_saveexec_b64 s[0:1], vcc
	s_cbranch_execz .LBB74_133
; %bb.136:
	v_mbcnt_lo_u32_b32 v0, exec_lo, 0
	v_mbcnt_hi_u32_b32 v0, exec_hi, v0
	v_cmp_eq_u32_e32 vcc, 0, v0
	s_and_saveexec_b64 s[0:1], vcc
	s_cbranch_execz .LBB74_138
; %bb.137:
	s_add_i32 s2, s20, s21
	v_mov_b32_e32 v0, 0
	v_mov_b32_e32 v1, s2
	global_atomic_smin v0, v1, s[14:15]
.LBB74_138:
	s_or_b64 exec, exec, s[0:1]
	s_add_u32 s0, s10, s12
	s_addc_u32 s1, s11, s13
	v_mov_b32_e32 v0, 0
	v_mov_b32_e32 v1, 1
	s_waitcnt vmcnt(0)
	global_store_dword v0, v1, s[0:1]
	s_endpgm
	.section	.rodata,"a",@progbits
	.p2align	6, 0x0
	.amdhsa_kernel _ZN9rocsparseL18bsric0_9_16_kernelILi64ELi128ELi16E21rocsparse_complex_numIdEEEv20rocsparse_direction_iiPKiS5_PT2_S5_PiS5_S8_21rocsparse_index_base_
		.amdhsa_group_segment_fixed_size 18944
		.amdhsa_private_segment_fixed_size 0
		.amdhsa_kernarg_size 76
		.amdhsa_user_sgpr_count 6
		.amdhsa_user_sgpr_private_segment_buffer 1
		.amdhsa_user_sgpr_dispatch_ptr 0
		.amdhsa_user_sgpr_queue_ptr 0
		.amdhsa_user_sgpr_kernarg_segment_ptr 1
		.amdhsa_user_sgpr_dispatch_id 0
		.amdhsa_user_sgpr_flat_scratch_init 0
		.amdhsa_user_sgpr_private_segment_size 0
		.amdhsa_uses_dynamic_stack 0
		.amdhsa_system_sgpr_private_segment_wavefront_offset 0
		.amdhsa_system_sgpr_workgroup_id_x 1
		.amdhsa_system_sgpr_workgroup_id_y 0
		.amdhsa_system_sgpr_workgroup_id_z 0
		.amdhsa_system_sgpr_workgroup_info 0
		.amdhsa_system_vgpr_workitem_id 1
		.amdhsa_next_free_vgpr 129
		.amdhsa_next_free_sgpr 98
		.amdhsa_reserve_vcc 1
		.amdhsa_reserve_flat_scratch 0
		.amdhsa_float_round_mode_32 0
		.amdhsa_float_round_mode_16_64 0
		.amdhsa_float_denorm_mode_32 3
		.amdhsa_float_denorm_mode_16_64 3
		.amdhsa_dx10_clamp 1
		.amdhsa_ieee_mode 1
		.amdhsa_fp16_overflow 0
		.amdhsa_exception_fp_ieee_invalid_op 0
		.amdhsa_exception_fp_denorm_src 0
		.amdhsa_exception_fp_ieee_div_zero 0
		.amdhsa_exception_fp_ieee_overflow 0
		.amdhsa_exception_fp_ieee_underflow 0
		.amdhsa_exception_fp_ieee_inexact 0
		.amdhsa_exception_int_div_zero 0
	.end_amdhsa_kernel
	.section	.text._ZN9rocsparseL18bsric0_9_16_kernelILi64ELi128ELi16E21rocsparse_complex_numIdEEEv20rocsparse_direction_iiPKiS5_PT2_S5_PiS5_S8_21rocsparse_index_base_,"axG",@progbits,_ZN9rocsparseL18bsric0_9_16_kernelILi64ELi128ELi16E21rocsparse_complex_numIdEEEv20rocsparse_direction_iiPKiS5_PT2_S5_PiS5_S8_21rocsparse_index_base_,comdat
.Lfunc_end74:
	.size	_ZN9rocsparseL18bsric0_9_16_kernelILi64ELi128ELi16E21rocsparse_complex_numIdEEEv20rocsparse_direction_iiPKiS5_PT2_S5_PiS5_S8_21rocsparse_index_base_, .Lfunc_end74-_ZN9rocsparseL18bsric0_9_16_kernelILi64ELi128ELi16E21rocsparse_complex_numIdEEEv20rocsparse_direction_iiPKiS5_PT2_S5_PiS5_S8_21rocsparse_index_base_
                                        ; -- End function
	.set _ZN9rocsparseL18bsric0_9_16_kernelILi64ELi128ELi16E21rocsparse_complex_numIdEEEv20rocsparse_direction_iiPKiS5_PT2_S5_PiS5_S8_21rocsparse_index_base_.num_vgpr, 39
	.set _ZN9rocsparseL18bsric0_9_16_kernelILi64ELi128ELi16E21rocsparse_complex_numIdEEEv20rocsparse_direction_iiPKiS5_PT2_S5_PiS5_S8_21rocsparse_index_base_.num_agpr, 0
	.set _ZN9rocsparseL18bsric0_9_16_kernelILi64ELi128ELi16E21rocsparse_complex_numIdEEEv20rocsparse_direction_iiPKiS5_PT2_S5_PiS5_S8_21rocsparse_index_base_.numbered_sgpr, 54
	.set _ZN9rocsparseL18bsric0_9_16_kernelILi64ELi128ELi16E21rocsparse_complex_numIdEEEv20rocsparse_direction_iiPKiS5_PT2_S5_PiS5_S8_21rocsparse_index_base_.num_named_barrier, 0
	.set _ZN9rocsparseL18bsric0_9_16_kernelILi64ELi128ELi16E21rocsparse_complex_numIdEEEv20rocsparse_direction_iiPKiS5_PT2_S5_PiS5_S8_21rocsparse_index_base_.private_seg_size, 0
	.set _ZN9rocsparseL18bsric0_9_16_kernelILi64ELi128ELi16E21rocsparse_complex_numIdEEEv20rocsparse_direction_iiPKiS5_PT2_S5_PiS5_S8_21rocsparse_index_base_.uses_vcc, 1
	.set _ZN9rocsparseL18bsric0_9_16_kernelILi64ELi128ELi16E21rocsparse_complex_numIdEEEv20rocsparse_direction_iiPKiS5_PT2_S5_PiS5_S8_21rocsparse_index_base_.uses_flat_scratch, 0
	.set _ZN9rocsparseL18bsric0_9_16_kernelILi64ELi128ELi16E21rocsparse_complex_numIdEEEv20rocsparse_direction_iiPKiS5_PT2_S5_PiS5_S8_21rocsparse_index_base_.has_dyn_sized_stack, 0
	.set _ZN9rocsparseL18bsric0_9_16_kernelILi64ELi128ELi16E21rocsparse_complex_numIdEEEv20rocsparse_direction_iiPKiS5_PT2_S5_PiS5_S8_21rocsparse_index_base_.has_recursion, 0
	.set _ZN9rocsparseL18bsric0_9_16_kernelILi64ELi128ELi16E21rocsparse_complex_numIdEEEv20rocsparse_direction_iiPKiS5_PT2_S5_PiS5_S8_21rocsparse_index_base_.has_indirect_call, 0
	.section	.AMDGPU.csdata,"",@progbits
; Kernel info:
; codeLenInByte = 4720
; TotalNumSgprs: 58
; NumVgprs: 39
; ScratchSize: 0
; MemoryBound: 1
; FloatMode: 240
; IeeeMode: 1
; LDSByteSize: 18944 bytes/workgroup (compile time only)
; SGPRBlocks: 12
; VGPRBlocks: 32
; NumSGPRsForWavesPerEU: 102
; NumVGPRsForWavesPerEU: 129
; Occupancy: 1
; WaveLimiterHint : 1
; COMPUTE_PGM_RSRC2:SCRATCH_EN: 0
; COMPUTE_PGM_RSRC2:USER_SGPR: 6
; COMPUTE_PGM_RSRC2:TRAP_HANDLER: 0
; COMPUTE_PGM_RSRC2:TGID_X_EN: 1
; COMPUTE_PGM_RSRC2:TGID_Y_EN: 0
; COMPUTE_PGM_RSRC2:TGID_Z_EN: 0
; COMPUTE_PGM_RSRC2:TIDIG_COMP_CNT: 1
	.section	.text._ZN9rocsparseL19bsric0_17_32_kernelILi64ELi128ELi32E21rocsparse_complex_numIdEEEv20rocsparse_direction_iiPKiS5_PT2_S5_PiS5_S8_21rocsparse_index_base_,"axG",@progbits,_ZN9rocsparseL19bsric0_17_32_kernelILi64ELi128ELi32E21rocsparse_complex_numIdEEEv20rocsparse_direction_iiPKiS5_PT2_S5_PiS5_S8_21rocsparse_index_base_,comdat
	.globl	_ZN9rocsparseL19bsric0_17_32_kernelILi64ELi128ELi32E21rocsparse_complex_numIdEEEv20rocsparse_direction_iiPKiS5_PT2_S5_PiS5_S8_21rocsparse_index_base_ ; -- Begin function _ZN9rocsparseL19bsric0_17_32_kernelILi64ELi128ELi32E21rocsparse_complex_numIdEEEv20rocsparse_direction_iiPKiS5_PT2_S5_PiS5_S8_21rocsparse_index_base_
	.p2align	8
	.type	_ZN9rocsparseL19bsric0_17_32_kernelILi64ELi128ELi32E21rocsparse_complex_numIdEEEv20rocsparse_direction_iiPKiS5_PT2_S5_PiS5_S8_21rocsparse_index_base_,@function
_ZN9rocsparseL19bsric0_17_32_kernelILi64ELi128ELi32E21rocsparse_complex_numIdEEEv20rocsparse_direction_iiPKiS5_PT2_S5_PiS5_S8_21rocsparse_index_base_: ; @_ZN9rocsparseL19bsric0_17_32_kernelILi64ELi128ELi32E21rocsparse_complex_numIdEEEv20rocsparse_direction_iiPKiS5_PT2_S5_PiS5_S8_21rocsparse_index_base_
; %bb.0:
	s_load_dwordx8 s[8:15], s[4:5], 0x28
	s_mov_b32 s7, 0
	s_lshl_b64 s[0:1], s[6:7], 2
	s_waitcnt lgkmcnt(0)
	s_add_u32 s0, s12, s0
	s_addc_u32 s1, s13, s1
	s_load_dword s20, s[0:1], 0x0
	s_waitcnt lgkmcnt(0)
	s_ashr_i32 s21, s20, 31
	s_lshl_b64 s[12:13], s[20:21], 2
	s_add_u32 s0, s8, s12
	s_addc_u32 s1, s9, s13
	s_load_dword s33, s[0:1], 0x0
	s_load_dword s21, s[4:5], 0x48
	s_waitcnt lgkmcnt(0)
	s_cmp_lg_u32 s33, -1
	s_cbranch_scc0 .LBB75_124
; %bb.1:
	s_load_dwordx4 s[16:19], s[4:5], 0x10
	s_load_dwordx2 s[22:23], s[4:5], 0x20
	v_lshlrev_b32_e32 v2, 1, v1
	s_waitcnt lgkmcnt(0)
	s_add_u32 s0, s16, s12
	s_addc_u32 s1, s17, s13
	s_load_dword s0, s[0:1], 0x0
	s_waitcnt lgkmcnt(0)
	s_sub_i32 s48, s0, s21
	v_add3_u32 v2, v2, v0, s48
	v_cmp_ge_i32_e32 vcc, s33, v2
	s_and_saveexec_b64 s[0:1], vcc
	s_cbranch_execz .LBB75_4
; %bb.2:
	v_lshlrev_b32_e32 v3, 3, v1
	v_lshlrev_b32_e32 v4, 2, v0
	s_mov_b32 s2, 0xca00
	v_add3_u32 v4, v3, v4, s2
	s_mov_b64 s[2:3], 0
	v_mov_b32_e32 v5, s19
.LBB75_3:                               ; =>This Inner Loop Header: Depth=1
	v_ashrrev_i32_e32 v3, 31, v2
	v_lshlrev_b64 v[6:7], 2, v[2:3]
	v_add_u32_e32 v2, 64, v2
	v_add_co_u32_e32 v6, vcc, s18, v6
	v_addc_co_u32_e32 v7, vcc, v5, v7, vcc
	global_load_dword v3, v[6:7], off
	v_cmp_lt_i32_e32 vcc, s33, v2
	s_or_b64 s[2:3], vcc, s[2:3]
	s_waitcnt vmcnt(0)
	v_subrev_u32_e32 v3, s21, v3
	ds_write_b32 v4, v3
	v_add_u32_e32 v4, 0x100, v4
	s_andn2_b64 exec, exec, s[2:3]
	s_cbranch_execnz .LBB75_3
.LBB75_4:
	s_or_b64 exec, exec, s[0:1]
	v_cmp_gt_u32_e32 vcc, 32, v0
	v_lshlrev_b32_e32 v19, 4, v0
	s_and_saveexec_b64 s[0:1], vcc
	s_cbranch_execz .LBB75_7
; %bb.5:
	v_mul_u32_u24_e32 v2, 0x210, v1
	s_mov_b32 s2, 0x8400
	v_add3_u32 v7, v2, v19, s2
	v_mov_b32_e32 v2, 0
	v_add_u32_e32 v6, -2, v0
	s_mov_b64 s[2:3], 0
	v_mov_b32_e32 v3, v2
	v_mov_b32_e32 v4, v2
	;; [unrolled: 1-line block ×3, first 2 shown]
.LBB75_6:                               ; =>This Inner Loop Header: Depth=1
	v_add_u32_e32 v6, 2, v6
	v_cmp_lt_u32_e32 vcc, 29, v6
	ds_write_b128 v7, v[2:5]
	s_or_b64 s[2:3], vcc, s[2:3]
	v_add_u32_e32 v7, 32, v7
	s_andn2_b64 exec, exec, s[2:3]
	s_cbranch_execnz .LBB75_6
.LBB75_7:
	s_or_b64 exec, exec, s[0:1]
	s_load_dword s46, s[4:5], 0x8
	s_load_dword s47, s[4:5], 0x0
	s_cmp_ge_i32 s48, s33
	s_waitcnt lgkmcnt(0)
	v_cmp_gt_i32_e64 s[0:1], s46, v0
	s_cbranch_scc1 .LBB75_79
; %bb.8:
	v_or_b32_e32 v3, v0, v1
	s_mul_i32 s7, s46, s48
	v_cmp_ne_u32_e64 s[4:5], 0, v3
	v_add_u32_e32 v3, s7, v1
	s_cmp_eq_u32 s47, 0
	v_mul_lo_u32 v22, s46, v1
	v_mul_lo_u32 v25, s46, v3
	;; [unrolled: 1-line block ×3, first 2 shown]
	s_cselect_b64 s[24:25], -1, 0
	s_cmp_lg_u32 s47, 0
	s_movk_i32 s6, 0x210
	s_cselect_b64 s[26:27], -1, 0
	v_mov_b32_e32 v2, 0x4200
	s_cmp_gt_i32 s46, 0
	v_mad_u32_u24 v23, v1, s6, v19
	s_mul_i32 s49, s46, s46
	v_cmp_gt_i32_e64 s[2:3], s46, v1
	v_mul_u32_u24_e32 v20, 0x210, v1
	v_mad_u32_u24 v21, v1, s6, v2
	s_cselect_b64 s[28:29], -1, 0
	s_lshl_b32 s50, s46, 1
	v_add_u32_e32 v26, 0x8400, v23
	v_mad_u32_u24 v27, v0, s6, v2
	v_add_u32_e32 v28, 0x4200, v23
	v_mov_b32_e32 v2, 0
	v_mov_b32_e32 v29, 0x3ff00000
	s_mov_b32 s30, s48
	s_branch .LBB75_10
.LBB75_9:                               ;   in Loop: Header=BB75_10 Depth=1
	s_or_b64 exec, exec, s[6:7]
	s_add_i32 s30, s30, 1
	s_cmp_ge_i32 s30, s33
	s_waitcnt vmcnt(0)
	buffer_wbinvl1_vol
	v_add_u32_e32 v25, s49, v25
	s_cselect_b64 s[6:7], -1, 0
	s_and_b64 vcc, exec, s[6:7]
	s_cbranch_vccnz .LBB75_79
.LBB75_10:                              ; =>This Loop Header: Depth=1
                                        ;     Child Loop BB75_14 Depth 2
                                        ;     Child Loop BB75_26 Depth 2
	;; [unrolled: 1-line block ×4, first 2 shown]
                                        ;       Child Loop BB75_43 Depth 3
                                        ;         Child Loop BB75_48 Depth 4
                                        ;     Child Loop BB75_57 Depth 2
                                        ;       Child Loop BB75_64 Depth 3
                                        ;       Child Loop BB75_68 Depth 3
                                        ;     Child Loop BB75_73 Depth 2
	s_ashr_i32 s31, s30, 31
	s_lshl_b64 s[6:7], s[30:31], 2
	s_add_u32 s6, s18, s6
	s_addc_u32 s7, s19, s7
	s_load_dword s51, s[6:7], 0x0
	s_waitcnt lgkmcnt(0)
	s_sub_i32 s34, s51, s21
	s_ashr_i32 s35, s34, 31
	s_lshl_b64 s[6:7], s[34:35], 2
	s_add_u32 s36, s8, s6
	s_addc_u32 s37, s9, s7
	s_load_dword s52, s[36:37], 0x0
	s_waitcnt lgkmcnt(0)
	s_cmp_eq_u32 s52, -1
	s_cbranch_scc1 .LBB75_78
; %bb.11:                               ;   in Loop: Header=BB75_10 Depth=1
	s_add_u32 s36, s16, s6
	s_addc_u32 s37, s17, s7
	s_load_dword s35, s[36:37], 0x0
	s_mul_i32 s31, s30, s46
	s_and_saveexec_b64 s[36:37], s[0:1]
	s_cbranch_execz .LBB75_24
; %bb.12:                               ;   in Loop: Header=BB75_10 Depth=1
	s_mov_b64 s[38:39], 0
	v_mov_b32_e32 v9, v23
	v_mov_b32_e32 v10, v0
	s_branch .LBB75_14
.LBB75_13:                              ;   in Loop: Header=BB75_14 Depth=2
	s_or_b64 exec, exec, s[42:43]
	v_add_u32_e32 v10, 2, v10
	s_waitcnt vmcnt(0)
	ds_write_b128 v9, v[3:6] offset:16896
	v_mov_b32_e32 v3, v2
	v_mov_b32_e32 v4, v2
	v_mov_b32_e32 v5, v2
	v_cmp_le_i32_e32 vcc, s46, v10
	ds_write_b128 v9, v[2:5]
	s_or_b64 s[38:39], vcc, s[38:39]
	v_add_u32_e32 v9, 32, v9
	s_andn2_b64 exec, exec, s[38:39]
	s_cbranch_execz .LBB75_24
.LBB75_14:                              ;   Parent Loop BB75_10 Depth=1
                                        ; =>  This Inner Loop Header: Depth=2
	s_mov_b64 s[42:43], -1
	s_and_b64 vcc, exec, s[26:27]
	s_mov_b64 s[40:41], 0
                                        ; implicit-def: $vgpr7
	s_cbranch_vccz .LBB75_18
; %bb.15:                               ;   in Loop: Header=BB75_14 Depth=2
	s_mov_b64 s[42:43], 0
                                        ; implicit-def: $vgpr7
	s_and_saveexec_b64 s[44:45], s[2:3]
	s_xor_b64 s[44:45], exec, s[44:45]
; %bb.16:                               ;   in Loop: Header=BB75_14 Depth=2
	v_add_u32_e32 v3, s31, v10
	v_mad_u64_u32 v[7:8], s[54:55], v3, s46, v[1:2]
	s_mov_b64 s[40:41], exec
; %bb.17:                               ;   in Loop: Header=BB75_14 Depth=2
	s_or_b64 exec, exec, s[44:45]
.LBB75_18:                              ;   in Loop: Header=BB75_14 Depth=2
	s_and_b64 vcc, exec, s[42:43]
	s_cbranch_vccz .LBB75_22
; %bb.19:                               ;   in Loop: Header=BB75_14 Depth=2
                                        ; implicit-def: $vgpr7
	s_and_saveexec_b64 s[42:43], s[2:3]
; %bb.20:                               ;   in Loop: Header=BB75_14 Depth=2
	v_add_u32_e32 v7, v25, v10
	s_or_b64 s[40:41], s[40:41], exec
; %bb.21:                               ;   in Loop: Header=BB75_14 Depth=2
	s_or_b64 exec, exec, s[42:43]
.LBB75_22:                              ;   in Loop: Header=BB75_14 Depth=2
	v_mov_b32_e32 v3, 0
	v_mov_b32_e32 v5, 0
	;; [unrolled: 1-line block ×4, first 2 shown]
	s_and_saveexec_b64 s[42:43], s[40:41]
	s_cbranch_execz .LBB75_13
; %bb.23:                               ;   in Loop: Header=BB75_14 Depth=2
	v_ashrrev_i32_e32 v8, 31, v7
	v_lshlrev_b64 v[3:4], 4, v[7:8]
	v_mov_b32_e32 v5, s23
	v_add_co_u32_e32 v3, vcc, s22, v3
	v_addc_co_u32_e32 v4, vcc, v5, v4, vcc
	global_load_dwordx4 v[3:6], v[3:4], off
	s_branch .LBB75_13
.LBB75_24:                              ;   in Loop: Header=BB75_10 Depth=1
	s_or_b64 exec, exec, s[36:37]
	ds_read_b32 v3, v2 offset:51712
	s_waitcnt lgkmcnt(0)
	s_sub_i32 s36, s35, s21
	s_cmp_le_i32 s36, s52
	s_cselect_b64 s[38:39], -1, 0
	s_mov_b32 s37, 0
	v_cmp_ge_i32_e32 vcc, s34, v3
	s_and_b64 s[38:39], s[38:39], vcc
	s_andn2_b64 vcc, exec, s[38:39]
	s_cbranch_vccnz .LBB75_36
; %bb.25:                               ;   in Loop: Header=BB75_10 Depth=1
	s_mov_b32 s35, 0
	s_mov_b32 s40, 0
.LBB75_26:                              ;   Parent Loop BB75_10 Depth=1
                                        ; =>  This Inner Loop Header: Depth=2
	s_ashr_i32 s37, s36, 31
	s_lshl_b64 s[38:39], s[36:37], 2
	s_add_u32 s38, s18, s38
	s_addc_u32 s39, s19, s39
	s_load_dword s37, s[38:39], 0x0
	s_lshl_b32 s38, s40, 2
	v_mov_b32_e32 v3, s38
	ds_read_b32 v3, v3 offset:51712
	s_mov_b64 s[38:39], -1
	s_waitcnt lgkmcnt(0)
	s_sub_i32 s44, s37, s21
                                        ; implicit-def: $sgpr37
                                        ; implicit-def: $sgpr43
                                        ; implicit-def: $sgpr42
	v_cmp_ge_i32_e32 vcc, s44, v3
	v_readfirstlane_b32 s41, v3
	s_cbranch_vccz .LBB75_32
; %bb.27:                               ;   in Loop: Header=BB75_26 Depth=2
	s_cmp_le_i32 s44, s41
                                        ; implicit-def: $sgpr37
                                        ; implicit-def: $sgpr43
                                        ; implicit-def: $sgpr42
	s_cbranch_scc0 .LBB75_29
; %bb.28:                               ;   in Loop: Header=BB75_26 Depth=2
	s_add_i32 s37, s40, s48
	s_mul_i32 s37, s37, s49
	s_lshl_b32 s38, s35, 2
	v_mov_b32_e32 v4, s37
	s_mul_i32 s37, s36, s49
	v_mov_b32_e32 v3, s38
	v_mov_b32_e32 v5, s37
	ds_write2st64_b32 v3, v5, v4 offset0:198 offset1:200
	s_add_i32 s42, s40, 1
	s_add_i32 s43, s36, 1
	s_add_i32 s37, s35, 1
	s_mov_b64 s[38:39], 0
.LBB75_29:                              ;   in Loop: Header=BB75_26 Depth=2
	s_andn2_b64 vcc, exec, s[38:39]
	s_cbranch_vccnz .LBB75_31
; %bb.30:                               ;   in Loop: Header=BB75_26 Depth=2
	s_add_i32 s42, s40, 1
	s_mov_b32 s37, s35
	s_mov_b32 s43, s36
.LBB75_31:                              ;   in Loop: Header=BB75_26 Depth=2
	s_mov_b64 s[38:39], 0
.LBB75_32:                              ;   in Loop: Header=BB75_26 Depth=2
	s_andn2_b64 vcc, exec, s[38:39]
	s_cbranch_vccnz .LBB75_34
; %bb.33:                               ;   in Loop: Header=BB75_26 Depth=2
	s_add_i32 s43, s36, 1
	s_mov_b32 s42, s40
	s_mov_b32 s37, s35
.LBB75_34:                              ;   in Loop: Header=BB75_26 Depth=2
	s_cmp_le_i32 s43, s52
	s_cselect_b64 s[38:39], -1, 0
	s_cmp_le_i32 s41, s34
	s_cselect_b64 s[40:41], -1, 0
	s_and_b64 s[38:39], s[38:39], s[40:41]
	s_and_b64 vcc, exec, s[38:39]
	s_cbranch_vccz .LBB75_36
; %bb.35:                               ;   in Loop: Header=BB75_26 Depth=2
	s_mov_b32 s35, s37
	s_mov_b32 s36, s43
	;; [unrolled: 1-line block ×3, first 2 shown]
	s_branch .LBB75_26
.LBB75_36:                              ;   in Loop: Header=BB75_10 Depth=1
	s_add_u32 s6, s10, s6
	s_addc_u32 s7, s11, s7
	s_waitcnt lgkmcnt(0)
.LBB75_37:                              ;   Parent Loop BB75_10 Depth=1
                                        ; =>  This Inner Loop Header: Depth=2
	global_load_dword v3, v2, s[6:7] glc
	s_waitcnt vmcnt(0)
	v_cmp_eq_u32_e32 vcc, 0, v3
	s_cbranch_vccnz .LBB75_37
; %bb.38:                               ;   in Loop: Header=BB75_10 Depth=1
	s_cmp_lt_i32 s37, 2
	buffer_wbinvl1_vol
	s_cbranch_scc1 .LBB75_54
; %bb.39:                               ;   in Loop: Header=BB75_10 Depth=1
	s_add_i32 s38, s37, -2
	s_mov_b32 s39, 0
	s_branch .LBB75_41
.LBB75_40:                              ;   in Loop: Header=BB75_41 Depth=2
	s_or_b64 exec, exec, s[6:7]
	s_add_i32 s6, s39, 1
	s_cmp_eq_u32 s39, s38
	s_mov_b32 s39, s6
	s_cbranch_scc1 .LBB75_54
.LBB75_41:                              ;   Parent Loop BB75_10 Depth=1
                                        ; =>  This Loop Header: Depth=2
                                        ;       Child Loop BB75_43 Depth 3
                                        ;         Child Loop BB75_48 Depth 4
	s_and_saveexec_b64 s[6:7], s[0:1]
	s_cbranch_execz .LBB75_40
; %bb.42:                               ;   in Loop: Header=BB75_41 Depth=2
	s_lshl_b32 s34, s39, 2
	v_mov_b32_e32 v3, s34
	ds_read2st64_b32 v[3:4], v3 offset0:198 offset1:200
	s_mov_b64 s[34:35], 0
	v_mov_b32_e32 v34, v0
	s_waitcnt lgkmcnt(0)
	v_add_u32_e32 v30, v4, v22
	v_add_u32_e32 v31, v1, v4
	;; [unrolled: 1-line block ×4, first 2 shown]
.LBB75_43:                              ;   Parent Loop BB75_10 Depth=1
                                        ;     Parent Loop BB75_41 Depth=2
                                        ; =>    This Loop Header: Depth=3
                                        ;         Child Loop BB75_48 Depth 4
	v_mov_b32_e32 v15, 0
	v_mov_b32_e32 v17, 0
	;; [unrolled: 1-line block ×3, first 2 shown]
	s_mov_b32 s40, 0
	v_mov_b32_e32 v11, v32
	v_mov_b32_e32 v18, 0
	;; [unrolled: 1-line block ×3, first 2 shown]
	s_mov_b64 s[36:37], -1
	s_and_b64 vcc, exec, s[26:27]
                                        ; implicit-def: $vgpr3_vgpr4
                                        ; implicit-def: $vgpr5_vgpr6
	s_cbranch_vccz .LBB75_48
	s_branch .LBB75_45
.LBB75_44:                              ;   in Loop: Header=BB75_48 Depth=4
	v_mov_b32_e32 v16, v4
	v_mov_b32_e32 v18, v6
	;; [unrolled: 1-line block ×4, first 2 shown]
	s_mov_b64 s[36:37], -1
	s_and_b64 vcc, exec, s[26:27]
                                        ; implicit-def: $vgpr3_vgpr4
                                        ; implicit-def: $vgpr5_vgpr6
	s_cbranch_vccz .LBB75_48
.LBB75_45:                              ;   in Loop: Header=BB75_43 Depth=3
	v_ashrrev_i32_e32 v12, 31, v11
	v_lshlrev_b64 v[3:4], 4, v[11:12]
	v_mov_b32_e32 v5, s23
	v_add_co_u32_e32 v3, vcc, s22, v3
	v_addc_co_u32_e32 v4, vcc, v5, v4, vcc
	global_load_dwordx4 v[3:6], v[3:4], off
	v_mov_b32_e32 v7, 0
	v_mov_b32_e32 v9, 0
	;; [unrolled: 1-line block ×4, first 2 shown]
	s_and_saveexec_b64 s[36:37], s[2:3]
	s_cbranch_execz .LBB75_47
; %bb.46:                               ;   in Loop: Header=BB75_43 Depth=3
	v_ashrrev_i32_e32 v14, 31, v13
	v_lshlrev_b64 v[7:8], 4, v[13:14]
	v_mov_b32_e32 v9, s23
	v_add_co_u32_e32 v7, vcc, s22, v7
	v_addc_co_u32_e32 v8, vcc, v9, v8, vcc
	global_load_dwordx4 v[7:10], v[7:8], off
.LBB75_47:                              ;   in Loop: Header=BB75_43 Depth=3
	s_or_b64 exec, exec, s[36:37]
	s_waitcnt vmcnt(0)
	v_fma_f64 v[35:36], v[3:4], v[7:8], v[17:18]
	v_fma_f64 v[7:8], v[5:6], v[7:8], v[15:16]
	s_mov_b64 s[36:37], 0
	v_fma_f64 v[5:6], v[5:6], v[9:10], v[35:36]
	v_fma_f64 v[3:4], v[3:4], -v[9:10], v[7:8]
.LBB75_48:                              ;   Parent Loop BB75_10 Depth=1
                                        ;     Parent Loop BB75_41 Depth=2
                                        ;       Parent Loop BB75_43 Depth=3
                                        ; =>      This Inner Loop Header: Depth=4
	s_and_b64 vcc, exec, s[36:37]
	s_cbranch_vccz .LBB75_52
; %bb.49:                               ;   in Loop: Header=BB75_48 Depth=4
	v_add_u32_e32 v3, s40, v33
	v_ashrrev_i32_e32 v4, 31, v3
	v_lshlrev_b64 v[3:4], 4, v[3:4]
	v_mov_b32_e32 v5, s23
	v_add_co_u32_e32 v3, vcc, s22, v3
	v_addc_co_u32_e32 v4, vcc, v5, v4, vcc
	global_load_dwordx4 v[3:6], v[3:4], off
	v_mov_b32_e32 v7, 0
	v_mov_b32_e32 v9, 0
	v_mov_b32_e32 v8, 0
	v_mov_b32_e32 v10, 0
	s_and_saveexec_b64 s[36:37], s[2:3]
	s_cbranch_execz .LBB75_51
; %bb.50:                               ;   in Loop: Header=BB75_48 Depth=4
	v_add_u32_e32 v7, s40, v30
	v_ashrrev_i32_e32 v8, 31, v7
	v_lshlrev_b64 v[7:8], 4, v[7:8]
	v_mov_b32_e32 v9, s23
	v_add_co_u32_e32 v7, vcc, s22, v7
	v_addc_co_u32_e32 v8, vcc, v9, v8, vcc
	global_load_dwordx4 v[7:10], v[7:8], off
.LBB75_51:                              ;   in Loop: Header=BB75_48 Depth=4
	s_or_b64 exec, exec, s[36:37]
	s_waitcnt vmcnt(0)
	v_fma_f64 v[17:18], v[3:4], v[7:8], v[17:18]
	v_fma_f64 v[7:8], v[5:6], v[7:8], v[15:16]
	;; [unrolled: 1-line block ×3, first 2 shown]
	v_fma_f64 v[3:4], v[3:4], -v[9:10], v[7:8]
.LBB75_52:                              ;   in Loop: Header=BB75_48 Depth=4
	s_add_i32 s40, s40, 1
	v_add_u32_e32 v13, s46, v13
	s_cmp_eq_u32 s46, s40
	v_add_u32_e32 v11, s46, v11
	s_cbranch_scc0 .LBB75_44
; %bb.53:                               ;   in Loop: Header=BB75_43 Depth=3
	v_lshl_add_u32 v11, v34, 4, v20
	ds_read_b128 v[7:10], v11
	v_add_u32_e32 v34, 2, v34
	v_cmp_le_i32_e32 vcc, s46, v34
	v_add_u32_e32 v32, 2, v32
	s_or_b64 s[34:35], vcc, s[34:35]
	s_waitcnt lgkmcnt(0)
	v_add_f64 v[5:6], v[5:6], v[7:8]
	v_add_f64 v[7:8], v[3:4], v[9:10]
	v_add_u32_e32 v33, s50, v33
	ds_write_b128 v11, v[5:8]
	s_andn2_b64 exec, exec, s[34:35]
	s_cbranch_execnz .LBB75_43
	s_branch .LBB75_40
.LBB75_54:                              ;   in Loop: Header=BB75_10 Depth=1
	s_andn2_b64 vcc, exec, s[28:29]
	s_waitcnt lgkmcnt(0)
	s_cbranch_vccnz .LBB75_69
; %bb.55:                               ;   in Loop: Header=BB75_10 Depth=1
	s_mul_i32 s36, s49, s52
	s_mov_b32 s37, 0
	v_mov_b32_e32 v15, v27
	s_mov_b32 s38, s36
	s_branch .LBB75_57
.LBB75_56:                              ;   in Loop: Header=BB75_57 Depth=2
	s_or_b64 exec, exec, s[6:7]
	s_add_i32 s37, s37, 1
	s_add_i32 s38, s38, 1
	s_cmp_eq_u32 s37, s46
	v_add_u32_e32 v15, 16, v15
	s_waitcnt lgkmcnt(0)
	s_cbranch_scc1 .LBB75_69
.LBB75_57:                              ;   Parent Loop BB75_10 Depth=1
                                        ; =>  This Loop Header: Depth=2
                                        ;       Child Loop BB75_64 Depth 3
                                        ;       Child Loop BB75_68 Depth 3
	s_mul_i32 s39, s37, s46
	s_add_i32 s39, s39, s36
	s_add_i32 s6, s39, s37
	s_ashr_i32 s7, s6, 31
	s_lshl_b64 s[6:7], s[6:7], 4
	s_add_u32 s6, s22, s6
	s_addc_u32 s7, s23, s7
	global_load_dwordx4 v[7:10], v2, s[6:7]
	v_lshl_add_u32 v16, s37, 4, v21
	ds_read_b128 v[3:6], v16
	s_waitcnt vmcnt(0)
	v_cmp_neq_f64_e32 vcc, 0, v[7:8]
	v_cmp_neq_f64_e64 s[6:7], 0, v[9:10]
	s_or_b64 vcc, vcc, s[6:7]
	v_cndmask_b32_e32 v12, v29, v8, vcc
	s_nor_b64 s[34:35], vcc, s[4:5]
	v_cndmask_b32_e32 v11, 0, v7, vcc
	v_cndmask_b32_e32 v14, 0, v10, vcc
	;; [unrolled: 1-line block ×3, first 2 shown]
	s_and_saveexec_b64 s[6:7], s[34:35]
	s_cbranch_execz .LBB75_61
; %bb.58:                               ;   in Loop: Header=BB75_57 Depth=2
	v_mbcnt_lo_u32_b32 v7, exec_lo, 0
	v_mbcnt_hi_u32_b32 v7, exec_hi, v7
	v_cmp_eq_u32_e32 vcc, 0, v7
	s_and_saveexec_b64 s[34:35], vcc
	s_cbranch_execz .LBB75_60
; %bb.59:                               ;   in Loop: Header=BB75_57 Depth=2
	v_mov_b32_e32 v7, s51
	global_atomic_smin v2, v7, s[14:15]
.LBB75_60:                              ;   in Loop: Header=BB75_57 Depth=2
	s_or_b64 exec, exec, s[34:35]
	v_mov_b32_e32 v13, 0
	v_mov_b32_e32 v11, 0
	;; [unrolled: 1-line block ×4, first 2 shown]
.LBB75_61:                              ;   in Loop: Header=BB75_57 Depth=2
	s_or_b64 exec, exec, s[6:7]
	v_lshl_add_u32 v7, s37, 4, v20
	ds_read_b128 v[7:10], v7
	s_cmp_eq_u32 s37, 0
	s_cbranch_scc1 .LBB75_66
; %bb.62:                               ;   in Loop: Header=BB75_57 Depth=2
	s_mov_b32 s34, 0
	s_mov_b32 s35, s37
	;; [unrolled: 1-line block ×3, first 2 shown]
	v_mov_b32_e32 v17, v21
	s_branch .LBB75_64
.LBB75_63:                              ;   in Loop: Header=BB75_64 Depth=3
	s_ashr_i32 s7, s6, 31
	s_lshl_b64 s[6:7], s[6:7], 4
	s_add_u32 s6, s22, s6
	s_addc_u32 s7, s23, s7
	global_load_dwordx4 v[30:33], v2, s[6:7]
	ds_read_b128 v[34:37], v17
	s_add_i32 s34, s34, 1
	s_add_i32 s40, s40, s46
	s_add_i32 s35, s35, -1
	s_cmp_eq_u32 s35, 0
	v_add_u32_e32 v17, 16, v17
	s_waitcnt vmcnt(0) lgkmcnt(0)
	v_fma_f64 v[7:8], v[30:31], v[34:35], v[7:8]
	v_fma_f64 v[9:10], v[32:33], v[34:35], v[9:10]
	;; [unrolled: 1-line block ×3, first 2 shown]
	v_fma_f64 v[9:10], v[30:31], -v[36:37], v[9:10]
	s_cbranch_scc1 .LBB75_66
.LBB75_64:                              ;   Parent Loop BB75_10 Depth=1
                                        ;     Parent Loop BB75_57 Depth=2
                                        ; =>    This Inner Loop Header: Depth=3
	s_andn2_b64 vcc, exec, s[24:25]
	s_mov_b32 s6, s40
	s_cbranch_vccnz .LBB75_63
; %bb.65:                               ;   in Loop: Header=BB75_64 Depth=3
	s_add_i32 s6, s34, s39
	s_branch .LBB75_63
.LBB75_66:                              ;   in Loop: Header=BB75_57 Depth=2
	v_mul_f64 v[17:18], v[13:14], v[13:14]
	s_waitcnt lgkmcnt(0)
	v_add_f64 v[5:6], v[5:6], -v[9:10]
	v_add_f64 v[3:4], v[3:4], -v[7:8]
	v_fma_f64 v[17:18], v[11:12], v[11:12], v[17:18]
	v_mul_f64 v[7:8], v[13:14], v[5:6]
	v_mul_f64 v[13:14], v[13:14], -v[3:4]
	v_div_scale_f64 v[30:31], s[6:7], v[17:18], v[17:18], 1.0
	v_fma_f64 v[3:4], v[3:4], v[11:12], v[7:8]
	v_fma_f64 v[5:6], v[5:6], v[11:12], v[13:14]
	v_rcp_f64_e32 v[32:33], v[30:31]
	v_fma_f64 v[34:35], -v[30:31], v[32:33], 1.0
	v_fma_f64 v[32:33], v[32:33], v[34:35], v[32:33]
	v_div_scale_f64 v[34:35], vcc, 1.0, v[17:18], 1.0
	v_fma_f64 v[36:37], -v[30:31], v[32:33], 1.0
	v_fma_f64 v[32:33], v[32:33], v[36:37], v[32:33]
	v_mul_f64 v[36:37], v[34:35], v[32:33]
	v_fma_f64 v[30:31], -v[30:31], v[36:37], v[34:35]
	v_div_fmas_f64 v[9:10], v[30:31], v[32:33], v[36:37]
	v_div_fixup_f64 v[7:8], v[9:10], v[17:18], 1.0
	v_mul_f64 v[3:4], v[7:8], v[3:4]
	v_mul_f64 v[5:6], v[7:8], v[5:6]
	ds_write_b128 v16, v[3:6]
	s_waitcnt lgkmcnt(0)
	s_and_saveexec_b64 s[6:7], s[0:1]
	s_cbranch_execz .LBB75_56
; %bb.67:                               ;   in Loop: Header=BB75_57 Depth=2
	s_mov_b64 s[34:35], 0
	v_mov_b32_e32 v7, v15
	v_mov_b32_e32 v8, v26
	;; [unrolled: 1-line block ×3, first 2 shown]
.LBB75_68:                              ;   Parent Loop BB75_10 Depth=1
                                        ;     Parent Loop BB75_57 Depth=2
                                        ; =>    This Inner Loop Header: Depth=3
	ds_read_b128 v[10:13], v7
	ds_read_b128 v[30:33], v8
	v_add_u32_e32 v9, 2, v9
	v_cmp_le_i32_e32 vcc, s46, v9
	s_or_b64 s[34:35], vcc, s[34:35]
	v_add_u32_e32 v7, 0x420, v7
	s_waitcnt lgkmcnt(0)
	v_fma_f64 v[16:17], v[3:4], v[10:11], v[30:31]
	v_fma_f64 v[30:31], v[5:6], v[10:11], v[32:33]
	;; [unrolled: 1-line block ×3, first 2 shown]
	v_fma_f64 v[12:13], v[3:4], -v[12:13], v[30:31]
	ds_write_b128 v8, v[10:13]
	v_add_u32_e32 v8, 32, v8
	s_andn2_b64 exec, exec, s[34:35]
	s_cbranch_execnz .LBB75_68
	s_branch .LBB75_56
.LBB75_69:                              ;   in Loop: Header=BB75_10 Depth=1
	s_and_saveexec_b64 s[6:7], s[0:1]
	s_cbranch_execz .LBB75_9
; %bb.70:                               ;   in Loop: Header=BB75_10 Depth=1
	s_mov_b64 s[34:35], 0
	v_mov_b32_e32 v5, v28
	v_mov_b32_e32 v6, v0
	s_branch .LBB75_73
.LBB75_71:                              ;   in Loop: Header=BB75_73 Depth=2
	v_ashrrev_i32_e32 v4, 31, v3
	ds_read2_b64 v[7:10], v5 offset1:1
	v_lshlrev_b64 v[3:4], 4, v[3:4]
	v_mov_b32_e32 v11, s23
	v_add_co_u32_e32 v3, vcc, s22, v3
	v_addc_co_u32_e32 v4, vcc, v11, v4, vcc
	s_waitcnt lgkmcnt(0)
	global_store_dwordx4 v[3:4], v[7:10], off
.LBB75_72:                              ;   in Loop: Header=BB75_73 Depth=2
	s_or_b64 exec, exec, s[36:37]
	v_add_u32_e32 v6, 2, v6
	v_cmp_le_i32_e32 vcc, s46, v6
	s_or_b64 s[34:35], vcc, s[34:35]
	v_add_u32_e32 v5, 32, v5
	s_andn2_b64 exec, exec, s[34:35]
	s_cbranch_execz .LBB75_9
.LBB75_73:                              ;   Parent Loop BB75_10 Depth=1
                                        ; =>  This Inner Loop Header: Depth=2
	s_and_saveexec_b64 s[36:37], s[2:3]
	s_cbranch_execz .LBB75_72
; %bb.74:                               ;   in Loop: Header=BB75_73 Depth=2
	s_mov_b64 s[38:39], -1
	s_and_b64 vcc, exec, s[26:27]
                                        ; implicit-def: $vgpr3
	s_cbranch_vccz .LBB75_76
; %bb.75:                               ;   in Loop: Header=BB75_73 Depth=2
	v_add_u32_e32 v3, s31, v6
	v_mad_u64_u32 v[3:4], s[38:39], v3, s46, v[1:2]
	s_mov_b64 s[38:39], 0
.LBB75_76:                              ;   in Loop: Header=BB75_73 Depth=2
	s_andn2_b64 vcc, exec, s[38:39]
	s_cbranch_vccnz .LBB75_71
; %bb.77:                               ;   in Loop: Header=BB75_73 Depth=2
	v_add_u32_e32 v3, v25, v6
	s_branch .LBB75_71
.LBB75_78:                              ;   in Loop: Header=BB75_10 Depth=1
                                        ; implicit-def: $sgpr30
                                        ; implicit-def: $vgpr25
	s_cbranch_execz .LBB75_10
.LBB75_79:
	v_cmp_gt_i32_e64 s[0:1], s46, v0
	s_and_saveexec_b64 s[4:5], s[0:1]
	s_cbranch_execz .LBB75_92
; %bb.80:
	s_mul_i32 s26, s33, s46
	v_add_u32_e32 v2, s26, v1
	v_mul_lo_u32 v8, v2, s46
	s_cmp_lg_u32 s47, 0
	v_mul_u32_u24_e32 v2, 0x210, v1
	s_movk_i32 s8, 0x4200
	s_cselect_b64 s[6:7], -1, 0
	v_cmp_gt_i32_e64 s[2:3], s46, v1
	v_add3_u32 v9, v2, v19, s8
	s_mov_b64 s[8:9], 0
	v_mov_b32_e32 v10, v0
	s_branch .LBB75_82
.LBB75_81:                              ;   in Loop: Header=BB75_82 Depth=1
	s_or_b64 exec, exec, s[18:19]
	v_add_u32_e32 v10, 2, v10
	v_cmp_le_i32_e32 vcc, s46, v10
	s_waitcnt vmcnt(0)
	ds_write_b128 v9, v[2:5]
	s_or_b64 s[8:9], vcc, s[8:9]
	v_add_u32_e32 v9, 32, v9
	s_andn2_b64 exec, exec, s[8:9]
	s_cbranch_execz .LBB75_92
.LBB75_82:                              ; =>This Inner Loop Header: Depth=1
	s_and_b64 vcc, exec, s[6:7]
	s_cbranch_vccz .LBB75_86
; %bb.83:                               ;   in Loop: Header=BB75_82 Depth=1
	s_mov_b64 s[18:19], 0
	s_mov_b64 s[16:17], 0
                                        ; implicit-def: $vgpr6
	s_and_saveexec_b64 s[24:25], s[2:3]
	s_xor_b64 s[24:25], exec, s[24:25]
; %bb.84:                               ;   in Loop: Header=BB75_82 Depth=1
	v_add_u32_e32 v2, s26, v10
	s_mov_b64 s[16:17], exec
	v_mad_u64_u32 v[6:7], s[28:29], v2, s46, v[1:2]
; %bb.85:                               ;   in Loop: Header=BB75_82 Depth=1
	s_or_b64 exec, exec, s[24:25]
	s_and_b64 vcc, exec, s[18:19]
	s_cbranch_vccnz .LBB75_87
	s_branch .LBB75_90
.LBB75_86:                              ;   in Loop: Header=BB75_82 Depth=1
	s_mov_b64 s[16:17], 0
                                        ; implicit-def: $vgpr6
	s_cbranch_execz .LBB75_90
.LBB75_87:                              ;   in Loop: Header=BB75_82 Depth=1
                                        ; implicit-def: $vgpr6
	s_and_saveexec_b64 s[18:19], s[2:3]
; %bb.88:                               ;   in Loop: Header=BB75_82 Depth=1
	v_add_u32_e32 v6, v8, v10
	s_or_b64 s[16:17], s[16:17], exec
; %bb.89:                               ;   in Loop: Header=BB75_82 Depth=1
	s_or_b64 exec, exec, s[18:19]
.LBB75_90:                              ;   in Loop: Header=BB75_82 Depth=1
	v_mov_b32_e32 v2, 0
	v_mov_b32_e32 v4, 0
	;; [unrolled: 1-line block ×4, first 2 shown]
	s_and_saveexec_b64 s[18:19], s[16:17]
	s_cbranch_execz .LBB75_81
; %bb.91:                               ;   in Loop: Header=BB75_82 Depth=1
	v_ashrrev_i32_e32 v7, 31, v6
	v_lshlrev_b64 v[2:3], 4, v[6:7]
	v_mov_b32_e32 v4, s23
	v_add_co_u32_e32 v2, vcc, s22, v2
	v_addc_co_u32_e32 v3, vcc, v4, v3, vcc
	global_load_dwordx4 v[2:5], v[2:3], off
	s_branch .LBB75_81
.LBB75_92:
	s_or_b64 exec, exec, s[4:5]
	s_cmp_lt_i32 s46, 1
	s_waitcnt lgkmcnt(0)
	s_cbranch_scc1 .LBB75_111
; %bb.93:
	v_or_b32_e32 v4, v0, v1
	s_movk_i32 s4, 0x210
	v_mov_b32_e32 v2, 0x4200
	v_cmp_ne_u32_e64 s[2:3], 0, v4
	v_mov_b32_e32 v4, 0x8400
	v_mad_u32_u24 v11, v1, s4, v2
	v_mul_u32_u24_e32 v3, 0x210, v1
	s_mov_b32 s5, 0x8400
	v_mad_u32_u24 v12, v1, s4, v4
	v_lshlrev_b32_e32 v4, 4, v1
	s_mov_b32 s6, 0
	s_mov_b32 s18, 0
	s_add_i32 s19, s20, s21
	v_add_u32_e32 v13, v11, v4
	v_add_u32_e32 v14, v12, v4
	v_add3_u32 v15, v3, v19, s5
	v_mad_u32_u24 v16, v0, s4, v2
	s_brev_b32 s7, 8
	v_mov_b32_e32 v17, 0x260
	v_mov_b32_e32 v4, 0
	;; [unrolled: 1-line block ×5, first 2 shown]
	s_branch .LBB75_95
.LBB75_94:                              ;   in Loop: Header=BB75_95 Depth=1
	s_or_b64 exec, exec, s[4:5]
	s_add_i32 s18, s18, 1
	s_cmp_eq_u32 s18, s46
	v_add_u32_e32 v16, 16, v16
	s_waitcnt lgkmcnt(0)
	s_cbranch_scc1 .LBB75_111
.LBB75_95:                              ; =>This Loop Header: Depth=1
                                        ;     Child Loop BB75_110 Depth 2
	v_cmp_eq_u32_e32 vcc, s18, v1
	s_and_saveexec_b64 s[4:5], vcc
	s_cbranch_execz .LBB75_103
; %bb.96:                               ;   in Loop: Header=BB75_95 Depth=1
	ds_read_b128 v[5:8], v14
	ds_read_b128 v[22:25], v13
	s_waitcnt lgkmcnt(0)
	v_add_f64 v[2:3], v[22:23], -v[5:6]
	v_add_f64 v[9:10], v[24:25], -v[7:8]
                                        ; implicit-def: $vgpr7_vgpr8
	v_cmp_gt_f64_e32 vcc, 0, v[2:3]
	v_xor_b32_e32 v5, 0x80000000, v3
	v_xor_b32_e32 v6, 0x80000000, v10
	v_cndmask_b32_e32 v3, v3, v5, vcc
	v_cmp_gt_f64_e32 vcc, 0, v[9:10]
	v_mov_b32_e32 v5, v9
	v_cndmask_b32_e32 v6, v10, v6, vcc
	v_cmp_ngt_f64_e32 vcc, v[2:3], v[5:6]
	s_and_saveexec_b64 s[8:9], vcc
	s_xor_b64 s[8:9], exec, s[8:9]
	s_cbranch_execz .LBB75_100
; %bb.97:                               ;   in Loop: Header=BB75_95 Depth=1
	v_cmp_neq_f64_e32 vcc, 0, v[9:10]
	v_mov_b32_e32 v7, 0
	v_mov_b32_e32 v8, 0
	s_and_saveexec_b64 s[16:17], vcc
	s_cbranch_execz .LBB75_99
; %bb.98:                               ;   in Loop: Header=BB75_95 Depth=1
	v_div_scale_f64 v[7:8], s[24:25], v[5:6], v[5:6], v[2:3]
	v_rcp_f64_e32 v[9:10], v[7:8]
	v_fma_f64 v[22:23], -v[7:8], v[9:10], 1.0
	v_fma_f64 v[9:10], v[9:10], v[22:23], v[9:10]
	v_div_scale_f64 v[22:23], vcc, v[2:3], v[5:6], v[2:3]
	v_fma_f64 v[24:25], -v[7:8], v[9:10], 1.0
	v_fma_f64 v[9:10], v[9:10], v[24:25], v[9:10]
	v_mul_f64 v[24:25], v[22:23], v[9:10]
	v_fma_f64 v[7:8], -v[7:8], v[24:25], v[22:23]
	v_div_fmas_f64 v[7:8], v[7:8], v[9:10], v[24:25]
	v_div_fixup_f64 v[2:3], v[7:8], v[5:6], v[2:3]
	v_fma_f64 v[2:3], v[2:3], v[2:3], 1.0
	v_cmp_gt_f64_e32 vcc, s[6:7], v[2:3]
	v_cndmask_b32_e32 v7, 0, v20, vcc
	v_ldexp_f64 v[2:3], v[2:3], v7
	v_rsq_f64_e32 v[7:8], v[2:3]
	v_mul_f64 v[9:10], v[2:3], v[7:8]
	v_mul_f64 v[7:8], v[7:8], 0.5
	v_fma_f64 v[22:23], -v[7:8], v[9:10], 0.5
	v_fma_f64 v[9:10], v[9:10], v[22:23], v[9:10]
	v_fma_f64 v[7:8], v[7:8], v[22:23], v[7:8]
	v_fma_f64 v[22:23], -v[9:10], v[9:10], v[2:3]
	v_fma_f64 v[9:10], v[22:23], v[7:8], v[9:10]
	v_fma_f64 v[22:23], -v[9:10], v[9:10], v[2:3]
	v_fma_f64 v[7:8], v[22:23], v[7:8], v[9:10]
	v_cndmask_b32_e32 v9, 0, v21, vcc
	v_cmp_class_f64_e32 vcc, v[2:3], v17
	v_ldexp_f64 v[7:8], v[7:8], v9
	v_cndmask_b32_e32 v3, v8, v3, vcc
	v_cndmask_b32_e32 v2, v7, v2, vcc
	v_mul_f64 v[7:8], v[5:6], v[2:3]
.LBB75_99:                              ;   in Loop: Header=BB75_95 Depth=1
	s_or_b64 exec, exec, s[16:17]
                                        ; implicit-def: $vgpr2_vgpr3
                                        ; implicit-def: $vgpr5_vgpr6
.LBB75_100:                             ;   in Loop: Header=BB75_95 Depth=1
	s_andn2_saveexec_b64 s[8:9], s[8:9]
	s_cbranch_execz .LBB75_102
; %bb.101:                              ;   in Loop: Header=BB75_95 Depth=1
	v_div_scale_f64 v[7:8], s[16:17], v[2:3], v[2:3], v[5:6]
	v_rcp_f64_e32 v[9:10], v[7:8]
	v_fma_f64 v[22:23], -v[7:8], v[9:10], 1.0
	v_fma_f64 v[9:10], v[9:10], v[22:23], v[9:10]
	v_div_scale_f64 v[22:23], vcc, v[5:6], v[2:3], v[5:6]
	v_fma_f64 v[24:25], -v[7:8], v[9:10], 1.0
	v_fma_f64 v[9:10], v[9:10], v[24:25], v[9:10]
	v_mul_f64 v[24:25], v[22:23], v[9:10]
	v_fma_f64 v[7:8], -v[7:8], v[24:25], v[22:23]
	v_div_fmas_f64 v[7:8], v[7:8], v[9:10], v[24:25]
	v_div_fixup_f64 v[5:6], v[7:8], v[2:3], v[5:6]
	v_fma_f64 v[5:6], v[5:6], v[5:6], 1.0
	v_cmp_gt_f64_e32 vcc, s[6:7], v[5:6]
	v_cndmask_b32_e32 v7, 0, v20, vcc
	v_ldexp_f64 v[5:6], v[5:6], v7
	v_rsq_f64_e32 v[7:8], v[5:6]
	v_mul_f64 v[9:10], v[5:6], v[7:8]
	v_mul_f64 v[7:8], v[7:8], 0.5
	v_fma_f64 v[22:23], -v[7:8], v[9:10], 0.5
	v_fma_f64 v[9:10], v[9:10], v[22:23], v[9:10]
	v_fma_f64 v[7:8], v[7:8], v[22:23], v[7:8]
	v_fma_f64 v[22:23], -v[9:10], v[9:10], v[5:6]
	v_fma_f64 v[9:10], v[22:23], v[7:8], v[9:10]
	v_fma_f64 v[22:23], -v[9:10], v[9:10], v[5:6]
	v_fma_f64 v[7:8], v[22:23], v[7:8], v[9:10]
	v_cndmask_b32_e32 v9, 0, v21, vcc
	v_cmp_class_f64_e32 vcc, v[5:6], v17
	v_ldexp_f64 v[7:8], v[7:8], v9
	v_cndmask_b32_e32 v6, v8, v6, vcc
	v_cndmask_b32_e32 v5, v7, v5, vcc
	v_mul_f64 v[7:8], v[2:3], v[5:6]
.LBB75_102:                             ;   in Loop: Header=BB75_95 Depth=1
	s_or_b64 exec, exec, s[8:9]
	v_cmp_gt_f64_e32 vcc, s[6:7], v[7:8]
	v_cndmask_b32_e32 v2, 0, v20, vcc
	v_ldexp_f64 v[2:3], v[7:8], v2
	v_rsq_f64_e32 v[5:6], v[2:3]
	v_mul_f64 v[7:8], v[2:3], v[5:6]
	v_mul_f64 v[5:6], v[5:6], 0.5
	v_fma_f64 v[9:10], -v[5:6], v[7:8], 0.5
	v_fma_f64 v[7:8], v[7:8], v[9:10], v[7:8]
	v_fma_f64 v[5:6], v[5:6], v[9:10], v[5:6]
	v_fma_f64 v[9:10], -v[7:8], v[7:8], v[2:3]
	v_fma_f64 v[7:8], v[9:10], v[5:6], v[7:8]
	v_fma_f64 v[9:10], -v[7:8], v[7:8], v[2:3]
	v_fma_f64 v[5:6], v[9:10], v[5:6], v[7:8]
	v_cndmask_b32_e32 v7, 0, v21, vcc
	v_cmp_class_f64_e32 vcc, v[2:3], v17
	v_ldexp_f64 v[5:6], v[5:6], v7
	v_cndmask_b32_e32 v3, v6, v3, vcc
	v_cndmask_b32_e32 v2, v5, v2, vcc
	v_mov_b32_e32 v5, v4
	ds_write_b128 v13, v[2:5]
.LBB75_103:                             ;   in Loop: Header=BB75_95 Depth=1
	s_or_b64 exec, exec, s[4:5]
	s_lshl_b32 s8, s18, 4
	s_mul_i32 s4, s18, 0x210
	s_add_i32 s4, s4, s8
	v_mov_b32_e32 v2, s4
	s_waitcnt lgkmcnt(0)
	ds_read_b128 v[23:26], v2 offset:16896
	v_add_u32_e32 v22, s8, v11
	ds_read_b128 v[5:8], v22
	s_waitcnt lgkmcnt(1)
	v_cmp_neq_f64_e32 vcc, 0, v[23:24]
	v_cmp_neq_f64_e64 s[4:5], 0, v[25:26]
	s_or_b64 vcc, vcc, s[4:5]
	v_cndmask_b32_e32 v3, 0, v26, vcc
	s_nor_b64 s[8:9], vcc, s[2:3]
	v_cndmask_b32_e32 v2, 0, v25, vcc
	v_cndmask_b32_e32 v10, v18, v24, vcc
	;; [unrolled: 1-line block ×3, first 2 shown]
	s_and_saveexec_b64 s[4:5], s[8:9]
	s_cbranch_execz .LBB75_107
; %bb.104:                              ;   in Loop: Header=BB75_95 Depth=1
	v_mbcnt_lo_u32_b32 v2, exec_lo, 0
	v_mbcnt_hi_u32_b32 v2, exec_hi, v2
	v_cmp_eq_u32_e32 vcc, 0, v2
	s_and_saveexec_b64 s[8:9], vcc
	s_cbranch_execz .LBB75_106
; %bb.105:                              ;   in Loop: Header=BB75_95 Depth=1
	v_mov_b32_e32 v2, s19
	global_atomic_smin v4, v2, s[14:15]
.LBB75_106:                             ;   in Loop: Header=BB75_95 Depth=1
	s_or_b64 exec, exec, s[8:9]
	v_mov_b32_e32 v9, 0
	v_mov_b32_e32 v2, 0
	;; [unrolled: 1-line block ×4, first 2 shown]
.LBB75_107:                             ;   in Loop: Header=BB75_95 Depth=1
	s_or_b64 exec, exec, s[4:5]
	v_cmp_lt_u32_e32 vcc, s18, v1
	s_and_saveexec_b64 s[4:5], vcc
	s_cbranch_execz .LBB75_94
; %bb.108:                              ;   in Loop: Header=BB75_95 Depth=1
	v_mul_f64 v[23:24], v[2:3], v[2:3]
	v_fma_f64 v[27:28], v[9:10], v[9:10], v[23:24]
	v_div_scale_f64 v[23:24], s[8:9], v[27:28], v[27:28], 1.0
	v_rcp_f64_e32 v[25:26], v[23:24]
	v_fma_f64 v[29:30], -v[23:24], v[25:26], 1.0
	v_fma_f64 v[25:26], v[25:26], v[29:30], v[25:26]
	v_div_scale_f64 v[29:30], vcc, 1.0, v[27:28], 1.0
	v_fma_f64 v[31:32], -v[23:24], v[25:26], 1.0
	v_fma_f64 v[31:32], v[25:26], v[31:32], v[25:26]
	v_lshl_add_u32 v25, s18, 4, v12
	v_mul_f64 v[33:34], v[29:30], v[31:32]
	v_fma_f64 v[29:30], -v[23:24], v[33:34], v[29:30]
	ds_read_b128 v[23:26], v25
	s_waitcnt lgkmcnt(0)
	v_add_f64 v[7:8], v[7:8], -v[25:26]
	v_add_f64 v[5:6], v[5:6], -v[23:24]
	v_div_fmas_f64 v[25:26], v[29:30], v[31:32], v[33:34]
	v_mul_f64 v[23:24], v[2:3], v[7:8]
	v_mul_f64 v[2:3], v[2:3], -v[5:6]
	v_fma_f64 v[5:6], v[5:6], v[9:10], v[23:24]
	v_fma_f64 v[2:3], v[7:8], v[9:10], v[2:3]
	v_div_fixup_f64 v[23:24], v[25:26], v[27:28], 1.0
	v_mul_f64 v[5:6], v[23:24], v[5:6]
	v_mul_f64 v[7:8], v[23:24], v[2:3]
	ds_write_b128 v22, v[5:8]
	s_waitcnt lgkmcnt(0)
	s_and_b64 exec, exec, s[0:1]
	s_cbranch_execz .LBB75_94
; %bb.109:                              ;   in Loop: Header=BB75_95 Depth=1
	s_mov_b64 s[8:9], 0
	v_mov_b32_e32 v2, v16
	v_mov_b32_e32 v3, v15
	;; [unrolled: 1-line block ×3, first 2 shown]
.LBB75_110:                             ;   Parent Loop BB75_95 Depth=1
                                        ; =>  This Inner Loop Header: Depth=2
	ds_read_b128 v[22:25], v2
	ds_read_b128 v[26:29], v3
	v_add_u32_e32 v9, 2, v9
	v_cmp_le_i32_e32 vcc, s46, v9
	s_or_b64 s[8:9], vcc, s[8:9]
	v_add_u32_e32 v2, 0x420, v2
	s_waitcnt lgkmcnt(0)
	v_fma_f64 v[26:27], v[5:6], v[22:23], v[26:27]
	v_fma_f64 v[28:29], v[7:8], v[22:23], v[28:29]
	;; [unrolled: 1-line block ×3, first 2 shown]
	v_fma_f64 v[24:25], v[5:6], -v[24:25], v[28:29]
	ds_write_b128 v3, v[22:25]
	v_add_u32_e32 v3, 32, v3
	s_andn2_b64 exec, exec, s[8:9]
	s_cbranch_execnz .LBB75_110
	s_branch .LBB75_94
.LBB75_111:
	s_and_saveexec_b64 s[2:3], s[0:1]
	s_cbranch_execz .LBB75_120
; %bb.112:
	s_mul_i32 s33, s33, s46
	v_add_u32_e32 v2, s33, v1
	v_mul_lo_u32 v4, v2, s46
	s_cmp_lg_u32 s47, 0
	v_mul_u32_u24_e32 v2, 0x210, v1
	s_movk_i32 s6, 0x4200
	v_cmp_gt_i32_e64 s[0:1], s46, v1
	s_cselect_b64 s[4:5], -1, 0
	v_add3_u32 v5, v2, v19, s6
	s_mov_b64 s[6:7], 0
	v_mov_b32_e32 v6, v0
	s_branch .LBB75_116
.LBB75_113:                             ;   in Loop: Header=BB75_116 Depth=1
	v_add_u32_e32 v2, v4, v6
.LBB75_114:                             ;   in Loop: Header=BB75_116 Depth=1
	v_ashrrev_i32_e32 v3, 31, v2
	ds_read2_b64 v[7:10], v5 offset1:1
	v_lshlrev_b64 v[2:3], 4, v[2:3]
	v_mov_b32_e32 v11, s23
	v_add_co_u32_e32 v2, vcc, s22, v2
	v_addc_co_u32_e32 v3, vcc, v11, v3, vcc
	s_waitcnt lgkmcnt(0)
	global_store_dwordx4 v[2:3], v[7:10], off
.LBB75_115:                             ;   in Loop: Header=BB75_116 Depth=1
	s_or_b64 exec, exec, s[8:9]
	v_add_u32_e32 v6, 2, v6
	v_cmp_le_i32_e32 vcc, s46, v6
	s_or_b64 s[6:7], vcc, s[6:7]
	v_add_u32_e32 v5, 32, v5
	s_andn2_b64 exec, exec, s[6:7]
	s_cbranch_execz .LBB75_120
.LBB75_116:                             ; =>This Inner Loop Header: Depth=1
	s_and_saveexec_b64 s[8:9], s[0:1]
	s_cbranch_execz .LBB75_115
; %bb.117:                              ;   in Loop: Header=BB75_116 Depth=1
	s_and_b64 vcc, exec, s[4:5]
	s_cbranch_vccz .LBB75_119
; %bb.118:                              ;   in Loop: Header=BB75_116 Depth=1
	v_add_u32_e32 v2, s33, v6
	v_mad_u64_u32 v[2:3], s[16:17], v2, s46, v[1:2]
	s_cbranch_execnz .LBB75_114
	s_branch .LBB75_113
.LBB75_119:                             ;   in Loop: Header=BB75_116 Depth=1
                                        ; implicit-def: $vgpr2
	s_branch .LBB75_113
.LBB75_120:
	s_or_b64 exec, exec, s[2:3]
	v_or_b32_e32 v2, v0, v1
	v_cmp_eq_u32_e32 vcc, 0, v2
	s_and_saveexec_b64 s[0:1], vcc
	s_cbranch_execz .LBB75_122
; %bb.121:
	s_add_u32 s2, s10, s12
	s_addc_u32 s3, s11, s13
	v_mov_b32_e32 v2, 0
	v_mov_b32_e32 v3, 1
	s_waitcnt vmcnt(0)
	global_store_dword v2, v3, s[2:3]
.LBB75_122:
	s_or_b64 exec, exec, s[0:1]
.LBB75_123:
	s_endpgm
.LBB75_124:
	s_cbranch_execz .LBB75_123
; %bb.125:
	v_or_b32_e32 v0, v0, v1
	v_cmp_eq_u32_e32 vcc, 0, v0
	s_and_saveexec_b64 s[0:1], vcc
	s_cbranch_execz .LBB75_123
; %bb.126:
	v_mbcnt_lo_u32_b32 v0, exec_lo, 0
	v_mbcnt_hi_u32_b32 v0, exec_hi, v0
	v_cmp_eq_u32_e32 vcc, 0, v0
	s_and_saveexec_b64 s[0:1], vcc
	s_cbranch_execz .LBB75_128
; %bb.127:
	s_add_i32 s2, s20, s21
	v_mov_b32_e32 v0, 0
	v_mov_b32_e32 v1, s2
	global_atomic_smin v0, v1, s[14:15]
.LBB75_128:
	s_or_b64 exec, exec, s[0:1]
	s_add_u32 s0, s10, s12
	s_addc_u32 s1, s11, s13
	v_mov_b32_e32 v0, 0
	v_mov_b32_e32 v1, 1
	s_waitcnt vmcnt(0)
	global_store_dword v0, v1, s[0:1]
	s_endpgm
	.section	.rodata,"a",@progbits
	.p2align	6, 0x0
	.amdhsa_kernel _ZN9rocsparseL19bsric0_17_32_kernelILi64ELi128ELi32E21rocsparse_complex_numIdEEEv20rocsparse_direction_iiPKiS5_PT2_S5_PiS5_S8_21rocsparse_index_base_
		.amdhsa_group_segment_fixed_size 52224
		.amdhsa_private_segment_fixed_size 0
		.amdhsa_kernarg_size 76
		.amdhsa_user_sgpr_count 6
		.amdhsa_user_sgpr_private_segment_buffer 1
		.amdhsa_user_sgpr_dispatch_ptr 0
		.amdhsa_user_sgpr_queue_ptr 0
		.amdhsa_user_sgpr_kernarg_segment_ptr 1
		.amdhsa_user_sgpr_dispatch_id 0
		.amdhsa_user_sgpr_flat_scratch_init 0
		.amdhsa_user_sgpr_private_segment_size 0
		.amdhsa_uses_dynamic_stack 0
		.amdhsa_system_sgpr_private_segment_wavefront_offset 0
		.amdhsa_system_sgpr_workgroup_id_x 1
		.amdhsa_system_sgpr_workgroup_id_y 0
		.amdhsa_system_sgpr_workgroup_id_z 0
		.amdhsa_system_sgpr_workgroup_info 0
		.amdhsa_system_vgpr_workitem_id 1
		.amdhsa_next_free_vgpr 129
		.amdhsa_next_free_sgpr 98
		.amdhsa_reserve_vcc 1
		.amdhsa_reserve_flat_scratch 0
		.amdhsa_float_round_mode_32 0
		.amdhsa_float_round_mode_16_64 0
		.amdhsa_float_denorm_mode_32 3
		.amdhsa_float_denorm_mode_16_64 3
		.amdhsa_dx10_clamp 1
		.amdhsa_ieee_mode 1
		.amdhsa_fp16_overflow 0
		.amdhsa_exception_fp_ieee_invalid_op 0
		.amdhsa_exception_fp_denorm_src 0
		.amdhsa_exception_fp_ieee_div_zero 0
		.amdhsa_exception_fp_ieee_overflow 0
		.amdhsa_exception_fp_ieee_underflow 0
		.amdhsa_exception_fp_ieee_inexact 0
		.amdhsa_exception_int_div_zero 0
	.end_amdhsa_kernel
	.section	.text._ZN9rocsparseL19bsric0_17_32_kernelILi64ELi128ELi32E21rocsparse_complex_numIdEEEv20rocsparse_direction_iiPKiS5_PT2_S5_PiS5_S8_21rocsparse_index_base_,"axG",@progbits,_ZN9rocsparseL19bsric0_17_32_kernelILi64ELi128ELi32E21rocsparse_complex_numIdEEEv20rocsparse_direction_iiPKiS5_PT2_S5_PiS5_S8_21rocsparse_index_base_,comdat
.Lfunc_end75:
	.size	_ZN9rocsparseL19bsric0_17_32_kernelILi64ELi128ELi32E21rocsparse_complex_numIdEEEv20rocsparse_direction_iiPKiS5_PT2_S5_PiS5_S8_21rocsparse_index_base_, .Lfunc_end75-_ZN9rocsparseL19bsric0_17_32_kernelILi64ELi128ELi32E21rocsparse_complex_numIdEEEv20rocsparse_direction_iiPKiS5_PT2_S5_PiS5_S8_21rocsparse_index_base_
                                        ; -- End function
	.set _ZN9rocsparseL19bsric0_17_32_kernelILi64ELi128ELi32E21rocsparse_complex_numIdEEEv20rocsparse_direction_iiPKiS5_PT2_S5_PiS5_S8_21rocsparse_index_base_.num_vgpr, 38
	.set _ZN9rocsparseL19bsric0_17_32_kernelILi64ELi128ELi32E21rocsparse_complex_numIdEEEv20rocsparse_direction_iiPKiS5_PT2_S5_PiS5_S8_21rocsparse_index_base_.num_agpr, 0
	.set _ZN9rocsparseL19bsric0_17_32_kernelILi64ELi128ELi32E21rocsparse_complex_numIdEEEv20rocsparse_direction_iiPKiS5_PT2_S5_PiS5_S8_21rocsparse_index_base_.numbered_sgpr, 56
	.set _ZN9rocsparseL19bsric0_17_32_kernelILi64ELi128ELi32E21rocsparse_complex_numIdEEEv20rocsparse_direction_iiPKiS5_PT2_S5_PiS5_S8_21rocsparse_index_base_.num_named_barrier, 0
	.set _ZN9rocsparseL19bsric0_17_32_kernelILi64ELi128ELi32E21rocsparse_complex_numIdEEEv20rocsparse_direction_iiPKiS5_PT2_S5_PiS5_S8_21rocsparse_index_base_.private_seg_size, 0
	.set _ZN9rocsparseL19bsric0_17_32_kernelILi64ELi128ELi32E21rocsparse_complex_numIdEEEv20rocsparse_direction_iiPKiS5_PT2_S5_PiS5_S8_21rocsparse_index_base_.uses_vcc, 1
	.set _ZN9rocsparseL19bsric0_17_32_kernelILi64ELi128ELi32E21rocsparse_complex_numIdEEEv20rocsparse_direction_iiPKiS5_PT2_S5_PiS5_S8_21rocsparse_index_base_.uses_flat_scratch, 0
	.set _ZN9rocsparseL19bsric0_17_32_kernelILi64ELi128ELi32E21rocsparse_complex_numIdEEEv20rocsparse_direction_iiPKiS5_PT2_S5_PiS5_S8_21rocsparse_index_base_.has_dyn_sized_stack, 0
	.set _ZN9rocsparseL19bsric0_17_32_kernelILi64ELi128ELi32E21rocsparse_complex_numIdEEEv20rocsparse_direction_iiPKiS5_PT2_S5_PiS5_S8_21rocsparse_index_base_.has_recursion, 0
	.set _ZN9rocsparseL19bsric0_17_32_kernelILi64ELi128ELi32E21rocsparse_complex_numIdEEEv20rocsparse_direction_iiPKiS5_PT2_S5_PiS5_S8_21rocsparse_index_base_.has_indirect_call, 0
	.section	.AMDGPU.csdata,"",@progbits
; Kernel info:
; codeLenInByte = 4568
; TotalNumSgprs: 60
; NumVgprs: 38
; ScratchSize: 0
; MemoryBound: 1
; FloatMode: 240
; IeeeMode: 1
; LDSByteSize: 52224 bytes/workgroup (compile time only)
; SGPRBlocks: 12
; VGPRBlocks: 32
; NumSGPRsForWavesPerEU: 102
; NumVGPRsForWavesPerEU: 129
; Occupancy: 1
; WaveLimiterHint : 1
; COMPUTE_PGM_RSRC2:SCRATCH_EN: 0
; COMPUTE_PGM_RSRC2:USER_SGPR: 6
; COMPUTE_PGM_RSRC2:TRAP_HANDLER: 0
; COMPUTE_PGM_RSRC2:TGID_X_EN: 1
; COMPUTE_PGM_RSRC2:TGID_Y_EN: 0
; COMPUTE_PGM_RSRC2:TGID_Z_EN: 0
; COMPUTE_PGM_RSRC2:TIDIG_COMP_CNT: 1
	.section	.AMDGPU.gpr_maximums,"",@progbits
	.set amdgpu.max_num_vgpr, 0
	.set amdgpu.max_num_agpr, 0
	.set amdgpu.max_num_sgpr, 0
	.section	.AMDGPU.csdata,"",@progbits
	.type	__hip_cuid_44e16eeb3a81a142,@object ; @__hip_cuid_44e16eeb3a81a142
	.section	.bss,"aw",@nobits
	.globl	__hip_cuid_44e16eeb3a81a142
__hip_cuid_44e16eeb3a81a142:
	.byte	0                               ; 0x0
	.size	__hip_cuid_44e16eeb3a81a142, 1

	.ident	"AMD clang version 22.0.0git (https://github.com/RadeonOpenCompute/llvm-project roc-7.2.4 26084 f58b06dce1f9c15707c5f808fd002e18c2accf7e)"
	.section	".note.GNU-stack","",@progbits
	.addrsig
	.addrsig_sym __hip_cuid_44e16eeb3a81a142
	.amdgpu_metadata
---
amdhsa.kernels:
  - .args:
      - .offset:         0
        .size:           4
        .value_kind:     by_value
      - .offset:         4
        .size:           4
        .value_kind:     by_value
      - .offset:         8
        .size:           4
        .value_kind:     by_value
      - .actual_access:  read_only
        .address_space:  global
        .offset:         16
        .size:           8
        .value_kind:     global_buffer
      - .actual_access:  read_only
        .address_space:  global
        .offset:         24
        .size:           8
        .value_kind:     global_buffer
      - .address_space:  global
        .offset:         32
        .size:           8
        .value_kind:     global_buffer
      - .actual_access:  read_only
        .address_space:  global
        .offset:         40
        .size:           8
        .value_kind:     global_buffer
      - .address_space:  global
        .offset:         48
        .size:           8
        .value_kind:     global_buffer
      - .actual_access:  read_only
        .address_space:  global
        .offset:         56
        .size:           8
        .value_kind:     global_buffer
      - .address_space:  global
        .offset:         64
        .size:           8
        .value_kind:     global_buffer
      - .offset:         72
        .size:           4
        .value_kind:     by_value
    .group_segment_fixed_size: 0
    .kernarg_segment_align: 8
    .kernarg_segment_size: 76
    .language:       OpenCL C
    .language_version:
      - 2
      - 0
    .max_flat_workgroup_size: 32
    .name:           _ZN9rocsparseL23bsric0_binsearch_kernelILj32ELj32ELb0EfEEv20rocsparse_direction_iiPKiS3_PT2_S3_PiS3_S6_21rocsparse_index_base_
    .private_segment_fixed_size: 0
    .sgpr_count:     60
    .sgpr_spill_count: 0
    .symbol:         _ZN9rocsparseL23bsric0_binsearch_kernelILj32ELj32ELb0EfEEv20rocsparse_direction_iiPKiS3_PT2_S3_PiS3_S6_21rocsparse_index_base_.kd
    .uniform_work_group_size: 1
    .uses_dynamic_stack: false
    .vgpr_count:     46
    .vgpr_spill_count: 0
    .wavefront_size: 64
  - .args:
      - .offset:         0
        .size:           4
        .value_kind:     by_value
      - .offset:         4
        .size:           4
        .value_kind:     by_value
      - .offset:         8
        .size:           4
        .value_kind:     by_value
      - .actual_access:  read_only
        .address_space:  global
        .offset:         16
        .size:           8
        .value_kind:     global_buffer
      - .actual_access:  read_only
        .address_space:  global
        .offset:         24
        .size:           8
        .value_kind:     global_buffer
      - .address_space:  global
        .offset:         32
        .size:           8
        .value_kind:     global_buffer
      - .actual_access:  read_only
        .address_space:  global
        .offset:         40
        .size:           8
        .value_kind:     global_buffer
      - .address_space:  global
        .offset:         48
        .size:           8
        .value_kind:     global_buffer
      - .actual_access:  read_only
        .address_space:  global
        .offset:         56
        .size:           8
        .value_kind:     global_buffer
      - .address_space:  global
        .offset:         64
        .size:           8
        .value_kind:     global_buffer
      - .offset:         72
        .size:           4
        .value_kind:     by_value
    .group_segment_fixed_size: 0
    .kernarg_segment_align: 8
    .kernarg_segment_size: 76
    .language:       OpenCL C
    .language_version:
      - 2
      - 0
    .max_flat_workgroup_size: 64
    .name:           _ZN9rocsparseL23bsric0_binsearch_kernelILj64ELj64ELb1EfEEv20rocsparse_direction_iiPKiS3_PT2_S3_PiS3_S6_21rocsparse_index_base_
    .private_segment_fixed_size: 0
    .sgpr_count:     60
    .sgpr_spill_count: 0
    .symbol:         _ZN9rocsparseL23bsric0_binsearch_kernelILj64ELj64ELb1EfEEv20rocsparse_direction_iiPKiS3_PT2_S3_PiS3_S6_21rocsparse_index_base_.kd
    .uniform_work_group_size: 1
    .uses_dynamic_stack: false
    .vgpr_count:     46
    .vgpr_spill_count: 0
    .wavefront_size: 64
  - .args:
      - .offset:         0
        .size:           4
        .value_kind:     by_value
      - .offset:         4
        .size:           4
        .value_kind:     by_value
      - .offset:         8
        .size:           4
        .value_kind:     by_value
      - .actual_access:  read_only
        .address_space:  global
        .offset:         16
        .size:           8
        .value_kind:     global_buffer
      - .actual_access:  read_only
        .address_space:  global
        .offset:         24
        .size:           8
        .value_kind:     global_buffer
      - .address_space:  global
        .offset:         32
        .size:           8
        .value_kind:     global_buffer
      - .actual_access:  read_only
        .address_space:  global
        .offset:         40
        .size:           8
        .value_kind:     global_buffer
      - .address_space:  global
        .offset:         48
        .size:           8
        .value_kind:     global_buffer
      - .actual_access:  read_only
        .address_space:  global
        .offset:         56
        .size:           8
        .value_kind:     global_buffer
      - .address_space:  global
        .offset:         64
        .size:           8
        .value_kind:     global_buffer
      - .offset:         72
        .size:           4
        .value_kind:     by_value
    .group_segment_fixed_size: 416
    .kernarg_segment_align: 8
    .kernarg_segment_size: 76
    .language:       OpenCL C
    .language_version:
      - 2
      - 0
    .max_flat_workgroup_size: 1
    .name:           _ZN9rocsparseL26bsric0_2_8_unrolled_kernelILi1ELi32ELi1EfEEv20rocsparse_direction_iiPKiS3_PT2_S3_PiS3_S6_21rocsparse_index_base_
    .private_segment_fixed_size: 0
    .sgpr_count:     42
    .sgpr_spill_count: 0
    .symbol:         _ZN9rocsparseL26bsric0_2_8_unrolled_kernelILi1ELi32ELi1EfEEv20rocsparse_direction_iiPKiS3_PT2_S3_PiS3_S6_21rocsparse_index_base_.kd
    .uniform_work_group_size: 1
    .uses_dynamic_stack: false
    .vgpr_count:     53
    .vgpr_spill_count: 0
    .wavefront_size: 64
  - .args:
      - .offset:         0
        .size:           4
        .value_kind:     by_value
      - .offset:         4
        .size:           4
        .value_kind:     by_value
      - .offset:         8
        .size:           4
        .value_kind:     by_value
      - .actual_access:  read_only
        .address_space:  global
        .offset:         16
        .size:           8
        .value_kind:     global_buffer
      - .actual_access:  read_only
        .address_space:  global
        .offset:         24
        .size:           8
        .value_kind:     global_buffer
      - .address_space:  global
        .offset:         32
        .size:           8
        .value_kind:     global_buffer
      - .actual_access:  read_only
        .address_space:  global
        .offset:         40
        .size:           8
        .value_kind:     global_buffer
      - .address_space:  global
        .offset:         48
        .size:           8
        .value_kind:     global_buffer
      - .actual_access:  read_only
        .address_space:  global
        .offset:         56
        .size:           8
        .value_kind:     global_buffer
      - .address_space:  global
        .offset:         64
        .size:           8
        .value_kind:     global_buffer
      - .offset:         72
        .size:           4
        .value_kind:     by_value
    .group_segment_fixed_size: 504
    .kernarg_segment_align: 8
    .kernarg_segment_size: 76
    .language:       OpenCL C
    .language_version:
      - 2
      - 0
    .max_flat_workgroup_size: 4
    .name:           _ZN9rocsparseL26bsric0_2_8_unrolled_kernelILi4ELi32ELi2EfEEv20rocsparse_direction_iiPKiS3_PT2_S3_PiS3_S6_21rocsparse_index_base_
    .private_segment_fixed_size: 0
    .sgpr_count:     44
    .sgpr_spill_count: 0
    .symbol:         _ZN9rocsparseL26bsric0_2_8_unrolled_kernelILi4ELi32ELi2EfEEv20rocsparse_direction_iiPKiS3_PT2_S3_PiS3_S6_21rocsparse_index_base_.kd
    .uniform_work_group_size: 1
    .uses_dynamic_stack: false
    .vgpr_count:     38
    .vgpr_spill_count: 0
    .wavefront_size: 64
  - .args:
      - .offset:         0
        .size:           4
        .value_kind:     by_value
      - .offset:         4
        .size:           4
        .value_kind:     by_value
      - .offset:         8
        .size:           4
        .value_kind:     by_value
      - .actual_access:  read_only
        .address_space:  global
        .offset:         16
        .size:           8
        .value_kind:     global_buffer
      - .actual_access:  read_only
        .address_space:  global
        .offset:         24
        .size:           8
        .value_kind:     global_buffer
      - .address_space:  global
        .offset:         32
        .size:           8
        .value_kind:     global_buffer
      - .actual_access:  read_only
        .address_space:  global
        .offset:         40
        .size:           8
        .value_kind:     global_buffer
      - .address_space:  global
        .offset:         48
        .size:           8
        .value_kind:     global_buffer
      - .actual_access:  read_only
        .address_space:  global
        .offset:         56
        .size:           8
        .value_kind:     global_buffer
      - .address_space:  global
        .offset:         64
        .size:           8
        .value_kind:     global_buffer
      - .offset:         72
        .size:           4
        .value_kind:     by_value
    .group_segment_fixed_size: 576
    .kernarg_segment_align: 8
    .kernarg_segment_size: 76
    .language:       OpenCL C
    .language_version:
      - 2
      - 0
    .max_flat_workgroup_size: 9
    .name:           _ZN9rocsparseL26bsric0_2_8_unrolled_kernelILi9ELi32ELi3EfEEv20rocsparse_direction_iiPKiS3_PT2_S3_PiS3_S6_21rocsparse_index_base_
    .private_segment_fixed_size: 0
    .sgpr_count:     44
    .sgpr_spill_count: 0
    .symbol:         _ZN9rocsparseL26bsric0_2_8_unrolled_kernelILi9ELi32ELi3EfEEv20rocsparse_direction_iiPKiS3_PT2_S3_PiS3_S6_21rocsparse_index_base_.kd
    .uniform_work_group_size: 1
    .uses_dynamic_stack: false
    .vgpr_count:     43
    .vgpr_spill_count: 0
    .wavefront_size: 64
  - .args:
      - .offset:         0
        .size:           4
        .value_kind:     by_value
      - .offset:         4
        .size:           4
        .value_kind:     by_value
      - .offset:         8
        .size:           4
        .value_kind:     by_value
      - .actual_access:  read_only
        .address_space:  global
        .offset:         16
        .size:           8
        .value_kind:     global_buffer
      - .actual_access:  read_only
        .address_space:  global
        .offset:         24
        .size:           8
        .value_kind:     global_buffer
      - .address_space:  global
        .offset:         32
        .size:           8
        .value_kind:     global_buffer
      - .actual_access:  read_only
        .address_space:  global
        .offset:         40
        .size:           8
        .value_kind:     global_buffer
      - .address_space:  global
        .offset:         48
        .size:           8
        .value_kind:     global_buffer
      - .actual_access:  read_only
        .address_space:  global
        .offset:         56
        .size:           8
        .value_kind:     global_buffer
      - .address_space:  global
        .offset:         64
        .size:           8
        .value_kind:     global_buffer
      - .offset:         72
        .size:           4
        .value_kind:     by_value
    .group_segment_fixed_size: 704
    .kernarg_segment_align: 8
    .kernarg_segment_size: 76
    .language:       OpenCL C
    .language_version:
      - 2
      - 0
    .max_flat_workgroup_size: 16
    .name:           _ZN9rocsparseL26bsric0_2_8_unrolled_kernelILi16ELi32ELi4EfEEv20rocsparse_direction_iiPKiS3_PT2_S3_PiS3_S6_21rocsparse_index_base_
    .private_segment_fixed_size: 0
    .sgpr_count:     44
    .sgpr_spill_count: 0
    .symbol:         _ZN9rocsparseL26bsric0_2_8_unrolled_kernelILi16ELi32ELi4EfEEv20rocsparse_direction_iiPKiS3_PT2_S3_PiS3_S6_21rocsparse_index_base_.kd
    .uniform_work_group_size: 1
    .uses_dynamic_stack: false
    .vgpr_count:     52
    .vgpr_spill_count: 0
    .wavefront_size: 64
  - .args:
      - .offset:         0
        .size:           4
        .value_kind:     by_value
      - .offset:         4
        .size:           4
        .value_kind:     by_value
      - .offset:         8
        .size:           4
        .value_kind:     by_value
      - .actual_access:  read_only
        .address_space:  global
        .offset:         16
        .size:           8
        .value_kind:     global_buffer
      - .actual_access:  read_only
        .address_space:  global
        .offset:         24
        .size:           8
        .value_kind:     global_buffer
      - .address_space:  global
        .offset:         32
        .size:           8
        .value_kind:     global_buffer
      - .actual_access:  read_only
        .address_space:  global
        .offset:         40
        .size:           8
        .value_kind:     global_buffer
      - .address_space:  global
        .offset:         48
        .size:           8
        .value_kind:     global_buffer
      - .actual_access:  read_only
        .address_space:  global
        .offset:         56
        .size:           8
        .value_kind:     global_buffer
      - .address_space:  global
        .offset:         64
        .size:           8
        .value_kind:     global_buffer
      - .offset:         72
        .size:           4
        .value_kind:     by_value
    .group_segment_fixed_size: 888
    .kernarg_segment_align: 8
    .kernarg_segment_size: 76
    .language:       OpenCL C
    .language_version:
      - 2
      - 0
    .max_flat_workgroup_size: 25
    .name:           _ZN9rocsparseL26bsric0_2_8_unrolled_kernelILi25ELi32ELi5EfEEv20rocsparse_direction_iiPKiS3_PT2_S3_PiS3_S6_21rocsparse_index_base_
    .private_segment_fixed_size: 0
    .sgpr_count:     44
    .sgpr_spill_count: 0
    .symbol:         _ZN9rocsparseL26bsric0_2_8_unrolled_kernelILi25ELi32ELi5EfEEv20rocsparse_direction_iiPKiS3_PT2_S3_PiS3_S6_21rocsparse_index_base_.kd
    .uniform_work_group_size: 1
    .uses_dynamic_stack: false
    .vgpr_count:     46
    .vgpr_spill_count: 0
    .wavefront_size: 64
  - .args:
      - .offset:         0
        .size:           4
        .value_kind:     by_value
      - .offset:         4
        .size:           4
        .value_kind:     by_value
      - .offset:         8
        .size:           4
        .value_kind:     by_value
      - .actual_access:  read_only
        .address_space:  global
        .offset:         16
        .size:           8
        .value_kind:     global_buffer
      - .actual_access:  read_only
        .address_space:  global
        .offset:         24
        .size:           8
        .value_kind:     global_buffer
      - .address_space:  global
        .offset:         32
        .size:           8
        .value_kind:     global_buffer
      - .actual_access:  read_only
        .address_space:  global
        .offset:         40
        .size:           8
        .value_kind:     global_buffer
      - .address_space:  global
        .offset:         48
        .size:           8
        .value_kind:     global_buffer
      - .actual_access:  read_only
        .address_space:  global
        .offset:         56
        .size:           8
        .value_kind:     global_buffer
      - .address_space:  global
        .offset:         64
        .size:           8
        .value_kind:     global_buffer
      - .offset:         72
        .size:           4
        .value_kind:     by_value
    .group_segment_fixed_size: 1088
    .kernarg_segment_align: 8
    .kernarg_segment_size: 76
    .language:       OpenCL C
    .language_version:
      - 2
      - 0
    .max_flat_workgroup_size: 36
    .name:           _ZN9rocsparseL26bsric0_2_8_unrolled_kernelILi36ELi32ELi6EfEEv20rocsparse_direction_iiPKiS3_PT2_S3_PiS3_S6_21rocsparse_index_base_
    .private_segment_fixed_size: 0
    .sgpr_count:     44
    .sgpr_spill_count: 0
    .symbol:         _ZN9rocsparseL26bsric0_2_8_unrolled_kernelILi36ELi32ELi6EfEEv20rocsparse_direction_iiPKiS3_PT2_S3_PiS3_S6_21rocsparse_index_base_.kd
    .uniform_work_group_size: 1
    .uses_dynamic_stack: false
    .vgpr_count:     46
    .vgpr_spill_count: 0
    .wavefront_size: 64
  - .args:
      - .offset:         0
        .size:           4
        .value_kind:     by_value
      - .offset:         4
        .size:           4
        .value_kind:     by_value
      - .offset:         8
        .size:           4
        .value_kind:     by_value
      - .actual_access:  read_only
        .address_space:  global
        .offset:         16
        .size:           8
        .value_kind:     global_buffer
      - .actual_access:  read_only
        .address_space:  global
        .offset:         24
        .size:           8
        .value_kind:     global_buffer
      - .address_space:  global
        .offset:         32
        .size:           8
        .value_kind:     global_buffer
      - .actual_access:  read_only
        .address_space:  global
        .offset:         40
        .size:           8
        .value_kind:     global_buffer
      - .address_space:  global
        .offset:         48
        .size:           8
        .value_kind:     global_buffer
      - .actual_access:  read_only
        .address_space:  global
        .offset:         56
        .size:           8
        .value_kind:     global_buffer
      - .address_space:  global
        .offset:         64
        .size:           8
        .value_kind:     global_buffer
      - .offset:         72
        .size:           4
        .value_kind:     by_value
    .group_segment_fixed_size: 1280
    .kernarg_segment_align: 8
    .kernarg_segment_size: 76
    .language:       OpenCL C
    .language_version:
      - 2
      - 0
    .max_flat_workgroup_size: 49
    .name:           _ZN9rocsparseL26bsric0_2_8_unrolled_kernelILi49ELi32ELi7EfEEv20rocsparse_direction_iiPKiS3_PT2_S3_PiS3_S6_21rocsparse_index_base_
    .private_segment_fixed_size: 0
    .sgpr_count:     44
    .sgpr_spill_count: 0
    .symbol:         _ZN9rocsparseL26bsric0_2_8_unrolled_kernelILi49ELi32ELi7EfEEv20rocsparse_direction_iiPKiS3_PT2_S3_PiS3_S6_21rocsparse_index_base_.kd
    .uniform_work_group_size: 1
    .uses_dynamic_stack: false
    .vgpr_count:     45
    .vgpr_spill_count: 0
    .wavefront_size: 64
  - .args:
      - .offset:         0
        .size:           4
        .value_kind:     by_value
      - .offset:         4
        .size:           4
        .value_kind:     by_value
      - .offset:         8
        .size:           4
        .value_kind:     by_value
      - .actual_access:  read_only
        .address_space:  global
        .offset:         16
        .size:           8
        .value_kind:     global_buffer
      - .actual_access:  read_only
        .address_space:  global
        .offset:         24
        .size:           8
        .value_kind:     global_buffer
      - .address_space:  global
        .offset:         32
        .size:           8
        .value_kind:     global_buffer
      - .actual_access:  read_only
        .address_space:  global
        .offset:         40
        .size:           8
        .value_kind:     global_buffer
      - .address_space:  global
        .offset:         48
        .size:           8
        .value_kind:     global_buffer
      - .actual_access:  read_only
        .address_space:  global
        .offset:         56
        .size:           8
        .value_kind:     global_buffer
      - .address_space:  global
        .offset:         64
        .size:           8
        .value_kind:     global_buffer
      - .offset:         72
        .size:           4
        .value_kind:     by_value
    .group_segment_fixed_size: 1536
    .kernarg_segment_align: 8
    .kernarg_segment_size: 76
    .language:       OpenCL C
    .language_version:
      - 2
      - 0
    .max_flat_workgroup_size: 64
    .name:           _ZN9rocsparseL26bsric0_2_8_unrolled_kernelILi64ELi32ELi8EfEEv20rocsparse_direction_iiPKiS3_PT2_S3_PiS3_S6_21rocsparse_index_base_
    .private_segment_fixed_size: 0
    .sgpr_count:     44
    .sgpr_spill_count: 0
    .symbol:         _ZN9rocsparseL26bsric0_2_8_unrolled_kernelILi64ELi32ELi8EfEEv20rocsparse_direction_iiPKiS3_PT2_S3_PiS3_S6_21rocsparse_index_base_.kd
    .uniform_work_group_size: 1
    .uses_dynamic_stack: false
    .vgpr_count:     55
    .vgpr_spill_count: 0
    .wavefront_size: 64
  - .args:
      - .offset:         0
        .size:           4
        .value_kind:     by_value
      - .offset:         4
        .size:           4
        .value_kind:     by_value
      - .offset:         8
        .size:           4
        .value_kind:     by_value
      - .actual_access:  read_only
        .address_space:  global
        .offset:         16
        .size:           8
        .value_kind:     global_buffer
      - .actual_access:  read_only
        .address_space:  global
        .offset:         24
        .size:           8
        .value_kind:     global_buffer
      - .address_space:  global
        .offset:         32
        .size:           8
        .value_kind:     global_buffer
      - .actual_access:  read_only
        .address_space:  global
        .offset:         40
        .size:           8
        .value_kind:     global_buffer
      - .address_space:  global
        .offset:         48
        .size:           8
        .value_kind:     global_buffer
      - .actual_access:  read_only
        .address_space:  global
        .offset:         56
        .size:           8
        .value_kind:     global_buffer
      - .address_space:  global
        .offset:         64
        .size:           8
        .value_kind:     global_buffer
      - .offset:         72
        .size:           4
        .value_kind:     by_value
    .group_segment_fixed_size: 4736
    .kernarg_segment_align: 8
    .kernarg_segment_size: 76
    .language:       OpenCL C
    .language_version:
      - 2
      - 0
    .max_flat_workgroup_size: 64
    .name:           _ZN9rocsparseL18bsric0_9_16_kernelILi64ELi32ELi16EfEEv20rocsparse_direction_iiPKiS3_PT2_S3_PiS3_S6_21rocsparse_index_base_
    .private_segment_fixed_size: 0
    .sgpr_count:     58
    .sgpr_spill_count: 0
    .symbol:         _ZN9rocsparseL18bsric0_9_16_kernelILi64ELi32ELi16EfEEv20rocsparse_direction_iiPKiS3_PT2_S3_PiS3_S6_21rocsparse_index_base_.kd
    .uniform_work_group_size: 1
    .uses_dynamic_stack: false
    .vgpr_count:     27
    .vgpr_spill_count: 0
    .wavefront_size: 64
  - .args:
      - .offset:         0
        .size:           4
        .value_kind:     by_value
      - .offset:         4
        .size:           4
        .value_kind:     by_value
      - .offset:         8
        .size:           4
        .value_kind:     by_value
      - .actual_access:  read_only
        .address_space:  global
        .offset:         16
        .size:           8
        .value_kind:     global_buffer
      - .actual_access:  read_only
        .address_space:  global
        .offset:         24
        .size:           8
        .value_kind:     global_buffer
      - .address_space:  global
        .offset:         32
        .size:           8
        .value_kind:     global_buffer
      - .actual_access:  read_only
        .address_space:  global
        .offset:         40
        .size:           8
        .value_kind:     global_buffer
      - .address_space:  global
        .offset:         48
        .size:           8
        .value_kind:     global_buffer
      - .actual_access:  read_only
        .address_space:  global
        .offset:         56
        .size:           8
        .value_kind:     global_buffer
      - .address_space:  global
        .offset:         64
        .size:           8
        .value_kind:     global_buffer
      - .offset:         72
        .size:           4
        .value_kind:     by_value
    .group_segment_fixed_size: 13056
    .kernarg_segment_align: 8
    .kernarg_segment_size: 76
    .language:       OpenCL C
    .language_version:
      - 2
      - 0
    .max_flat_workgroup_size: 64
    .name:           _ZN9rocsparseL19bsric0_17_32_kernelILi64ELi32ELi32EfEEv20rocsparse_direction_iiPKiS3_PT2_S3_PiS3_S6_21rocsparse_index_base_
    .private_segment_fixed_size: 0
    .sgpr_count:     60
    .sgpr_spill_count: 0
    .symbol:         _ZN9rocsparseL19bsric0_17_32_kernelILi64ELi32ELi32EfEEv20rocsparse_direction_iiPKiS3_PT2_S3_PiS3_S6_21rocsparse_index_base_.kd
    .uniform_work_group_size: 1
    .uses_dynamic_stack: false
    .vgpr_count:     25
    .vgpr_spill_count: 0
    .wavefront_size: 64
  - .args:
      - .offset:         0
        .size:           4
        .value_kind:     by_value
      - .offset:         4
        .size:           4
        .value_kind:     by_value
      - .offset:         8
        .size:           4
        .value_kind:     by_value
      - .actual_access:  read_only
        .address_space:  global
        .offset:         16
        .size:           8
        .value_kind:     global_buffer
      - .actual_access:  read_only
        .address_space:  global
        .offset:         24
        .size:           8
        .value_kind:     global_buffer
      - .address_space:  global
        .offset:         32
        .size:           8
        .value_kind:     global_buffer
      - .actual_access:  read_only
        .address_space:  global
        .offset:         40
        .size:           8
        .value_kind:     global_buffer
      - .address_space:  global
        .offset:         48
        .size:           8
        .value_kind:     global_buffer
      - .actual_access:  read_only
        .address_space:  global
        .offset:         56
        .size:           8
        .value_kind:     global_buffer
      - .address_space:  global
        .offset:         64
        .size:           8
        .value_kind:     global_buffer
      - .offset:         72
        .size:           4
        .value_kind:     by_value
    .group_segment_fixed_size: 0
    .kernarg_segment_align: 8
    .kernarg_segment_size: 76
    .language:       OpenCL C
    .language_version:
      - 2
      - 0
    .max_flat_workgroup_size: 64
    .name:           _ZN9rocsparseL23bsric0_binsearch_kernelILj64ELj64ELb0EfEEv20rocsparse_direction_iiPKiS3_PT2_S3_PiS3_S6_21rocsparse_index_base_
    .private_segment_fixed_size: 0
    .sgpr_count:     60
    .sgpr_spill_count: 0
    .symbol:         _ZN9rocsparseL23bsric0_binsearch_kernelILj64ELj64ELb0EfEEv20rocsparse_direction_iiPKiS3_PT2_S3_PiS3_S6_21rocsparse_index_base_.kd
    .uniform_work_group_size: 1
    .uses_dynamic_stack: false
    .vgpr_count:     46
    .vgpr_spill_count: 0
    .wavefront_size: 64
  - .args:
      - .offset:         0
        .size:           4
        .value_kind:     by_value
      - .offset:         4
        .size:           4
        .value_kind:     by_value
      - .offset:         8
        .size:           4
        .value_kind:     by_value
      - .actual_access:  read_only
        .address_space:  global
        .offset:         16
        .size:           8
        .value_kind:     global_buffer
      - .actual_access:  read_only
        .address_space:  global
        .offset:         24
        .size:           8
        .value_kind:     global_buffer
      - .address_space:  global
        .offset:         32
        .size:           8
        .value_kind:     global_buffer
      - .actual_access:  read_only
        .address_space:  global
        .offset:         40
        .size:           8
        .value_kind:     global_buffer
      - .address_space:  global
        .offset:         48
        .size:           8
        .value_kind:     global_buffer
      - .actual_access:  read_only
        .address_space:  global
        .offset:         56
        .size:           8
        .value_kind:     global_buffer
      - .address_space:  global
        .offset:         64
        .size:           8
        .value_kind:     global_buffer
      - .offset:         72
        .size:           4
        .value_kind:     by_value
    .group_segment_fixed_size: 1920
    .kernarg_segment_align: 8
    .kernarg_segment_size: 76
    .language:       OpenCL C
    .language_version:
      - 2
      - 0
    .max_flat_workgroup_size: 64
    .name:           _ZN9rocsparseL17bsric0_2_8_kernelILi64ELi64ELi8EfEEv20rocsparse_direction_iiPKiS3_PT2_S3_PiS3_S6_21rocsparse_index_base_
    .private_segment_fixed_size: 0
    .sgpr_count:     54
    .sgpr_spill_count: 0
    .symbol:         _ZN9rocsparseL17bsric0_2_8_kernelILi64ELi64ELi8EfEEv20rocsparse_direction_iiPKiS3_PT2_S3_PiS3_S6_21rocsparse_index_base_.kd
    .uniform_work_group_size: 1
    .uses_dynamic_stack: false
    .vgpr_count:     26
    .vgpr_spill_count: 0
    .wavefront_size: 64
  - .args:
      - .offset:         0
        .size:           4
        .value_kind:     by_value
      - .offset:         4
        .size:           4
        .value_kind:     by_value
      - .offset:         8
        .size:           4
        .value_kind:     by_value
      - .actual_access:  read_only
        .address_space:  global
        .offset:         16
        .size:           8
        .value_kind:     global_buffer
      - .actual_access:  read_only
        .address_space:  global
        .offset:         24
        .size:           8
        .value_kind:     global_buffer
      - .address_space:  global
        .offset:         32
        .size:           8
        .value_kind:     global_buffer
      - .actual_access:  read_only
        .address_space:  global
        .offset:         40
        .size:           8
        .value_kind:     global_buffer
      - .address_space:  global
        .offset:         48
        .size:           8
        .value_kind:     global_buffer
      - .actual_access:  read_only
        .address_space:  global
        .offset:         56
        .size:           8
        .value_kind:     global_buffer
      - .address_space:  global
        .offset:         64
        .size:           8
        .value_kind:     global_buffer
      - .offset:         72
        .size:           4
        .value_kind:     by_value
    .group_segment_fixed_size: 5120
    .kernarg_segment_align: 8
    .kernarg_segment_size: 76
    .language:       OpenCL C
    .language_version:
      - 2
      - 0
    .max_flat_workgroup_size: 64
    .name:           _ZN9rocsparseL18bsric0_9_16_kernelILi64ELi64ELi16EfEEv20rocsparse_direction_iiPKiS3_PT2_S3_PiS3_S6_21rocsparse_index_base_
    .private_segment_fixed_size: 0
    .sgpr_count:     58
    .sgpr_spill_count: 0
    .symbol:         _ZN9rocsparseL18bsric0_9_16_kernelILi64ELi64ELi16EfEEv20rocsparse_direction_iiPKiS3_PT2_S3_PiS3_S6_21rocsparse_index_base_.kd
    .uniform_work_group_size: 1
    .uses_dynamic_stack: false
    .vgpr_count:     27
    .vgpr_spill_count: 0
    .wavefront_size: 64
  - .args:
      - .offset:         0
        .size:           4
        .value_kind:     by_value
      - .offset:         4
        .size:           4
        .value_kind:     by_value
      - .offset:         8
        .size:           4
        .value_kind:     by_value
      - .actual_access:  read_only
        .address_space:  global
        .offset:         16
        .size:           8
        .value_kind:     global_buffer
      - .actual_access:  read_only
        .address_space:  global
        .offset:         24
        .size:           8
        .value_kind:     global_buffer
      - .address_space:  global
        .offset:         32
        .size:           8
        .value_kind:     global_buffer
      - .actual_access:  read_only
        .address_space:  global
        .offset:         40
        .size:           8
        .value_kind:     global_buffer
      - .address_space:  global
        .offset:         48
        .size:           8
        .value_kind:     global_buffer
      - .actual_access:  read_only
        .address_space:  global
        .offset:         56
        .size:           8
        .value_kind:     global_buffer
      - .address_space:  global
        .offset:         64
        .size:           8
        .value_kind:     global_buffer
      - .offset:         72
        .size:           4
        .value_kind:     by_value
    .group_segment_fixed_size: 13440
    .kernarg_segment_align: 8
    .kernarg_segment_size: 76
    .language:       OpenCL C
    .language_version:
      - 2
      - 0
    .max_flat_workgroup_size: 64
    .name:           _ZN9rocsparseL19bsric0_17_32_kernelILi64ELi64ELi32EfEEv20rocsparse_direction_iiPKiS3_PT2_S3_PiS3_S6_21rocsparse_index_base_
    .private_segment_fixed_size: 0
    .sgpr_count:     60
    .sgpr_spill_count: 0
    .symbol:         _ZN9rocsparseL19bsric0_17_32_kernelILi64ELi64ELi32EfEEv20rocsparse_direction_iiPKiS3_PT2_S3_PiS3_S6_21rocsparse_index_base_.kd
    .uniform_work_group_size: 1
    .uses_dynamic_stack: false
    .vgpr_count:     25
    .vgpr_spill_count: 0
    .wavefront_size: 64
  - .args:
      - .offset:         0
        .size:           4
        .value_kind:     by_value
      - .offset:         4
        .size:           4
        .value_kind:     by_value
      - .offset:         8
        .size:           4
        .value_kind:     by_value
      - .actual_access:  read_only
        .address_space:  global
        .offset:         16
        .size:           8
        .value_kind:     global_buffer
      - .actual_access:  read_only
        .address_space:  global
        .offset:         24
        .size:           8
        .value_kind:     global_buffer
      - .address_space:  global
        .offset:         32
        .size:           8
        .value_kind:     global_buffer
      - .actual_access:  read_only
        .address_space:  global
        .offset:         40
        .size:           8
        .value_kind:     global_buffer
      - .address_space:  global
        .offset:         48
        .size:           8
        .value_kind:     global_buffer
      - .actual_access:  read_only
        .address_space:  global
        .offset:         56
        .size:           8
        .value_kind:     global_buffer
      - .address_space:  global
        .offset:         64
        .size:           8
        .value_kind:     global_buffer
      - .offset:         72
        .size:           4
        .value_kind:     by_value
    .group_segment_fixed_size: 2688
    .kernarg_segment_align: 8
    .kernarg_segment_size: 76
    .language:       OpenCL C
    .language_version:
      - 2
      - 0
    .max_flat_workgroup_size: 64
    .name:           _ZN9rocsparseL17bsric0_2_8_kernelILi64ELi128ELi8EfEEv20rocsparse_direction_iiPKiS3_PT2_S3_PiS3_S6_21rocsparse_index_base_
    .private_segment_fixed_size: 0
    .sgpr_count:     54
    .sgpr_spill_count: 0
    .symbol:         _ZN9rocsparseL17bsric0_2_8_kernelILi64ELi128ELi8EfEEv20rocsparse_direction_iiPKiS3_PT2_S3_PiS3_S6_21rocsparse_index_base_.kd
    .uniform_work_group_size: 1
    .uses_dynamic_stack: false
    .vgpr_count:     26
    .vgpr_spill_count: 0
    .wavefront_size: 64
  - .args:
      - .offset:         0
        .size:           4
        .value_kind:     by_value
      - .offset:         4
        .size:           4
        .value_kind:     by_value
      - .offset:         8
        .size:           4
        .value_kind:     by_value
      - .actual_access:  read_only
        .address_space:  global
        .offset:         16
        .size:           8
        .value_kind:     global_buffer
      - .actual_access:  read_only
        .address_space:  global
        .offset:         24
        .size:           8
        .value_kind:     global_buffer
      - .address_space:  global
        .offset:         32
        .size:           8
        .value_kind:     global_buffer
      - .actual_access:  read_only
        .address_space:  global
        .offset:         40
        .size:           8
        .value_kind:     global_buffer
      - .address_space:  global
        .offset:         48
        .size:           8
        .value_kind:     global_buffer
      - .actual_access:  read_only
        .address_space:  global
        .offset:         56
        .size:           8
        .value_kind:     global_buffer
      - .address_space:  global
        .offset:         64
        .size:           8
        .value_kind:     global_buffer
      - .offset:         72
        .size:           4
        .value_kind:     by_value
    .group_segment_fixed_size: 5888
    .kernarg_segment_align: 8
    .kernarg_segment_size: 76
    .language:       OpenCL C
    .language_version:
      - 2
      - 0
    .max_flat_workgroup_size: 64
    .name:           _ZN9rocsparseL18bsric0_9_16_kernelILi64ELi128ELi16EfEEv20rocsparse_direction_iiPKiS3_PT2_S3_PiS3_S6_21rocsparse_index_base_
    .private_segment_fixed_size: 0
    .sgpr_count:     58
    .sgpr_spill_count: 0
    .symbol:         _ZN9rocsparseL18bsric0_9_16_kernelILi64ELi128ELi16EfEEv20rocsparse_direction_iiPKiS3_PT2_S3_PiS3_S6_21rocsparse_index_base_.kd
    .uniform_work_group_size: 1
    .uses_dynamic_stack: false
    .vgpr_count:     27
    .vgpr_spill_count: 0
    .wavefront_size: 64
  - .args:
      - .offset:         0
        .size:           4
        .value_kind:     by_value
      - .offset:         4
        .size:           4
        .value_kind:     by_value
      - .offset:         8
        .size:           4
        .value_kind:     by_value
      - .actual_access:  read_only
        .address_space:  global
        .offset:         16
        .size:           8
        .value_kind:     global_buffer
      - .actual_access:  read_only
        .address_space:  global
        .offset:         24
        .size:           8
        .value_kind:     global_buffer
      - .address_space:  global
        .offset:         32
        .size:           8
        .value_kind:     global_buffer
      - .actual_access:  read_only
        .address_space:  global
        .offset:         40
        .size:           8
        .value_kind:     global_buffer
      - .address_space:  global
        .offset:         48
        .size:           8
        .value_kind:     global_buffer
      - .actual_access:  read_only
        .address_space:  global
        .offset:         56
        .size:           8
        .value_kind:     global_buffer
      - .address_space:  global
        .offset:         64
        .size:           8
        .value_kind:     global_buffer
      - .offset:         72
        .size:           4
        .value_kind:     by_value
    .group_segment_fixed_size: 14208
    .kernarg_segment_align: 8
    .kernarg_segment_size: 76
    .language:       OpenCL C
    .language_version:
      - 2
      - 0
    .max_flat_workgroup_size: 64
    .name:           _ZN9rocsparseL19bsric0_17_32_kernelILi64ELi128ELi32EfEEv20rocsparse_direction_iiPKiS3_PT2_S3_PiS3_S6_21rocsparse_index_base_
    .private_segment_fixed_size: 0
    .sgpr_count:     60
    .sgpr_spill_count: 0
    .symbol:         _ZN9rocsparseL19bsric0_17_32_kernelILi64ELi128ELi32EfEEv20rocsparse_direction_iiPKiS3_PT2_S3_PiS3_S6_21rocsparse_index_base_.kd
    .uniform_work_group_size: 1
    .uses_dynamic_stack: false
    .vgpr_count:     25
    .vgpr_spill_count: 0
    .wavefront_size: 64
  - .args:
      - .offset:         0
        .size:           4
        .value_kind:     by_value
      - .offset:         4
        .size:           4
        .value_kind:     by_value
      - .offset:         8
        .size:           4
        .value_kind:     by_value
      - .actual_access:  read_only
        .address_space:  global
        .offset:         16
        .size:           8
        .value_kind:     global_buffer
      - .actual_access:  read_only
        .address_space:  global
        .offset:         24
        .size:           8
        .value_kind:     global_buffer
      - .address_space:  global
        .offset:         32
        .size:           8
        .value_kind:     global_buffer
      - .actual_access:  read_only
        .address_space:  global
        .offset:         40
        .size:           8
        .value_kind:     global_buffer
      - .address_space:  global
        .offset:         48
        .size:           8
        .value_kind:     global_buffer
      - .actual_access:  read_only
        .address_space:  global
        .offset:         56
        .size:           8
        .value_kind:     global_buffer
      - .address_space:  global
        .offset:         64
        .size:           8
        .value_kind:     global_buffer
      - .offset:         72
        .size:           4
        .value_kind:     by_value
    .group_segment_fixed_size: 0
    .kernarg_segment_align: 8
    .kernarg_segment_size: 76
    .language:       OpenCL C
    .language_version:
      - 2
      - 0
    .max_flat_workgroup_size: 32
    .name:           _ZN9rocsparseL23bsric0_binsearch_kernelILj32ELj32ELb0EdEEv20rocsparse_direction_iiPKiS3_PT2_S3_PiS3_S6_21rocsparse_index_base_
    .private_segment_fixed_size: 0
    .sgpr_count:     61
    .sgpr_spill_count: 0
    .symbol:         _ZN9rocsparseL23bsric0_binsearch_kernelILj32ELj32ELb0EdEEv20rocsparse_direction_iiPKiS3_PT2_S3_PiS3_S6_21rocsparse_index_base_.kd
    .uniform_work_group_size: 1
    .uses_dynamic_stack: false
    .vgpr_count:     53
    .vgpr_spill_count: 0
    .wavefront_size: 64
  - .args:
      - .offset:         0
        .size:           4
        .value_kind:     by_value
      - .offset:         4
        .size:           4
        .value_kind:     by_value
      - .offset:         8
        .size:           4
        .value_kind:     by_value
      - .actual_access:  read_only
        .address_space:  global
        .offset:         16
        .size:           8
        .value_kind:     global_buffer
      - .actual_access:  read_only
        .address_space:  global
        .offset:         24
        .size:           8
        .value_kind:     global_buffer
      - .address_space:  global
        .offset:         32
        .size:           8
        .value_kind:     global_buffer
      - .actual_access:  read_only
        .address_space:  global
        .offset:         40
        .size:           8
        .value_kind:     global_buffer
      - .address_space:  global
        .offset:         48
        .size:           8
        .value_kind:     global_buffer
      - .actual_access:  read_only
        .address_space:  global
        .offset:         56
        .size:           8
        .value_kind:     global_buffer
      - .address_space:  global
        .offset:         64
        .size:           8
        .value_kind:     global_buffer
      - .offset:         72
        .size:           4
        .value_kind:     by_value
    .group_segment_fixed_size: 0
    .kernarg_segment_align: 8
    .kernarg_segment_size: 76
    .language:       OpenCL C
    .language_version:
      - 2
      - 0
    .max_flat_workgroup_size: 64
    .name:           _ZN9rocsparseL23bsric0_binsearch_kernelILj64ELj64ELb1EdEEv20rocsparse_direction_iiPKiS3_PT2_S3_PiS3_S6_21rocsparse_index_base_
    .private_segment_fixed_size: 0
    .sgpr_count:     61
    .sgpr_spill_count: 0
    .symbol:         _ZN9rocsparseL23bsric0_binsearch_kernelILj64ELj64ELb1EdEEv20rocsparse_direction_iiPKiS3_PT2_S3_PiS3_S6_21rocsparse_index_base_.kd
    .uniform_work_group_size: 1
    .uses_dynamic_stack: false
    .vgpr_count:     53
    .vgpr_spill_count: 0
    .wavefront_size: 64
  - .args:
      - .offset:         0
        .size:           4
        .value_kind:     by_value
      - .offset:         4
        .size:           4
        .value_kind:     by_value
      - .offset:         8
        .size:           4
        .value_kind:     by_value
      - .actual_access:  read_only
        .address_space:  global
        .offset:         16
        .size:           8
        .value_kind:     global_buffer
      - .actual_access:  read_only
        .address_space:  global
        .offset:         24
        .size:           8
        .value_kind:     global_buffer
      - .address_space:  global
        .offset:         32
        .size:           8
        .value_kind:     global_buffer
      - .actual_access:  read_only
        .address_space:  global
        .offset:         40
        .size:           8
        .value_kind:     global_buffer
      - .address_space:  global
        .offset:         48
        .size:           8
        .value_kind:     global_buffer
      - .actual_access:  read_only
        .address_space:  global
        .offset:         56
        .size:           8
        .value_kind:     global_buffer
      - .address_space:  global
        .offset:         64
        .size:           8
        .value_kind:     global_buffer
      - .offset:         72
        .size:           4
        .value_kind:     by_value
    .group_segment_fixed_size: 448
    .kernarg_segment_align: 8
    .kernarg_segment_size: 76
    .language:       OpenCL C
    .language_version:
      - 2
      - 0
    .max_flat_workgroup_size: 1
    .name:           _ZN9rocsparseL26bsric0_2_8_unrolled_kernelILi1ELi32ELi1EdEEv20rocsparse_direction_iiPKiS3_PT2_S3_PiS3_S6_21rocsparse_index_base_
    .private_segment_fixed_size: 0
    .sgpr_count:     42
    .sgpr_spill_count: 0
    .symbol:         _ZN9rocsparseL26bsric0_2_8_unrolled_kernelILi1ELi32ELi1EdEEv20rocsparse_direction_iiPKiS3_PT2_S3_PiS3_S6_21rocsparse_index_base_.kd
    .uniform_work_group_size: 1
    .uses_dynamic_stack: false
    .vgpr_count:     47
    .vgpr_spill_count: 0
    .wavefront_size: 64
  - .args:
      - .offset:         0
        .size:           4
        .value_kind:     by_value
      - .offset:         4
        .size:           4
        .value_kind:     by_value
      - .offset:         8
        .size:           4
        .value_kind:     by_value
      - .actual_access:  read_only
        .address_space:  global
        .offset:         16
        .size:           8
        .value_kind:     global_buffer
      - .actual_access:  read_only
        .address_space:  global
        .offset:         24
        .size:           8
        .value_kind:     global_buffer
      - .address_space:  global
        .offset:         32
        .size:           8
        .value_kind:     global_buffer
      - .actual_access:  read_only
        .address_space:  global
        .offset:         40
        .size:           8
        .value_kind:     global_buffer
      - .address_space:  global
        .offset:         48
        .size:           8
        .value_kind:     global_buffer
      - .actual_access:  read_only
        .address_space:  global
        .offset:         56
        .size:           8
        .value_kind:     global_buffer
      - .address_space:  global
        .offset:         64
        .size:           8
        .value_kind:     global_buffer
      - .offset:         72
        .size:           4
        .value_kind:     by_value
    .group_segment_fixed_size: 576
    .kernarg_segment_align: 8
    .kernarg_segment_size: 76
    .language:       OpenCL C
    .language_version:
      - 2
      - 0
    .max_flat_workgroup_size: 4
    .name:           _ZN9rocsparseL26bsric0_2_8_unrolled_kernelILi4ELi32ELi2EdEEv20rocsparse_direction_iiPKiS3_PT2_S3_PiS3_S6_21rocsparse_index_base_
    .private_segment_fixed_size: 0
    .sgpr_count:     44
    .sgpr_spill_count: 0
    .symbol:         _ZN9rocsparseL26bsric0_2_8_unrolled_kernelILi4ELi32ELi2EdEEv20rocsparse_direction_iiPKiS3_PT2_S3_PiS3_S6_21rocsparse_index_base_.kd
    .uniform_work_group_size: 1
    .uses_dynamic_stack: false
    .vgpr_count:     38
    .vgpr_spill_count: 0
    .wavefront_size: 64
  - .args:
      - .offset:         0
        .size:           4
        .value_kind:     by_value
      - .offset:         4
        .size:           4
        .value_kind:     by_value
      - .offset:         8
        .size:           4
        .value_kind:     by_value
      - .actual_access:  read_only
        .address_space:  global
        .offset:         16
        .size:           8
        .value_kind:     global_buffer
      - .actual_access:  read_only
        .address_space:  global
        .offset:         24
        .size:           8
        .value_kind:     global_buffer
      - .address_space:  global
        .offset:         32
        .size:           8
        .value_kind:     global_buffer
      - .actual_access:  read_only
        .address_space:  global
        .offset:         40
        .size:           8
        .value_kind:     global_buffer
      - .address_space:  global
        .offset:         48
        .size:           8
        .value_kind:     global_buffer
      - .actual_access:  read_only
        .address_space:  global
        .offset:         56
        .size:           8
        .value_kind:     global_buffer
      - .address_space:  global
        .offset:         64
        .size:           8
        .value_kind:     global_buffer
      - .offset:         72
        .size:           4
        .value_kind:     by_value
    .group_segment_fixed_size: 768
    .kernarg_segment_align: 8
    .kernarg_segment_size: 76
    .language:       OpenCL C
    .language_version:
      - 2
      - 0
    .max_flat_workgroup_size: 9
    .name:           _ZN9rocsparseL26bsric0_2_8_unrolled_kernelILi9ELi32ELi3EdEEv20rocsparse_direction_iiPKiS3_PT2_S3_PiS3_S6_21rocsparse_index_base_
    .private_segment_fixed_size: 0
    .sgpr_count:     44
    .sgpr_spill_count: 0
    .symbol:         _ZN9rocsparseL26bsric0_2_8_unrolled_kernelILi9ELi32ELi3EdEEv20rocsparse_direction_iiPKiS3_PT2_S3_PiS3_S6_21rocsparse_index_base_.kd
    .uniform_work_group_size: 1
    .uses_dynamic_stack: false
    .vgpr_count:     50
    .vgpr_spill_count: 0
    .wavefront_size: 64
  - .args:
      - .offset:         0
        .size:           4
        .value_kind:     by_value
      - .offset:         4
        .size:           4
        .value_kind:     by_value
      - .offset:         8
        .size:           4
        .value_kind:     by_value
      - .actual_access:  read_only
        .address_space:  global
        .offset:         16
        .size:           8
        .value_kind:     global_buffer
      - .actual_access:  read_only
        .address_space:  global
        .offset:         24
        .size:           8
        .value_kind:     global_buffer
      - .address_space:  global
        .offset:         32
        .size:           8
        .value_kind:     global_buffer
      - .actual_access:  read_only
        .address_space:  global
        .offset:         40
        .size:           8
        .value_kind:     global_buffer
      - .address_space:  global
        .offset:         48
        .size:           8
        .value_kind:     global_buffer
      - .actual_access:  read_only
        .address_space:  global
        .offset:         56
        .size:           8
        .value_kind:     global_buffer
      - .address_space:  global
        .offset:         64
        .size:           8
        .value_kind:     global_buffer
      - .offset:         72
        .size:           4
        .value_kind:     by_value
    .group_segment_fixed_size: 1024
    .kernarg_segment_align: 8
    .kernarg_segment_size: 76
    .language:       OpenCL C
    .language_version:
      - 2
      - 0
    .max_flat_workgroup_size: 16
    .name:           _ZN9rocsparseL26bsric0_2_8_unrolled_kernelILi16ELi32ELi4EdEEv20rocsparse_direction_iiPKiS3_PT2_S3_PiS3_S6_21rocsparse_index_base_
    .private_segment_fixed_size: 0
    .sgpr_count:     44
    .sgpr_spill_count: 0
    .symbol:         _ZN9rocsparseL26bsric0_2_8_unrolled_kernelILi16ELi32ELi4EdEEv20rocsparse_direction_iiPKiS3_PT2_S3_PiS3_S6_21rocsparse_index_base_.kd
    .uniform_work_group_size: 1
    .uses_dynamic_stack: false
    .vgpr_count:     45
    .vgpr_spill_count: 0
    .wavefront_size: 64
  - .args:
      - .offset:         0
        .size:           4
        .value_kind:     by_value
      - .offset:         4
        .size:           4
        .value_kind:     by_value
      - .offset:         8
        .size:           4
        .value_kind:     by_value
      - .actual_access:  read_only
        .address_space:  global
        .offset:         16
        .size:           8
        .value_kind:     global_buffer
      - .actual_access:  read_only
        .address_space:  global
        .offset:         24
        .size:           8
        .value_kind:     global_buffer
      - .address_space:  global
        .offset:         32
        .size:           8
        .value_kind:     global_buffer
      - .actual_access:  read_only
        .address_space:  global
        .offset:         40
        .size:           8
        .value_kind:     global_buffer
      - .address_space:  global
        .offset:         48
        .size:           8
        .value_kind:     global_buffer
      - .actual_access:  read_only
        .address_space:  global
        .offset:         56
        .size:           8
        .value_kind:     global_buffer
      - .address_space:  global
        .offset:         64
        .size:           8
        .value_kind:     global_buffer
      - .offset:         72
        .size:           4
        .value_kind:     by_value
    .group_segment_fixed_size: 1344
    .kernarg_segment_align: 8
    .kernarg_segment_size: 76
    .language:       OpenCL C
    .language_version:
      - 2
      - 0
    .max_flat_workgroup_size: 25
    .name:           _ZN9rocsparseL26bsric0_2_8_unrolled_kernelILi25ELi32ELi5EdEEv20rocsparse_direction_iiPKiS3_PT2_S3_PiS3_S6_21rocsparse_index_base_
    .private_segment_fixed_size: 0
    .sgpr_count:     44
    .sgpr_spill_count: 0
    .symbol:         _ZN9rocsparseL26bsric0_2_8_unrolled_kernelILi25ELi32ELi5EdEEv20rocsparse_direction_iiPKiS3_PT2_S3_PiS3_S6_21rocsparse_index_base_.kd
    .uniform_work_group_size: 1
    .uses_dynamic_stack: false
    .vgpr_count:     50
    .vgpr_spill_count: 0
    .wavefront_size: 64
  - .args:
      - .offset:         0
        .size:           4
        .value_kind:     by_value
      - .offset:         4
        .size:           4
        .value_kind:     by_value
      - .offset:         8
        .size:           4
        .value_kind:     by_value
      - .actual_access:  read_only
        .address_space:  global
        .offset:         16
        .size:           8
        .value_kind:     global_buffer
      - .actual_access:  read_only
        .address_space:  global
        .offset:         24
        .size:           8
        .value_kind:     global_buffer
      - .address_space:  global
        .offset:         32
        .size:           8
        .value_kind:     global_buffer
      - .actual_access:  read_only
        .address_space:  global
        .offset:         40
        .size:           8
        .value_kind:     global_buffer
      - .address_space:  global
        .offset:         48
        .size:           8
        .value_kind:     global_buffer
      - .actual_access:  read_only
        .address_space:  global
        .offset:         56
        .size:           8
        .value_kind:     global_buffer
      - .address_space:  global
        .offset:         64
        .size:           8
        .value_kind:     global_buffer
      - .offset:         72
        .size:           4
        .value_kind:     by_value
    .group_segment_fixed_size: 1728
    .kernarg_segment_align: 8
    .kernarg_segment_size: 76
    .language:       OpenCL C
    .language_version:
      - 2
      - 0
    .max_flat_workgroup_size: 36
    .name:           _ZN9rocsparseL26bsric0_2_8_unrolled_kernelILi36ELi32ELi6EdEEv20rocsparse_direction_iiPKiS3_PT2_S3_PiS3_S6_21rocsparse_index_base_
    .private_segment_fixed_size: 0
    .sgpr_count:     44
    .sgpr_spill_count: 0
    .symbol:         _ZN9rocsparseL26bsric0_2_8_unrolled_kernelILi36ELi32ELi6EdEEv20rocsparse_direction_iiPKiS3_PT2_S3_PiS3_S6_21rocsparse_index_base_.kd
    .uniform_work_group_size: 1
    .uses_dynamic_stack: false
    .vgpr_count:     51
    .vgpr_spill_count: 0
    .wavefront_size: 64
  - .args:
      - .offset:         0
        .size:           4
        .value_kind:     by_value
      - .offset:         4
        .size:           4
        .value_kind:     by_value
      - .offset:         8
        .size:           4
        .value_kind:     by_value
      - .actual_access:  read_only
        .address_space:  global
        .offset:         16
        .size:           8
        .value_kind:     global_buffer
      - .actual_access:  read_only
        .address_space:  global
        .offset:         24
        .size:           8
        .value_kind:     global_buffer
      - .address_space:  global
        .offset:         32
        .size:           8
        .value_kind:     global_buffer
      - .actual_access:  read_only
        .address_space:  global
        .offset:         40
        .size:           8
        .value_kind:     global_buffer
      - .address_space:  global
        .offset:         48
        .size:           8
        .value_kind:     global_buffer
      - .actual_access:  read_only
        .address_space:  global
        .offset:         56
        .size:           8
        .value_kind:     global_buffer
      - .address_space:  global
        .offset:         64
        .size:           8
        .value_kind:     global_buffer
      - .offset:         72
        .size:           4
        .value_kind:     by_value
    .group_segment_fixed_size: 2176
    .kernarg_segment_align: 8
    .kernarg_segment_size: 76
    .language:       OpenCL C
    .language_version:
      - 2
      - 0
    .max_flat_workgroup_size: 49
    .name:           _ZN9rocsparseL26bsric0_2_8_unrolled_kernelILi49ELi32ELi7EdEEv20rocsparse_direction_iiPKiS3_PT2_S3_PiS3_S6_21rocsparse_index_base_
    .private_segment_fixed_size: 0
    .sgpr_count:     44
    .sgpr_spill_count: 0
    .symbol:         _ZN9rocsparseL26bsric0_2_8_unrolled_kernelILi49ELi32ELi7EdEEv20rocsparse_direction_iiPKiS3_PT2_S3_PiS3_S6_21rocsparse_index_base_.kd
    .uniform_work_group_size: 1
    .uses_dynamic_stack: false
    .vgpr_count:     58
    .vgpr_spill_count: 0
    .wavefront_size: 64
  - .args:
      - .offset:         0
        .size:           4
        .value_kind:     by_value
      - .offset:         4
        .size:           4
        .value_kind:     by_value
      - .offset:         8
        .size:           4
        .value_kind:     by_value
      - .actual_access:  read_only
        .address_space:  global
        .offset:         16
        .size:           8
        .value_kind:     global_buffer
      - .actual_access:  read_only
        .address_space:  global
        .offset:         24
        .size:           8
        .value_kind:     global_buffer
      - .address_space:  global
        .offset:         32
        .size:           8
        .value_kind:     global_buffer
      - .actual_access:  read_only
        .address_space:  global
        .offset:         40
        .size:           8
        .value_kind:     global_buffer
      - .address_space:  global
        .offset:         48
        .size:           8
        .value_kind:     global_buffer
      - .actual_access:  read_only
        .address_space:  global
        .offset:         56
        .size:           8
        .value_kind:     global_buffer
      - .address_space:  global
        .offset:         64
        .size:           8
        .value_kind:     global_buffer
      - .offset:         72
        .size:           4
        .value_kind:     by_value
    .group_segment_fixed_size: 2688
    .kernarg_segment_align: 8
    .kernarg_segment_size: 76
    .language:       OpenCL C
    .language_version:
      - 2
      - 0
    .max_flat_workgroup_size: 64
    .name:           _ZN9rocsparseL26bsric0_2_8_unrolled_kernelILi64ELi32ELi8EdEEv20rocsparse_direction_iiPKiS3_PT2_S3_PiS3_S6_21rocsparse_index_base_
    .private_segment_fixed_size: 0
    .sgpr_count:     44
    .sgpr_spill_count: 0
    .symbol:         _ZN9rocsparseL26bsric0_2_8_unrolled_kernelILi64ELi32ELi8EdEEv20rocsparse_direction_iiPKiS3_PT2_S3_PiS3_S6_21rocsparse_index_base_.kd
    .uniform_work_group_size: 1
    .uses_dynamic_stack: false
    .vgpr_count:     61
    .vgpr_spill_count: 0
    .wavefront_size: 64
  - .args:
      - .offset:         0
        .size:           4
        .value_kind:     by_value
      - .offset:         4
        .size:           4
        .value_kind:     by_value
      - .offset:         8
        .size:           4
        .value_kind:     by_value
      - .actual_access:  read_only
        .address_space:  global
        .offset:         16
        .size:           8
        .value_kind:     global_buffer
      - .actual_access:  read_only
        .address_space:  global
        .offset:         24
        .size:           8
        .value_kind:     global_buffer
      - .address_space:  global
        .offset:         32
        .size:           8
        .value_kind:     global_buffer
      - .actual_access:  read_only
        .address_space:  global
        .offset:         40
        .size:           8
        .value_kind:     global_buffer
      - .address_space:  global
        .offset:         48
        .size:           8
        .value_kind:     global_buffer
      - .actual_access:  read_only
        .address_space:  global
        .offset:         56
        .size:           8
        .value_kind:     global_buffer
      - .address_space:  global
        .offset:         64
        .size:           8
        .value_kind:     global_buffer
      - .offset:         72
        .size:           4
        .value_kind:     by_value
    .group_segment_fixed_size: 9088
    .kernarg_segment_align: 8
    .kernarg_segment_size: 76
    .language:       OpenCL C
    .language_version:
      - 2
      - 0
    .max_flat_workgroup_size: 64
    .name:           _ZN9rocsparseL18bsric0_9_16_kernelILi64ELi32ELi16EdEEv20rocsparse_direction_iiPKiS3_PT2_S3_PiS3_S6_21rocsparse_index_base_
    .private_segment_fixed_size: 0
    .sgpr_count:     58
    .sgpr_spill_count: 0
    .symbol:         _ZN9rocsparseL18bsric0_9_16_kernelILi64ELi32ELi16EdEEv20rocsparse_direction_iiPKiS3_PT2_S3_PiS3_S6_21rocsparse_index_base_.kd
    .uniform_work_group_size: 1
    .uses_dynamic_stack: false
    .vgpr_count:     30
    .vgpr_spill_count: 0
    .wavefront_size: 64
  - .args:
      - .offset:         0
        .size:           4
        .value_kind:     by_value
      - .offset:         4
        .size:           4
        .value_kind:     by_value
      - .offset:         8
        .size:           4
        .value_kind:     by_value
      - .actual_access:  read_only
        .address_space:  global
        .offset:         16
        .size:           8
        .value_kind:     global_buffer
      - .actual_access:  read_only
        .address_space:  global
        .offset:         24
        .size:           8
        .value_kind:     global_buffer
      - .address_space:  global
        .offset:         32
        .size:           8
        .value_kind:     global_buffer
      - .actual_access:  read_only
        .address_space:  global
        .offset:         40
        .size:           8
        .value_kind:     global_buffer
      - .address_space:  global
        .offset:         48
        .size:           8
        .value_kind:     global_buffer
      - .actual_access:  read_only
        .address_space:  global
        .offset:         56
        .size:           8
        .value_kind:     global_buffer
      - .address_space:  global
        .offset:         64
        .size:           8
        .value_kind:     global_buffer
      - .offset:         72
        .size:           4
        .value_kind:     by_value
    .group_segment_fixed_size: 25728
    .kernarg_segment_align: 8
    .kernarg_segment_size: 76
    .language:       OpenCL C
    .language_version:
      - 2
      - 0
    .max_flat_workgroup_size: 64
    .name:           _ZN9rocsparseL19bsric0_17_32_kernelILi64ELi32ELi32EdEEv20rocsparse_direction_iiPKiS3_PT2_S3_PiS3_S6_21rocsparse_index_base_
    .private_segment_fixed_size: 0
    .sgpr_count:     60
    .sgpr_spill_count: 0
    .symbol:         _ZN9rocsparseL19bsric0_17_32_kernelILi64ELi32ELi32EdEEv20rocsparse_direction_iiPKiS3_PT2_S3_PiS3_S6_21rocsparse_index_base_.kd
    .uniform_work_group_size: 1
    .uses_dynamic_stack: false
    .vgpr_count:     29
    .vgpr_spill_count: 0
    .wavefront_size: 64
  - .args:
      - .offset:         0
        .size:           4
        .value_kind:     by_value
      - .offset:         4
        .size:           4
        .value_kind:     by_value
      - .offset:         8
        .size:           4
        .value_kind:     by_value
      - .actual_access:  read_only
        .address_space:  global
        .offset:         16
        .size:           8
        .value_kind:     global_buffer
      - .actual_access:  read_only
        .address_space:  global
        .offset:         24
        .size:           8
        .value_kind:     global_buffer
      - .address_space:  global
        .offset:         32
        .size:           8
        .value_kind:     global_buffer
      - .actual_access:  read_only
        .address_space:  global
        .offset:         40
        .size:           8
        .value_kind:     global_buffer
      - .address_space:  global
        .offset:         48
        .size:           8
        .value_kind:     global_buffer
      - .actual_access:  read_only
        .address_space:  global
        .offset:         56
        .size:           8
        .value_kind:     global_buffer
      - .address_space:  global
        .offset:         64
        .size:           8
        .value_kind:     global_buffer
      - .offset:         72
        .size:           4
        .value_kind:     by_value
    .group_segment_fixed_size: 0
    .kernarg_segment_align: 8
    .kernarg_segment_size: 76
    .language:       OpenCL C
    .language_version:
      - 2
      - 0
    .max_flat_workgroup_size: 64
    .name:           _ZN9rocsparseL23bsric0_binsearch_kernelILj64ELj64ELb0EdEEv20rocsparse_direction_iiPKiS3_PT2_S3_PiS3_S6_21rocsparse_index_base_
    .private_segment_fixed_size: 0
    .sgpr_count:     61
    .sgpr_spill_count: 0
    .symbol:         _ZN9rocsparseL23bsric0_binsearch_kernelILj64ELj64ELb0EdEEv20rocsparse_direction_iiPKiS3_PT2_S3_PiS3_S6_21rocsparse_index_base_.kd
    .uniform_work_group_size: 1
    .uses_dynamic_stack: false
    .vgpr_count:     53
    .vgpr_spill_count: 0
    .wavefront_size: 64
  - .args:
      - .offset:         0
        .size:           4
        .value_kind:     by_value
      - .offset:         4
        .size:           4
        .value_kind:     by_value
      - .offset:         8
        .size:           4
        .value_kind:     by_value
      - .actual_access:  read_only
        .address_space:  global
        .offset:         16
        .size:           8
        .value_kind:     global_buffer
      - .actual_access:  read_only
        .address_space:  global
        .offset:         24
        .size:           8
        .value_kind:     global_buffer
      - .address_space:  global
        .offset:         32
        .size:           8
        .value_kind:     global_buffer
      - .actual_access:  read_only
        .address_space:  global
        .offset:         40
        .size:           8
        .value_kind:     global_buffer
      - .address_space:  global
        .offset:         48
        .size:           8
        .value_kind:     global_buffer
      - .actual_access:  read_only
        .address_space:  global
        .offset:         56
        .size:           8
        .value_kind:     global_buffer
      - .address_space:  global
        .offset:         64
        .size:           8
        .value_kind:     global_buffer
      - .offset:         72
        .size:           4
        .value_kind:     by_value
    .group_segment_fixed_size: 3072
    .kernarg_segment_align: 8
    .kernarg_segment_size: 76
    .language:       OpenCL C
    .language_version:
      - 2
      - 0
    .max_flat_workgroup_size: 64
    .name:           _ZN9rocsparseL17bsric0_2_8_kernelILi64ELi64ELi8EdEEv20rocsparse_direction_iiPKiS3_PT2_S3_PiS3_S6_21rocsparse_index_base_
    .private_segment_fixed_size: 0
    .sgpr_count:     54
    .sgpr_spill_count: 0
    .symbol:         _ZN9rocsparseL17bsric0_2_8_kernelILi64ELi64ELi8EdEEv20rocsparse_direction_iiPKiS3_PT2_S3_PiS3_S6_21rocsparse_index_base_.kd
    .uniform_work_group_size: 1
    .uses_dynamic_stack: false
    .vgpr_count:     32
    .vgpr_spill_count: 0
    .wavefront_size: 64
  - .args:
      - .offset:         0
        .size:           4
        .value_kind:     by_value
      - .offset:         4
        .size:           4
        .value_kind:     by_value
      - .offset:         8
        .size:           4
        .value_kind:     by_value
      - .actual_access:  read_only
        .address_space:  global
        .offset:         16
        .size:           8
        .value_kind:     global_buffer
      - .actual_access:  read_only
        .address_space:  global
        .offset:         24
        .size:           8
        .value_kind:     global_buffer
      - .address_space:  global
        .offset:         32
        .size:           8
        .value_kind:     global_buffer
      - .actual_access:  read_only
        .address_space:  global
        .offset:         40
        .size:           8
        .value_kind:     global_buffer
      - .address_space:  global
        .offset:         48
        .size:           8
        .value_kind:     global_buffer
      - .actual_access:  read_only
        .address_space:  global
        .offset:         56
        .size:           8
        .value_kind:     global_buffer
      - .address_space:  global
        .offset:         64
        .size:           8
        .value_kind:     global_buffer
      - .offset:         72
        .size:           4
        .value_kind:     by_value
    .group_segment_fixed_size: 9472
    .kernarg_segment_align: 8
    .kernarg_segment_size: 76
    .language:       OpenCL C
    .language_version:
      - 2
      - 0
    .max_flat_workgroup_size: 64
    .name:           _ZN9rocsparseL18bsric0_9_16_kernelILi64ELi64ELi16EdEEv20rocsparse_direction_iiPKiS3_PT2_S3_PiS3_S6_21rocsparse_index_base_
    .private_segment_fixed_size: 0
    .sgpr_count:     58
    .sgpr_spill_count: 0
    .symbol:         _ZN9rocsparseL18bsric0_9_16_kernelILi64ELi64ELi16EdEEv20rocsparse_direction_iiPKiS3_PT2_S3_PiS3_S6_21rocsparse_index_base_.kd
    .uniform_work_group_size: 1
    .uses_dynamic_stack: false
    .vgpr_count:     30
    .vgpr_spill_count: 0
    .wavefront_size: 64
  - .args:
      - .offset:         0
        .size:           4
        .value_kind:     by_value
      - .offset:         4
        .size:           4
        .value_kind:     by_value
      - .offset:         8
        .size:           4
        .value_kind:     by_value
      - .actual_access:  read_only
        .address_space:  global
        .offset:         16
        .size:           8
        .value_kind:     global_buffer
      - .actual_access:  read_only
        .address_space:  global
        .offset:         24
        .size:           8
        .value_kind:     global_buffer
      - .address_space:  global
        .offset:         32
        .size:           8
        .value_kind:     global_buffer
      - .actual_access:  read_only
        .address_space:  global
        .offset:         40
        .size:           8
        .value_kind:     global_buffer
      - .address_space:  global
        .offset:         48
        .size:           8
        .value_kind:     global_buffer
      - .actual_access:  read_only
        .address_space:  global
        .offset:         56
        .size:           8
        .value_kind:     global_buffer
      - .address_space:  global
        .offset:         64
        .size:           8
        .value_kind:     global_buffer
      - .offset:         72
        .size:           4
        .value_kind:     by_value
    .group_segment_fixed_size: 26112
    .kernarg_segment_align: 8
    .kernarg_segment_size: 76
    .language:       OpenCL C
    .language_version:
      - 2
      - 0
    .max_flat_workgroup_size: 64
    .name:           _ZN9rocsparseL19bsric0_17_32_kernelILi64ELi64ELi32EdEEv20rocsparse_direction_iiPKiS3_PT2_S3_PiS3_S6_21rocsparse_index_base_
    .private_segment_fixed_size: 0
    .sgpr_count:     60
    .sgpr_spill_count: 0
    .symbol:         _ZN9rocsparseL19bsric0_17_32_kernelILi64ELi64ELi32EdEEv20rocsparse_direction_iiPKiS3_PT2_S3_PiS3_S6_21rocsparse_index_base_.kd
    .uniform_work_group_size: 1
    .uses_dynamic_stack: false
    .vgpr_count:     30
    .vgpr_spill_count: 0
    .wavefront_size: 64
  - .args:
      - .offset:         0
        .size:           4
        .value_kind:     by_value
      - .offset:         4
        .size:           4
        .value_kind:     by_value
      - .offset:         8
        .size:           4
        .value_kind:     by_value
      - .actual_access:  read_only
        .address_space:  global
        .offset:         16
        .size:           8
        .value_kind:     global_buffer
      - .actual_access:  read_only
        .address_space:  global
        .offset:         24
        .size:           8
        .value_kind:     global_buffer
      - .address_space:  global
        .offset:         32
        .size:           8
        .value_kind:     global_buffer
      - .actual_access:  read_only
        .address_space:  global
        .offset:         40
        .size:           8
        .value_kind:     global_buffer
      - .address_space:  global
        .offset:         48
        .size:           8
        .value_kind:     global_buffer
      - .actual_access:  read_only
        .address_space:  global
        .offset:         56
        .size:           8
        .value_kind:     global_buffer
      - .address_space:  global
        .offset:         64
        .size:           8
        .value_kind:     global_buffer
      - .offset:         72
        .size:           4
        .value_kind:     by_value
    .group_segment_fixed_size: 3840
    .kernarg_segment_align: 8
    .kernarg_segment_size: 76
    .language:       OpenCL C
    .language_version:
      - 2
      - 0
    .max_flat_workgroup_size: 64
    .name:           _ZN9rocsparseL17bsric0_2_8_kernelILi64ELi128ELi8EdEEv20rocsparse_direction_iiPKiS3_PT2_S3_PiS3_S6_21rocsparse_index_base_
    .private_segment_fixed_size: 0
    .sgpr_count:     54
    .sgpr_spill_count: 0
    .symbol:         _ZN9rocsparseL17bsric0_2_8_kernelILi64ELi128ELi8EdEEv20rocsparse_direction_iiPKiS3_PT2_S3_PiS3_S6_21rocsparse_index_base_.kd
    .uniform_work_group_size: 1
    .uses_dynamic_stack: false
    .vgpr_count:     32
    .vgpr_spill_count: 0
    .wavefront_size: 64
  - .args:
      - .offset:         0
        .size:           4
        .value_kind:     by_value
      - .offset:         4
        .size:           4
        .value_kind:     by_value
      - .offset:         8
        .size:           4
        .value_kind:     by_value
      - .actual_access:  read_only
        .address_space:  global
        .offset:         16
        .size:           8
        .value_kind:     global_buffer
      - .actual_access:  read_only
        .address_space:  global
        .offset:         24
        .size:           8
        .value_kind:     global_buffer
      - .address_space:  global
        .offset:         32
        .size:           8
        .value_kind:     global_buffer
      - .actual_access:  read_only
        .address_space:  global
        .offset:         40
        .size:           8
        .value_kind:     global_buffer
      - .address_space:  global
        .offset:         48
        .size:           8
        .value_kind:     global_buffer
      - .actual_access:  read_only
        .address_space:  global
        .offset:         56
        .size:           8
        .value_kind:     global_buffer
      - .address_space:  global
        .offset:         64
        .size:           8
        .value_kind:     global_buffer
      - .offset:         72
        .size:           4
        .value_kind:     by_value
    .group_segment_fixed_size: 10240
    .kernarg_segment_align: 8
    .kernarg_segment_size: 76
    .language:       OpenCL C
    .language_version:
      - 2
      - 0
    .max_flat_workgroup_size: 64
    .name:           _ZN9rocsparseL18bsric0_9_16_kernelILi64ELi128ELi16EdEEv20rocsparse_direction_iiPKiS3_PT2_S3_PiS3_S6_21rocsparse_index_base_
    .private_segment_fixed_size: 0
    .sgpr_count:     58
    .sgpr_spill_count: 0
    .symbol:         _ZN9rocsparseL18bsric0_9_16_kernelILi64ELi128ELi16EdEEv20rocsparse_direction_iiPKiS3_PT2_S3_PiS3_S6_21rocsparse_index_base_.kd
    .uniform_work_group_size: 1
    .uses_dynamic_stack: false
    .vgpr_count:     30
    .vgpr_spill_count: 0
    .wavefront_size: 64
  - .args:
      - .offset:         0
        .size:           4
        .value_kind:     by_value
      - .offset:         4
        .size:           4
        .value_kind:     by_value
      - .offset:         8
        .size:           4
        .value_kind:     by_value
      - .actual_access:  read_only
        .address_space:  global
        .offset:         16
        .size:           8
        .value_kind:     global_buffer
      - .actual_access:  read_only
        .address_space:  global
        .offset:         24
        .size:           8
        .value_kind:     global_buffer
      - .address_space:  global
        .offset:         32
        .size:           8
        .value_kind:     global_buffer
      - .actual_access:  read_only
        .address_space:  global
        .offset:         40
        .size:           8
        .value_kind:     global_buffer
      - .address_space:  global
        .offset:         48
        .size:           8
        .value_kind:     global_buffer
      - .actual_access:  read_only
        .address_space:  global
        .offset:         56
        .size:           8
        .value_kind:     global_buffer
      - .address_space:  global
        .offset:         64
        .size:           8
        .value_kind:     global_buffer
      - .offset:         72
        .size:           4
        .value_kind:     by_value
    .group_segment_fixed_size: 26880
    .kernarg_segment_align: 8
    .kernarg_segment_size: 76
    .language:       OpenCL C
    .language_version:
      - 2
      - 0
    .max_flat_workgroup_size: 64
    .name:           _ZN9rocsparseL19bsric0_17_32_kernelILi64ELi128ELi32EdEEv20rocsparse_direction_iiPKiS3_PT2_S3_PiS3_S6_21rocsparse_index_base_
    .private_segment_fixed_size: 0
    .sgpr_count:     60
    .sgpr_spill_count: 0
    .symbol:         _ZN9rocsparseL19bsric0_17_32_kernelILi64ELi128ELi32EdEEv20rocsparse_direction_iiPKiS3_PT2_S3_PiS3_S6_21rocsparse_index_base_.kd
    .uniform_work_group_size: 1
    .uses_dynamic_stack: false
    .vgpr_count:     30
    .vgpr_spill_count: 0
    .wavefront_size: 64
  - .args:
      - .offset:         0
        .size:           4
        .value_kind:     by_value
      - .offset:         4
        .size:           4
        .value_kind:     by_value
      - .offset:         8
        .size:           4
        .value_kind:     by_value
      - .actual_access:  read_only
        .address_space:  global
        .offset:         16
        .size:           8
        .value_kind:     global_buffer
      - .actual_access:  read_only
        .address_space:  global
        .offset:         24
        .size:           8
        .value_kind:     global_buffer
      - .address_space:  global
        .offset:         32
        .size:           8
        .value_kind:     global_buffer
      - .actual_access:  read_only
        .address_space:  global
        .offset:         40
        .size:           8
        .value_kind:     global_buffer
      - .address_space:  global
        .offset:         48
        .size:           8
        .value_kind:     global_buffer
      - .actual_access:  read_only
        .address_space:  global
        .offset:         56
        .size:           8
        .value_kind:     global_buffer
      - .address_space:  global
        .offset:         64
        .size:           8
        .value_kind:     global_buffer
      - .offset:         72
        .size:           4
        .value_kind:     by_value
    .group_segment_fixed_size: 0
    .kernarg_segment_align: 8
    .kernarg_segment_size: 76
    .language:       OpenCL C
    .language_version:
      - 2
      - 0
    .max_flat_workgroup_size: 32
    .name:           _ZN9rocsparseL23bsric0_binsearch_kernelILj32ELj32ELb0E21rocsparse_complex_numIfEEEv20rocsparse_direction_iiPKiS5_PT2_S5_PiS5_S8_21rocsparse_index_base_
    .private_segment_fixed_size: 0
    .sgpr_count:     60
    .sgpr_spill_count: 0
    .symbol:         _ZN9rocsparseL23bsric0_binsearch_kernelILj32ELj32ELb0E21rocsparse_complex_numIfEEEv20rocsparse_direction_iiPKiS5_PT2_S5_PiS5_S8_21rocsparse_index_base_.kd
    .uniform_work_group_size: 1
    .uses_dynamic_stack: false
    .vgpr_count:     50
    .vgpr_spill_count: 0
    .wavefront_size: 64
  - .args:
      - .offset:         0
        .size:           4
        .value_kind:     by_value
      - .offset:         4
        .size:           4
        .value_kind:     by_value
      - .offset:         8
        .size:           4
        .value_kind:     by_value
      - .actual_access:  read_only
        .address_space:  global
        .offset:         16
        .size:           8
        .value_kind:     global_buffer
      - .actual_access:  read_only
        .address_space:  global
        .offset:         24
        .size:           8
        .value_kind:     global_buffer
      - .address_space:  global
        .offset:         32
        .size:           8
        .value_kind:     global_buffer
      - .actual_access:  read_only
        .address_space:  global
        .offset:         40
        .size:           8
        .value_kind:     global_buffer
      - .address_space:  global
        .offset:         48
        .size:           8
        .value_kind:     global_buffer
      - .actual_access:  read_only
        .address_space:  global
        .offset:         56
        .size:           8
        .value_kind:     global_buffer
      - .address_space:  global
        .offset:         64
        .size:           8
        .value_kind:     global_buffer
      - .offset:         72
        .size:           4
        .value_kind:     by_value
    .group_segment_fixed_size: 0
    .kernarg_segment_align: 8
    .kernarg_segment_size: 76
    .language:       OpenCL C
    .language_version:
      - 2
      - 0
    .max_flat_workgroup_size: 64
    .name:           _ZN9rocsparseL23bsric0_binsearch_kernelILj64ELj64ELb1E21rocsparse_complex_numIfEEEv20rocsparse_direction_iiPKiS5_PT2_S5_PiS5_S8_21rocsparse_index_base_
    .private_segment_fixed_size: 0
    .sgpr_count:     60
    .sgpr_spill_count: 0
    .symbol:         _ZN9rocsparseL23bsric0_binsearch_kernelILj64ELj64ELb1E21rocsparse_complex_numIfEEEv20rocsparse_direction_iiPKiS5_PT2_S5_PiS5_S8_21rocsparse_index_base_.kd
    .uniform_work_group_size: 1
    .uses_dynamic_stack: false
    .vgpr_count:     50
    .vgpr_spill_count: 0
    .wavefront_size: 64
  - .args:
      - .offset:         0
        .size:           4
        .value_kind:     by_value
      - .offset:         4
        .size:           4
        .value_kind:     by_value
      - .offset:         8
        .size:           4
        .value_kind:     by_value
      - .actual_access:  read_only
        .address_space:  global
        .offset:         16
        .size:           8
        .value_kind:     global_buffer
      - .actual_access:  read_only
        .address_space:  global
        .offset:         24
        .size:           8
        .value_kind:     global_buffer
      - .address_space:  global
        .offset:         32
        .size:           8
        .value_kind:     global_buffer
      - .actual_access:  read_only
        .address_space:  global
        .offset:         40
        .size:           8
        .value_kind:     global_buffer
      - .address_space:  global
        .offset:         48
        .size:           8
        .value_kind:     global_buffer
      - .actual_access:  read_only
        .address_space:  global
        .offset:         56
        .size:           8
        .value_kind:     global_buffer
      - .address_space:  global
        .offset:         64
        .size:           8
        .value_kind:     global_buffer
      - .offset:         72
        .size:           4
        .value_kind:     by_value
    .group_segment_fixed_size: 448
    .kernarg_segment_align: 8
    .kernarg_segment_size: 76
    .language:       OpenCL C
    .language_version:
      - 2
      - 0
    .max_flat_workgroup_size: 1
    .name:           _ZN9rocsparseL26bsric0_2_8_unrolled_kernelILi1ELi32ELi1E21rocsparse_complex_numIfEEEv20rocsparse_direction_iiPKiS5_PT2_S5_PiS5_S8_21rocsparse_index_base_
    .private_segment_fixed_size: 0
    .sgpr_count:     42
    .sgpr_spill_count: 0
    .symbol:         _ZN9rocsparseL26bsric0_2_8_unrolled_kernelILi1ELi32ELi1E21rocsparse_complex_numIfEEEv20rocsparse_direction_iiPKiS5_PT2_S5_PiS5_S8_21rocsparse_index_base_.kd
    .uniform_work_group_size: 1
    .uses_dynamic_stack: false
    .vgpr_count:     40
    .vgpr_spill_count: 0
    .wavefront_size: 64
  - .args:
      - .offset:         0
        .size:           4
        .value_kind:     by_value
      - .offset:         4
        .size:           4
        .value_kind:     by_value
      - .offset:         8
        .size:           4
        .value_kind:     by_value
      - .actual_access:  read_only
        .address_space:  global
        .offset:         16
        .size:           8
        .value_kind:     global_buffer
      - .actual_access:  read_only
        .address_space:  global
        .offset:         24
        .size:           8
        .value_kind:     global_buffer
      - .address_space:  global
        .offset:         32
        .size:           8
        .value_kind:     global_buffer
      - .actual_access:  read_only
        .address_space:  global
        .offset:         40
        .size:           8
        .value_kind:     global_buffer
      - .address_space:  global
        .offset:         48
        .size:           8
        .value_kind:     global_buffer
      - .actual_access:  read_only
        .address_space:  global
        .offset:         56
        .size:           8
        .value_kind:     global_buffer
      - .address_space:  global
        .offset:         64
        .size:           8
        .value_kind:     global_buffer
      - .offset:         72
        .size:           4
        .value_kind:     by_value
    .group_segment_fixed_size: 576
    .kernarg_segment_align: 8
    .kernarg_segment_size: 76
    .language:       OpenCL C
    .language_version:
      - 2
      - 0
    .max_flat_workgroup_size: 4
    .name:           _ZN9rocsparseL26bsric0_2_8_unrolled_kernelILi4ELi32ELi2E21rocsparse_complex_numIfEEEv20rocsparse_direction_iiPKiS5_PT2_S5_PiS5_S8_21rocsparse_index_base_
    .private_segment_fixed_size: 0
    .sgpr_count:     44
    .sgpr_spill_count: 0
    .symbol:         _ZN9rocsparseL26bsric0_2_8_unrolled_kernelILi4ELi32ELi2E21rocsparse_complex_numIfEEEv20rocsparse_direction_iiPKiS5_PT2_S5_PiS5_S8_21rocsparse_index_base_.kd
    .uniform_work_group_size: 1
    .uses_dynamic_stack: false
    .vgpr_count:     37
    .vgpr_spill_count: 0
    .wavefront_size: 64
  - .args:
      - .offset:         0
        .size:           4
        .value_kind:     by_value
      - .offset:         4
        .size:           4
        .value_kind:     by_value
      - .offset:         8
        .size:           4
        .value_kind:     by_value
      - .actual_access:  read_only
        .address_space:  global
        .offset:         16
        .size:           8
        .value_kind:     global_buffer
      - .actual_access:  read_only
        .address_space:  global
        .offset:         24
        .size:           8
        .value_kind:     global_buffer
      - .address_space:  global
        .offset:         32
        .size:           8
        .value_kind:     global_buffer
      - .actual_access:  read_only
        .address_space:  global
        .offset:         40
        .size:           8
        .value_kind:     global_buffer
      - .address_space:  global
        .offset:         48
        .size:           8
        .value_kind:     global_buffer
      - .actual_access:  read_only
        .address_space:  global
        .offset:         56
        .size:           8
        .value_kind:     global_buffer
      - .address_space:  global
        .offset:         64
        .size:           8
        .value_kind:     global_buffer
      - .offset:         72
        .size:           4
        .value_kind:     by_value
    .group_segment_fixed_size: 768
    .kernarg_segment_align: 8
    .kernarg_segment_size: 76
    .language:       OpenCL C
    .language_version:
      - 2
      - 0
    .max_flat_workgroup_size: 9
    .name:           _ZN9rocsparseL26bsric0_2_8_unrolled_kernelILi9ELi32ELi3E21rocsparse_complex_numIfEEEv20rocsparse_direction_iiPKiS5_PT2_S5_PiS5_S8_21rocsparse_index_base_
    .private_segment_fixed_size: 0
    .sgpr_count:     44
    .sgpr_spill_count: 0
    .symbol:         _ZN9rocsparseL26bsric0_2_8_unrolled_kernelILi9ELi32ELi3E21rocsparse_complex_numIfEEEv20rocsparse_direction_iiPKiS5_PT2_S5_PiS5_S8_21rocsparse_index_base_.kd
    .uniform_work_group_size: 1
    .uses_dynamic_stack: false
    .vgpr_count:     39
    .vgpr_spill_count: 0
    .wavefront_size: 64
  - .args:
      - .offset:         0
        .size:           4
        .value_kind:     by_value
      - .offset:         4
        .size:           4
        .value_kind:     by_value
      - .offset:         8
        .size:           4
        .value_kind:     by_value
      - .actual_access:  read_only
        .address_space:  global
        .offset:         16
        .size:           8
        .value_kind:     global_buffer
      - .actual_access:  read_only
        .address_space:  global
        .offset:         24
        .size:           8
        .value_kind:     global_buffer
      - .address_space:  global
        .offset:         32
        .size:           8
        .value_kind:     global_buffer
      - .actual_access:  read_only
        .address_space:  global
        .offset:         40
        .size:           8
        .value_kind:     global_buffer
      - .address_space:  global
        .offset:         48
        .size:           8
        .value_kind:     global_buffer
      - .actual_access:  read_only
        .address_space:  global
        .offset:         56
        .size:           8
        .value_kind:     global_buffer
      - .address_space:  global
        .offset:         64
        .size:           8
        .value_kind:     global_buffer
      - .offset:         72
        .size:           4
        .value_kind:     by_value
    .group_segment_fixed_size: 1024
    .kernarg_segment_align: 8
    .kernarg_segment_size: 76
    .language:       OpenCL C
    .language_version:
      - 2
      - 0
    .max_flat_workgroup_size: 16
    .name:           _ZN9rocsparseL26bsric0_2_8_unrolled_kernelILi16ELi32ELi4E21rocsparse_complex_numIfEEEv20rocsparse_direction_iiPKiS5_PT2_S5_PiS5_S8_21rocsparse_index_base_
    .private_segment_fixed_size: 0
    .sgpr_count:     44
    .sgpr_spill_count: 0
    .symbol:         _ZN9rocsparseL26bsric0_2_8_unrolled_kernelILi16ELi32ELi4E21rocsparse_complex_numIfEEEv20rocsparse_direction_iiPKiS5_PT2_S5_PiS5_S8_21rocsparse_index_base_.kd
    .uniform_work_group_size: 1
    .uses_dynamic_stack: false
    .vgpr_count:     44
    .vgpr_spill_count: 0
    .wavefront_size: 64
  - .args:
      - .offset:         0
        .size:           4
        .value_kind:     by_value
      - .offset:         4
        .size:           4
        .value_kind:     by_value
      - .offset:         8
        .size:           4
        .value_kind:     by_value
      - .actual_access:  read_only
        .address_space:  global
        .offset:         16
        .size:           8
        .value_kind:     global_buffer
      - .actual_access:  read_only
        .address_space:  global
        .offset:         24
        .size:           8
        .value_kind:     global_buffer
      - .address_space:  global
        .offset:         32
        .size:           8
        .value_kind:     global_buffer
      - .actual_access:  read_only
        .address_space:  global
        .offset:         40
        .size:           8
        .value_kind:     global_buffer
      - .address_space:  global
        .offset:         48
        .size:           8
        .value_kind:     global_buffer
      - .actual_access:  read_only
        .address_space:  global
        .offset:         56
        .size:           8
        .value_kind:     global_buffer
      - .address_space:  global
        .offset:         64
        .size:           8
        .value_kind:     global_buffer
      - .offset:         72
        .size:           4
        .value_kind:     by_value
    .group_segment_fixed_size: 1344
    .kernarg_segment_align: 8
    .kernarg_segment_size: 76
    .language:       OpenCL C
    .language_version:
      - 2
      - 0
    .max_flat_workgroup_size: 25
    .name:           _ZN9rocsparseL26bsric0_2_8_unrolled_kernelILi25ELi32ELi5E21rocsparse_complex_numIfEEEv20rocsparse_direction_iiPKiS5_PT2_S5_PiS5_S8_21rocsparse_index_base_
    .private_segment_fixed_size: 0
    .sgpr_count:     44
    .sgpr_spill_count: 0
    .symbol:         _ZN9rocsparseL26bsric0_2_8_unrolled_kernelILi25ELi32ELi5E21rocsparse_complex_numIfEEEv20rocsparse_direction_iiPKiS5_PT2_S5_PiS5_S8_21rocsparse_index_base_.kd
    .uniform_work_group_size: 1
    .uses_dynamic_stack: false
    .vgpr_count:     49
    .vgpr_spill_count: 0
    .wavefront_size: 64
  - .args:
      - .offset:         0
        .size:           4
        .value_kind:     by_value
      - .offset:         4
        .size:           4
        .value_kind:     by_value
      - .offset:         8
        .size:           4
        .value_kind:     by_value
      - .actual_access:  read_only
        .address_space:  global
        .offset:         16
        .size:           8
        .value_kind:     global_buffer
      - .actual_access:  read_only
        .address_space:  global
        .offset:         24
        .size:           8
        .value_kind:     global_buffer
      - .address_space:  global
        .offset:         32
        .size:           8
        .value_kind:     global_buffer
      - .actual_access:  read_only
        .address_space:  global
        .offset:         40
        .size:           8
        .value_kind:     global_buffer
      - .address_space:  global
        .offset:         48
        .size:           8
        .value_kind:     global_buffer
      - .actual_access:  read_only
        .address_space:  global
        .offset:         56
        .size:           8
        .value_kind:     global_buffer
      - .address_space:  global
        .offset:         64
        .size:           8
        .value_kind:     global_buffer
      - .offset:         72
        .size:           4
        .value_kind:     by_value
    .group_segment_fixed_size: 1728
    .kernarg_segment_align: 8
    .kernarg_segment_size: 76
    .language:       OpenCL C
    .language_version:
      - 2
      - 0
    .max_flat_workgroup_size: 36
    .name:           _ZN9rocsparseL26bsric0_2_8_unrolled_kernelILi36ELi32ELi6E21rocsparse_complex_numIfEEEv20rocsparse_direction_iiPKiS5_PT2_S5_PiS5_S8_21rocsparse_index_base_
    .private_segment_fixed_size: 0
    .sgpr_count:     44
    .sgpr_spill_count: 0
    .symbol:         _ZN9rocsparseL26bsric0_2_8_unrolled_kernelILi36ELi32ELi6E21rocsparse_complex_numIfEEEv20rocsparse_direction_iiPKiS5_PT2_S5_PiS5_S8_21rocsparse_index_base_.kd
    .uniform_work_group_size: 1
    .uses_dynamic_stack: false
    .vgpr_count:     51
    .vgpr_spill_count: 0
    .wavefront_size: 64
  - .args:
      - .offset:         0
        .size:           4
        .value_kind:     by_value
      - .offset:         4
        .size:           4
        .value_kind:     by_value
      - .offset:         8
        .size:           4
        .value_kind:     by_value
      - .actual_access:  read_only
        .address_space:  global
        .offset:         16
        .size:           8
        .value_kind:     global_buffer
      - .actual_access:  read_only
        .address_space:  global
        .offset:         24
        .size:           8
        .value_kind:     global_buffer
      - .address_space:  global
        .offset:         32
        .size:           8
        .value_kind:     global_buffer
      - .actual_access:  read_only
        .address_space:  global
        .offset:         40
        .size:           8
        .value_kind:     global_buffer
      - .address_space:  global
        .offset:         48
        .size:           8
        .value_kind:     global_buffer
      - .actual_access:  read_only
        .address_space:  global
        .offset:         56
        .size:           8
        .value_kind:     global_buffer
      - .address_space:  global
        .offset:         64
        .size:           8
        .value_kind:     global_buffer
      - .offset:         72
        .size:           4
        .value_kind:     by_value
    .group_segment_fixed_size: 2176
    .kernarg_segment_align: 8
    .kernarg_segment_size: 76
    .language:       OpenCL C
    .language_version:
      - 2
      - 0
    .max_flat_workgroup_size: 49
    .name:           _ZN9rocsparseL26bsric0_2_8_unrolled_kernelILi49ELi32ELi7E21rocsparse_complex_numIfEEEv20rocsparse_direction_iiPKiS5_PT2_S5_PiS5_S8_21rocsparse_index_base_
    .private_segment_fixed_size: 0
    .sgpr_count:     44
    .sgpr_spill_count: 0
    .symbol:         _ZN9rocsparseL26bsric0_2_8_unrolled_kernelILi49ELi32ELi7E21rocsparse_complex_numIfEEEv20rocsparse_direction_iiPKiS5_PT2_S5_PiS5_S8_21rocsparse_index_base_.kd
    .uniform_work_group_size: 1
    .uses_dynamic_stack: false
    .vgpr_count:     57
    .vgpr_spill_count: 0
    .wavefront_size: 64
  - .args:
      - .offset:         0
        .size:           4
        .value_kind:     by_value
      - .offset:         4
        .size:           4
        .value_kind:     by_value
      - .offset:         8
        .size:           4
        .value_kind:     by_value
      - .actual_access:  read_only
        .address_space:  global
        .offset:         16
        .size:           8
        .value_kind:     global_buffer
      - .actual_access:  read_only
        .address_space:  global
        .offset:         24
        .size:           8
        .value_kind:     global_buffer
      - .address_space:  global
        .offset:         32
        .size:           8
        .value_kind:     global_buffer
      - .actual_access:  read_only
        .address_space:  global
        .offset:         40
        .size:           8
        .value_kind:     global_buffer
      - .address_space:  global
        .offset:         48
        .size:           8
        .value_kind:     global_buffer
      - .actual_access:  read_only
        .address_space:  global
        .offset:         56
        .size:           8
        .value_kind:     global_buffer
      - .address_space:  global
        .offset:         64
        .size:           8
        .value_kind:     global_buffer
      - .offset:         72
        .size:           4
        .value_kind:     by_value
    .group_segment_fixed_size: 2688
    .kernarg_segment_align: 8
    .kernarg_segment_size: 76
    .language:       OpenCL C
    .language_version:
      - 2
      - 0
    .max_flat_workgroup_size: 64
    .name:           _ZN9rocsparseL26bsric0_2_8_unrolled_kernelILi64ELi32ELi8E21rocsparse_complex_numIfEEEv20rocsparse_direction_iiPKiS5_PT2_S5_PiS5_S8_21rocsparse_index_base_
    .private_segment_fixed_size: 0
    .sgpr_count:     44
    .sgpr_spill_count: 0
    .symbol:         _ZN9rocsparseL26bsric0_2_8_unrolled_kernelILi64ELi32ELi8E21rocsparse_complex_numIfEEEv20rocsparse_direction_iiPKiS5_PT2_S5_PiS5_S8_21rocsparse_index_base_.kd
    .uniform_work_group_size: 1
    .uses_dynamic_stack: false
    .vgpr_count:     60
    .vgpr_spill_count: 0
    .wavefront_size: 64
  - .args:
      - .offset:         0
        .size:           4
        .value_kind:     by_value
      - .offset:         4
        .size:           4
        .value_kind:     by_value
      - .offset:         8
        .size:           4
        .value_kind:     by_value
      - .actual_access:  read_only
        .address_space:  global
        .offset:         16
        .size:           8
        .value_kind:     global_buffer
      - .actual_access:  read_only
        .address_space:  global
        .offset:         24
        .size:           8
        .value_kind:     global_buffer
      - .address_space:  global
        .offset:         32
        .size:           8
        .value_kind:     global_buffer
      - .actual_access:  read_only
        .address_space:  global
        .offset:         40
        .size:           8
        .value_kind:     global_buffer
      - .address_space:  global
        .offset:         48
        .size:           8
        .value_kind:     global_buffer
      - .actual_access:  read_only
        .address_space:  global
        .offset:         56
        .size:           8
        .value_kind:     global_buffer
      - .address_space:  global
        .offset:         64
        .size:           8
        .value_kind:     global_buffer
      - .offset:         72
        .size:           4
        .value_kind:     by_value
    .group_segment_fixed_size: 9088
    .kernarg_segment_align: 8
    .kernarg_segment_size: 76
    .language:       OpenCL C
    .language_version:
      - 2
      - 0
    .max_flat_workgroup_size: 64
    .name:           _ZN9rocsparseL18bsric0_9_16_kernelILi64ELi32ELi16E21rocsparse_complex_numIfEEEv20rocsparse_direction_iiPKiS5_PT2_S5_PiS5_S8_21rocsparse_index_base_
    .private_segment_fixed_size: 0
    .sgpr_count:     58
    .sgpr_spill_count: 0
    .symbol:         _ZN9rocsparseL18bsric0_9_16_kernelILi64ELi32ELi16E21rocsparse_complex_numIfEEEv20rocsparse_direction_iiPKiS5_PT2_S5_PiS5_S8_21rocsparse_index_base_.kd
    .uniform_work_group_size: 1
    .uses_dynamic_stack: false
    .vgpr_count:     29
    .vgpr_spill_count: 0
    .wavefront_size: 64
  - .args:
      - .offset:         0
        .size:           4
        .value_kind:     by_value
      - .offset:         4
        .size:           4
        .value_kind:     by_value
      - .offset:         8
        .size:           4
        .value_kind:     by_value
      - .actual_access:  read_only
        .address_space:  global
        .offset:         16
        .size:           8
        .value_kind:     global_buffer
      - .actual_access:  read_only
        .address_space:  global
        .offset:         24
        .size:           8
        .value_kind:     global_buffer
      - .address_space:  global
        .offset:         32
        .size:           8
        .value_kind:     global_buffer
      - .actual_access:  read_only
        .address_space:  global
        .offset:         40
        .size:           8
        .value_kind:     global_buffer
      - .address_space:  global
        .offset:         48
        .size:           8
        .value_kind:     global_buffer
      - .actual_access:  read_only
        .address_space:  global
        .offset:         56
        .size:           8
        .value_kind:     global_buffer
      - .address_space:  global
        .offset:         64
        .size:           8
        .value_kind:     global_buffer
      - .offset:         72
        .size:           4
        .value_kind:     by_value
    .group_segment_fixed_size: 25728
    .kernarg_segment_align: 8
    .kernarg_segment_size: 76
    .language:       OpenCL C
    .language_version:
      - 2
      - 0
    .max_flat_workgroup_size: 64
    .name:           _ZN9rocsparseL19bsric0_17_32_kernelILi64ELi32ELi32E21rocsparse_complex_numIfEEEv20rocsparse_direction_iiPKiS5_PT2_S5_PiS5_S8_21rocsparse_index_base_
    .private_segment_fixed_size: 0
    .sgpr_count:     60
    .sgpr_spill_count: 0
    .symbol:         _ZN9rocsparseL19bsric0_17_32_kernelILi64ELi32ELi32E21rocsparse_complex_numIfEEEv20rocsparse_direction_iiPKiS5_PT2_S5_PiS5_S8_21rocsparse_index_base_.kd
    .uniform_work_group_size: 1
    .uses_dynamic_stack: false
    .vgpr_count:     28
    .vgpr_spill_count: 0
    .wavefront_size: 64
  - .args:
      - .offset:         0
        .size:           4
        .value_kind:     by_value
      - .offset:         4
        .size:           4
        .value_kind:     by_value
      - .offset:         8
        .size:           4
        .value_kind:     by_value
      - .actual_access:  read_only
        .address_space:  global
        .offset:         16
        .size:           8
        .value_kind:     global_buffer
      - .actual_access:  read_only
        .address_space:  global
        .offset:         24
        .size:           8
        .value_kind:     global_buffer
      - .address_space:  global
        .offset:         32
        .size:           8
        .value_kind:     global_buffer
      - .actual_access:  read_only
        .address_space:  global
        .offset:         40
        .size:           8
        .value_kind:     global_buffer
      - .address_space:  global
        .offset:         48
        .size:           8
        .value_kind:     global_buffer
      - .actual_access:  read_only
        .address_space:  global
        .offset:         56
        .size:           8
        .value_kind:     global_buffer
      - .address_space:  global
        .offset:         64
        .size:           8
        .value_kind:     global_buffer
      - .offset:         72
        .size:           4
        .value_kind:     by_value
    .group_segment_fixed_size: 0
    .kernarg_segment_align: 8
    .kernarg_segment_size: 76
    .language:       OpenCL C
    .language_version:
      - 2
      - 0
    .max_flat_workgroup_size: 64
    .name:           _ZN9rocsparseL23bsric0_binsearch_kernelILj64ELj64ELb0E21rocsparse_complex_numIfEEEv20rocsparse_direction_iiPKiS5_PT2_S5_PiS5_S8_21rocsparse_index_base_
    .private_segment_fixed_size: 0
    .sgpr_count:     60
    .sgpr_spill_count: 0
    .symbol:         _ZN9rocsparseL23bsric0_binsearch_kernelILj64ELj64ELb0E21rocsparse_complex_numIfEEEv20rocsparse_direction_iiPKiS5_PT2_S5_PiS5_S8_21rocsparse_index_base_.kd
    .uniform_work_group_size: 1
    .uses_dynamic_stack: false
    .vgpr_count:     50
    .vgpr_spill_count: 0
    .wavefront_size: 64
  - .args:
      - .offset:         0
        .size:           4
        .value_kind:     by_value
      - .offset:         4
        .size:           4
        .value_kind:     by_value
      - .offset:         8
        .size:           4
        .value_kind:     by_value
      - .actual_access:  read_only
        .address_space:  global
        .offset:         16
        .size:           8
        .value_kind:     global_buffer
      - .actual_access:  read_only
        .address_space:  global
        .offset:         24
        .size:           8
        .value_kind:     global_buffer
      - .address_space:  global
        .offset:         32
        .size:           8
        .value_kind:     global_buffer
      - .actual_access:  read_only
        .address_space:  global
        .offset:         40
        .size:           8
        .value_kind:     global_buffer
      - .address_space:  global
        .offset:         48
        .size:           8
        .value_kind:     global_buffer
      - .actual_access:  read_only
        .address_space:  global
        .offset:         56
        .size:           8
        .value_kind:     global_buffer
      - .address_space:  global
        .offset:         64
        .size:           8
        .value_kind:     global_buffer
      - .offset:         72
        .size:           4
        .value_kind:     by_value
    .group_segment_fixed_size: 3072
    .kernarg_segment_align: 8
    .kernarg_segment_size: 76
    .language:       OpenCL C
    .language_version:
      - 2
      - 0
    .max_flat_workgroup_size: 64
    .name:           _ZN9rocsparseL17bsric0_2_8_kernelILi64ELi64ELi8E21rocsparse_complex_numIfEEEv20rocsparse_direction_iiPKiS5_PT2_S5_PiS5_S8_21rocsparse_index_base_
    .private_segment_fixed_size: 0
    .sgpr_count:     54
    .sgpr_spill_count: 0
    .symbol:         _ZN9rocsparseL17bsric0_2_8_kernelILi64ELi64ELi8E21rocsparse_complex_numIfEEEv20rocsparse_direction_iiPKiS5_PT2_S5_PiS5_S8_21rocsparse_index_base_.kd
    .uniform_work_group_size: 1
    .uses_dynamic_stack: false
    .vgpr_count:     31
    .vgpr_spill_count: 0
    .wavefront_size: 64
  - .args:
      - .offset:         0
        .size:           4
        .value_kind:     by_value
      - .offset:         4
        .size:           4
        .value_kind:     by_value
      - .offset:         8
        .size:           4
        .value_kind:     by_value
      - .actual_access:  read_only
        .address_space:  global
        .offset:         16
        .size:           8
        .value_kind:     global_buffer
      - .actual_access:  read_only
        .address_space:  global
        .offset:         24
        .size:           8
        .value_kind:     global_buffer
      - .address_space:  global
        .offset:         32
        .size:           8
        .value_kind:     global_buffer
      - .actual_access:  read_only
        .address_space:  global
        .offset:         40
        .size:           8
        .value_kind:     global_buffer
      - .address_space:  global
        .offset:         48
        .size:           8
        .value_kind:     global_buffer
      - .actual_access:  read_only
        .address_space:  global
        .offset:         56
        .size:           8
        .value_kind:     global_buffer
      - .address_space:  global
        .offset:         64
        .size:           8
        .value_kind:     global_buffer
      - .offset:         72
        .size:           4
        .value_kind:     by_value
    .group_segment_fixed_size: 9472
    .kernarg_segment_align: 8
    .kernarg_segment_size: 76
    .language:       OpenCL C
    .language_version:
      - 2
      - 0
    .max_flat_workgroup_size: 64
    .name:           _ZN9rocsparseL18bsric0_9_16_kernelILi64ELi64ELi16E21rocsparse_complex_numIfEEEv20rocsparse_direction_iiPKiS5_PT2_S5_PiS5_S8_21rocsparse_index_base_
    .private_segment_fixed_size: 0
    .sgpr_count:     58
    .sgpr_spill_count: 0
    .symbol:         _ZN9rocsparseL18bsric0_9_16_kernelILi64ELi64ELi16E21rocsparse_complex_numIfEEEv20rocsparse_direction_iiPKiS5_PT2_S5_PiS5_S8_21rocsparse_index_base_.kd
    .uniform_work_group_size: 1
    .uses_dynamic_stack: false
    .vgpr_count:     29
    .vgpr_spill_count: 0
    .wavefront_size: 64
  - .args:
      - .offset:         0
        .size:           4
        .value_kind:     by_value
      - .offset:         4
        .size:           4
        .value_kind:     by_value
      - .offset:         8
        .size:           4
        .value_kind:     by_value
      - .actual_access:  read_only
        .address_space:  global
        .offset:         16
        .size:           8
        .value_kind:     global_buffer
      - .actual_access:  read_only
        .address_space:  global
        .offset:         24
        .size:           8
        .value_kind:     global_buffer
      - .address_space:  global
        .offset:         32
        .size:           8
        .value_kind:     global_buffer
      - .actual_access:  read_only
        .address_space:  global
        .offset:         40
        .size:           8
        .value_kind:     global_buffer
      - .address_space:  global
        .offset:         48
        .size:           8
        .value_kind:     global_buffer
      - .actual_access:  read_only
        .address_space:  global
        .offset:         56
        .size:           8
        .value_kind:     global_buffer
      - .address_space:  global
        .offset:         64
        .size:           8
        .value_kind:     global_buffer
      - .offset:         72
        .size:           4
        .value_kind:     by_value
    .group_segment_fixed_size: 26112
    .kernarg_segment_align: 8
    .kernarg_segment_size: 76
    .language:       OpenCL C
    .language_version:
      - 2
      - 0
    .max_flat_workgroup_size: 64
    .name:           _ZN9rocsparseL19bsric0_17_32_kernelILi64ELi64ELi32E21rocsparse_complex_numIfEEEv20rocsparse_direction_iiPKiS5_PT2_S5_PiS5_S8_21rocsparse_index_base_
    .private_segment_fixed_size: 0
    .sgpr_count:     60
    .sgpr_spill_count: 0
    .symbol:         _ZN9rocsparseL19bsric0_17_32_kernelILi64ELi64ELi32E21rocsparse_complex_numIfEEEv20rocsparse_direction_iiPKiS5_PT2_S5_PiS5_S8_21rocsparse_index_base_.kd
    .uniform_work_group_size: 1
    .uses_dynamic_stack: false
    .vgpr_count:     29
    .vgpr_spill_count: 0
    .wavefront_size: 64
  - .args:
      - .offset:         0
        .size:           4
        .value_kind:     by_value
      - .offset:         4
        .size:           4
        .value_kind:     by_value
      - .offset:         8
        .size:           4
        .value_kind:     by_value
      - .actual_access:  read_only
        .address_space:  global
        .offset:         16
        .size:           8
        .value_kind:     global_buffer
      - .actual_access:  read_only
        .address_space:  global
        .offset:         24
        .size:           8
        .value_kind:     global_buffer
      - .address_space:  global
        .offset:         32
        .size:           8
        .value_kind:     global_buffer
      - .actual_access:  read_only
        .address_space:  global
        .offset:         40
        .size:           8
        .value_kind:     global_buffer
      - .address_space:  global
        .offset:         48
        .size:           8
        .value_kind:     global_buffer
      - .actual_access:  read_only
        .address_space:  global
        .offset:         56
        .size:           8
        .value_kind:     global_buffer
      - .address_space:  global
        .offset:         64
        .size:           8
        .value_kind:     global_buffer
      - .offset:         72
        .size:           4
        .value_kind:     by_value
    .group_segment_fixed_size: 3840
    .kernarg_segment_align: 8
    .kernarg_segment_size: 76
    .language:       OpenCL C
    .language_version:
      - 2
      - 0
    .max_flat_workgroup_size: 64
    .name:           _ZN9rocsparseL17bsric0_2_8_kernelILi64ELi128ELi8E21rocsparse_complex_numIfEEEv20rocsparse_direction_iiPKiS5_PT2_S5_PiS5_S8_21rocsparse_index_base_
    .private_segment_fixed_size: 0
    .sgpr_count:     54
    .sgpr_spill_count: 0
    .symbol:         _ZN9rocsparseL17bsric0_2_8_kernelILi64ELi128ELi8E21rocsparse_complex_numIfEEEv20rocsparse_direction_iiPKiS5_PT2_S5_PiS5_S8_21rocsparse_index_base_.kd
    .uniform_work_group_size: 1
    .uses_dynamic_stack: false
    .vgpr_count:     31
    .vgpr_spill_count: 0
    .wavefront_size: 64
  - .args:
      - .offset:         0
        .size:           4
        .value_kind:     by_value
      - .offset:         4
        .size:           4
        .value_kind:     by_value
      - .offset:         8
        .size:           4
        .value_kind:     by_value
      - .actual_access:  read_only
        .address_space:  global
        .offset:         16
        .size:           8
        .value_kind:     global_buffer
      - .actual_access:  read_only
        .address_space:  global
        .offset:         24
        .size:           8
        .value_kind:     global_buffer
      - .address_space:  global
        .offset:         32
        .size:           8
        .value_kind:     global_buffer
      - .actual_access:  read_only
        .address_space:  global
        .offset:         40
        .size:           8
        .value_kind:     global_buffer
      - .address_space:  global
        .offset:         48
        .size:           8
        .value_kind:     global_buffer
      - .actual_access:  read_only
        .address_space:  global
        .offset:         56
        .size:           8
        .value_kind:     global_buffer
      - .address_space:  global
        .offset:         64
        .size:           8
        .value_kind:     global_buffer
      - .offset:         72
        .size:           4
        .value_kind:     by_value
    .group_segment_fixed_size: 10240
    .kernarg_segment_align: 8
    .kernarg_segment_size: 76
    .language:       OpenCL C
    .language_version:
      - 2
      - 0
    .max_flat_workgroup_size: 64
    .name:           _ZN9rocsparseL18bsric0_9_16_kernelILi64ELi128ELi16E21rocsparse_complex_numIfEEEv20rocsparse_direction_iiPKiS5_PT2_S5_PiS5_S8_21rocsparse_index_base_
    .private_segment_fixed_size: 0
    .sgpr_count:     58
    .sgpr_spill_count: 0
    .symbol:         _ZN9rocsparseL18bsric0_9_16_kernelILi64ELi128ELi16E21rocsparse_complex_numIfEEEv20rocsparse_direction_iiPKiS5_PT2_S5_PiS5_S8_21rocsparse_index_base_.kd
    .uniform_work_group_size: 1
    .uses_dynamic_stack: false
    .vgpr_count:     29
    .vgpr_spill_count: 0
    .wavefront_size: 64
  - .args:
      - .offset:         0
        .size:           4
        .value_kind:     by_value
      - .offset:         4
        .size:           4
        .value_kind:     by_value
      - .offset:         8
        .size:           4
        .value_kind:     by_value
      - .actual_access:  read_only
        .address_space:  global
        .offset:         16
        .size:           8
        .value_kind:     global_buffer
      - .actual_access:  read_only
        .address_space:  global
        .offset:         24
        .size:           8
        .value_kind:     global_buffer
      - .address_space:  global
        .offset:         32
        .size:           8
        .value_kind:     global_buffer
      - .actual_access:  read_only
        .address_space:  global
        .offset:         40
        .size:           8
        .value_kind:     global_buffer
      - .address_space:  global
        .offset:         48
        .size:           8
        .value_kind:     global_buffer
      - .actual_access:  read_only
        .address_space:  global
        .offset:         56
        .size:           8
        .value_kind:     global_buffer
      - .address_space:  global
        .offset:         64
        .size:           8
        .value_kind:     global_buffer
      - .offset:         72
        .size:           4
        .value_kind:     by_value
    .group_segment_fixed_size: 26880
    .kernarg_segment_align: 8
    .kernarg_segment_size: 76
    .language:       OpenCL C
    .language_version:
      - 2
      - 0
    .max_flat_workgroup_size: 64
    .name:           _ZN9rocsparseL19bsric0_17_32_kernelILi64ELi128ELi32E21rocsparse_complex_numIfEEEv20rocsparse_direction_iiPKiS5_PT2_S5_PiS5_S8_21rocsparse_index_base_
    .private_segment_fixed_size: 0
    .sgpr_count:     60
    .sgpr_spill_count: 0
    .symbol:         _ZN9rocsparseL19bsric0_17_32_kernelILi64ELi128ELi32E21rocsparse_complex_numIfEEEv20rocsparse_direction_iiPKiS5_PT2_S5_PiS5_S8_21rocsparse_index_base_.kd
    .uniform_work_group_size: 1
    .uses_dynamic_stack: false
    .vgpr_count:     29
    .vgpr_spill_count: 0
    .wavefront_size: 64
  - .args:
      - .offset:         0
        .size:           4
        .value_kind:     by_value
      - .offset:         4
        .size:           4
        .value_kind:     by_value
      - .offset:         8
        .size:           4
        .value_kind:     by_value
      - .actual_access:  read_only
        .address_space:  global
        .offset:         16
        .size:           8
        .value_kind:     global_buffer
      - .actual_access:  read_only
        .address_space:  global
        .offset:         24
        .size:           8
        .value_kind:     global_buffer
      - .address_space:  global
        .offset:         32
        .size:           8
        .value_kind:     global_buffer
      - .actual_access:  read_only
        .address_space:  global
        .offset:         40
        .size:           8
        .value_kind:     global_buffer
      - .address_space:  global
        .offset:         48
        .size:           8
        .value_kind:     global_buffer
      - .actual_access:  read_only
        .address_space:  global
        .offset:         56
        .size:           8
        .value_kind:     global_buffer
      - .address_space:  global
        .offset:         64
        .size:           8
        .value_kind:     global_buffer
      - .offset:         72
        .size:           4
        .value_kind:     by_value
    .group_segment_fixed_size: 0
    .kernarg_segment_align: 8
    .kernarg_segment_size: 76
    .language:       OpenCL C
    .language_version:
      - 2
      - 0
    .max_flat_workgroup_size: 32
    .name:           _ZN9rocsparseL23bsric0_binsearch_kernelILj32ELj32ELb0E21rocsparse_complex_numIdEEEv20rocsparse_direction_iiPKiS5_PT2_S5_PiS5_S8_21rocsparse_index_base_
    .private_segment_fixed_size: 0
    .sgpr_count:     61
    .sgpr_spill_count: 0
    .symbol:         _ZN9rocsparseL23bsric0_binsearch_kernelILj32ELj32ELb0E21rocsparse_complex_numIdEEEv20rocsparse_direction_iiPKiS5_PT2_S5_PiS5_S8_21rocsparse_index_base_.kd
    .uniform_work_group_size: 1
    .uses_dynamic_stack: false
    .vgpr_count:     65
    .vgpr_spill_count: 0
    .wavefront_size: 64
  - .args:
      - .offset:         0
        .size:           4
        .value_kind:     by_value
      - .offset:         4
        .size:           4
        .value_kind:     by_value
      - .offset:         8
        .size:           4
        .value_kind:     by_value
      - .actual_access:  read_only
        .address_space:  global
        .offset:         16
        .size:           8
        .value_kind:     global_buffer
      - .actual_access:  read_only
        .address_space:  global
        .offset:         24
        .size:           8
        .value_kind:     global_buffer
      - .address_space:  global
        .offset:         32
        .size:           8
        .value_kind:     global_buffer
      - .actual_access:  read_only
        .address_space:  global
        .offset:         40
        .size:           8
        .value_kind:     global_buffer
      - .address_space:  global
        .offset:         48
        .size:           8
        .value_kind:     global_buffer
      - .actual_access:  read_only
        .address_space:  global
        .offset:         56
        .size:           8
        .value_kind:     global_buffer
      - .address_space:  global
        .offset:         64
        .size:           8
        .value_kind:     global_buffer
      - .offset:         72
        .size:           4
        .value_kind:     by_value
    .group_segment_fixed_size: 0
    .kernarg_segment_align: 8
    .kernarg_segment_size: 76
    .language:       OpenCL C
    .language_version:
      - 2
      - 0
    .max_flat_workgroup_size: 64
    .name:           _ZN9rocsparseL23bsric0_binsearch_kernelILj64ELj64ELb1E21rocsparse_complex_numIdEEEv20rocsparse_direction_iiPKiS5_PT2_S5_PiS5_S8_21rocsparse_index_base_
    .private_segment_fixed_size: 0
    .sgpr_count:     61
    .sgpr_spill_count: 0
    .symbol:         _ZN9rocsparseL23bsric0_binsearch_kernelILj64ELj64ELb1E21rocsparse_complex_numIdEEEv20rocsparse_direction_iiPKiS5_PT2_S5_PiS5_S8_21rocsparse_index_base_.kd
    .uniform_work_group_size: 1
    .uses_dynamic_stack: false
    .vgpr_count:     65
    .vgpr_spill_count: 0
    .wavefront_size: 64
  - .args:
      - .offset:         0
        .size:           4
        .value_kind:     by_value
      - .offset:         4
        .size:           4
        .value_kind:     by_value
      - .offset:         8
        .size:           4
        .value_kind:     by_value
      - .actual_access:  read_only
        .address_space:  global
        .offset:         16
        .size:           8
        .value_kind:     global_buffer
      - .actual_access:  read_only
        .address_space:  global
        .offset:         24
        .size:           8
        .value_kind:     global_buffer
      - .address_space:  global
        .offset:         32
        .size:           8
        .value_kind:     global_buffer
      - .actual_access:  read_only
        .address_space:  global
        .offset:         40
        .size:           8
        .value_kind:     global_buffer
      - .address_space:  global
        .offset:         48
        .size:           8
        .value_kind:     global_buffer
      - .actual_access:  read_only
        .address_space:  global
        .offset:         56
        .size:           8
        .value_kind:     global_buffer
      - .address_space:  global
        .offset:         64
        .size:           8
        .value_kind:     global_buffer
      - .offset:         72
        .size:           4
        .value_kind:     by_value
    .group_segment_fixed_size: 512
    .kernarg_segment_align: 8
    .kernarg_segment_size: 76
    .language:       OpenCL C
    .language_version:
      - 2
      - 0
    .max_flat_workgroup_size: 1
    .name:           _ZN9rocsparseL26bsric0_2_8_unrolled_kernelILi1ELi32ELi1E21rocsparse_complex_numIdEEEv20rocsparse_direction_iiPKiS5_PT2_S5_PiS5_S8_21rocsparse_index_base_
    .private_segment_fixed_size: 0
    .sgpr_count:     42
    .sgpr_spill_count: 0
    .symbol:         _ZN9rocsparseL26bsric0_2_8_unrolled_kernelILi1ELi32ELi1E21rocsparse_complex_numIdEEEv20rocsparse_direction_iiPKiS5_PT2_S5_PiS5_S8_21rocsparse_index_base_.kd
    .uniform_work_group_size: 1
    .uses_dynamic_stack: false
    .vgpr_count:     39
    .vgpr_spill_count: 0
    .wavefront_size: 64
  - .args:
      - .offset:         0
        .size:           4
        .value_kind:     by_value
      - .offset:         4
        .size:           4
        .value_kind:     by_value
      - .offset:         8
        .size:           4
        .value_kind:     by_value
      - .actual_access:  read_only
        .address_space:  global
        .offset:         16
        .size:           8
        .value_kind:     global_buffer
      - .actual_access:  read_only
        .address_space:  global
        .offset:         24
        .size:           8
        .value_kind:     global_buffer
      - .address_space:  global
        .offset:         32
        .size:           8
        .value_kind:     global_buffer
      - .actual_access:  read_only
        .address_space:  global
        .offset:         40
        .size:           8
        .value_kind:     global_buffer
      - .address_space:  global
        .offset:         48
        .size:           8
        .value_kind:     global_buffer
      - .actual_access:  read_only
        .address_space:  global
        .offset:         56
        .size:           8
        .value_kind:     global_buffer
      - .address_space:  global
        .offset:         64
        .size:           8
        .value_kind:     global_buffer
      - .offset:         72
        .size:           4
        .value_kind:     by_value
    .group_segment_fixed_size: 768
    .kernarg_segment_align: 8
    .kernarg_segment_size: 76
    .language:       OpenCL C
    .language_version:
      - 2
      - 0
    .max_flat_workgroup_size: 4
    .name:           _ZN9rocsparseL26bsric0_2_8_unrolled_kernelILi4ELi32ELi2E21rocsparse_complex_numIdEEEv20rocsparse_direction_iiPKiS5_PT2_S5_PiS5_S8_21rocsparse_index_base_
    .private_segment_fixed_size: 0
    .sgpr_count:     44
    .sgpr_spill_count: 0
    .symbol:         _ZN9rocsparseL26bsric0_2_8_unrolled_kernelILi4ELi32ELi2E21rocsparse_complex_numIdEEEv20rocsparse_direction_iiPKiS5_PT2_S5_PiS5_S8_21rocsparse_index_base_.kd
    .uniform_work_group_size: 1
    .uses_dynamic_stack: false
    .vgpr_count:     50
    .vgpr_spill_count: 0
    .wavefront_size: 64
  - .args:
      - .offset:         0
        .size:           4
        .value_kind:     by_value
      - .offset:         4
        .size:           4
        .value_kind:     by_value
      - .offset:         8
        .size:           4
        .value_kind:     by_value
      - .actual_access:  read_only
        .address_space:  global
        .offset:         16
        .size:           8
        .value_kind:     global_buffer
      - .actual_access:  read_only
        .address_space:  global
        .offset:         24
        .size:           8
        .value_kind:     global_buffer
      - .address_space:  global
        .offset:         32
        .size:           8
        .value_kind:     global_buffer
      - .actual_access:  read_only
        .address_space:  global
        .offset:         40
        .size:           8
        .value_kind:     global_buffer
      - .address_space:  global
        .offset:         48
        .size:           8
        .value_kind:     global_buffer
      - .actual_access:  read_only
        .address_space:  global
        .offset:         56
        .size:           8
        .value_kind:     global_buffer
      - .address_space:  global
        .offset:         64
        .size:           8
        .value_kind:     global_buffer
      - .offset:         72
        .size:           4
        .value_kind:     by_value
    .group_segment_fixed_size: 1152
    .kernarg_segment_align: 8
    .kernarg_segment_size: 76
    .language:       OpenCL C
    .language_version:
      - 2
      - 0
    .max_flat_workgroup_size: 9
    .name:           _ZN9rocsparseL26bsric0_2_8_unrolled_kernelILi9ELi32ELi3E21rocsparse_complex_numIdEEEv20rocsparse_direction_iiPKiS5_PT2_S5_PiS5_S8_21rocsparse_index_base_
    .private_segment_fixed_size: 0
    .sgpr_count:     44
    .sgpr_spill_count: 0
    .symbol:         _ZN9rocsparseL26bsric0_2_8_unrolled_kernelILi9ELi32ELi3E21rocsparse_complex_numIdEEEv20rocsparse_direction_iiPKiS5_PT2_S5_PiS5_S8_21rocsparse_index_base_.kd
    .uniform_work_group_size: 1
    .uses_dynamic_stack: false
    .vgpr_count:     53
    .vgpr_spill_count: 0
    .wavefront_size: 64
  - .args:
      - .offset:         0
        .size:           4
        .value_kind:     by_value
      - .offset:         4
        .size:           4
        .value_kind:     by_value
      - .offset:         8
        .size:           4
        .value_kind:     by_value
      - .actual_access:  read_only
        .address_space:  global
        .offset:         16
        .size:           8
        .value_kind:     global_buffer
      - .actual_access:  read_only
        .address_space:  global
        .offset:         24
        .size:           8
        .value_kind:     global_buffer
      - .address_space:  global
        .offset:         32
        .size:           8
        .value_kind:     global_buffer
      - .actual_access:  read_only
        .address_space:  global
        .offset:         40
        .size:           8
        .value_kind:     global_buffer
      - .address_space:  global
        .offset:         48
        .size:           8
        .value_kind:     global_buffer
      - .actual_access:  read_only
        .address_space:  global
        .offset:         56
        .size:           8
        .value_kind:     global_buffer
      - .address_space:  global
        .offset:         64
        .size:           8
        .value_kind:     global_buffer
      - .offset:         72
        .size:           4
        .value_kind:     by_value
    .group_segment_fixed_size: 1664
    .kernarg_segment_align: 8
    .kernarg_segment_size: 76
    .language:       OpenCL C
    .language_version:
      - 2
      - 0
    .max_flat_workgroup_size: 16
    .name:           _ZN9rocsparseL26bsric0_2_8_unrolled_kernelILi16ELi32ELi4E21rocsparse_complex_numIdEEEv20rocsparse_direction_iiPKiS5_PT2_S5_PiS5_S8_21rocsparse_index_base_
    .private_segment_fixed_size: 0
    .sgpr_count:     44
    .sgpr_spill_count: 0
    .symbol:         _ZN9rocsparseL26bsric0_2_8_unrolled_kernelILi16ELi32ELi4E21rocsparse_complex_numIdEEEv20rocsparse_direction_iiPKiS5_PT2_S5_PiS5_S8_21rocsparse_index_base_.kd
    .uniform_work_group_size: 1
    .uses_dynamic_stack: false
    .vgpr_count:     62
    .vgpr_spill_count: 0
    .wavefront_size: 64
  - .args:
      - .offset:         0
        .size:           4
        .value_kind:     by_value
      - .offset:         4
        .size:           4
        .value_kind:     by_value
      - .offset:         8
        .size:           4
        .value_kind:     by_value
      - .actual_access:  read_only
        .address_space:  global
        .offset:         16
        .size:           8
        .value_kind:     global_buffer
      - .actual_access:  read_only
        .address_space:  global
        .offset:         24
        .size:           8
        .value_kind:     global_buffer
      - .address_space:  global
        .offset:         32
        .size:           8
        .value_kind:     global_buffer
      - .actual_access:  read_only
        .address_space:  global
        .offset:         40
        .size:           8
        .value_kind:     global_buffer
      - .address_space:  global
        .offset:         48
        .size:           8
        .value_kind:     global_buffer
      - .actual_access:  read_only
        .address_space:  global
        .offset:         56
        .size:           8
        .value_kind:     global_buffer
      - .address_space:  global
        .offset:         64
        .size:           8
        .value_kind:     global_buffer
      - .offset:         72
        .size:           4
        .value_kind:     by_value
    .group_segment_fixed_size: 2304
    .kernarg_segment_align: 8
    .kernarg_segment_size: 76
    .language:       OpenCL C
    .language_version:
      - 2
      - 0
    .max_flat_workgroup_size: 25
    .name:           _ZN9rocsparseL26bsric0_2_8_unrolled_kernelILi25ELi32ELi5E21rocsparse_complex_numIdEEEv20rocsparse_direction_iiPKiS5_PT2_S5_PiS5_S8_21rocsparse_index_base_
    .private_segment_fixed_size: 0
    .sgpr_count:     44
    .sgpr_spill_count: 0
    .symbol:         _ZN9rocsparseL26bsric0_2_8_unrolled_kernelILi25ELi32ELi5E21rocsparse_complex_numIdEEEv20rocsparse_direction_iiPKiS5_PT2_S5_PiS5_S8_21rocsparse_index_base_.kd
    .uniform_work_group_size: 1
    .uses_dynamic_stack: false
    .vgpr_count:     55
    .vgpr_spill_count: 0
    .wavefront_size: 64
  - .args:
      - .offset:         0
        .size:           4
        .value_kind:     by_value
      - .offset:         4
        .size:           4
        .value_kind:     by_value
      - .offset:         8
        .size:           4
        .value_kind:     by_value
      - .actual_access:  read_only
        .address_space:  global
        .offset:         16
        .size:           8
        .value_kind:     global_buffer
      - .actual_access:  read_only
        .address_space:  global
        .offset:         24
        .size:           8
        .value_kind:     global_buffer
      - .address_space:  global
        .offset:         32
        .size:           8
        .value_kind:     global_buffer
      - .actual_access:  read_only
        .address_space:  global
        .offset:         40
        .size:           8
        .value_kind:     global_buffer
      - .address_space:  global
        .offset:         48
        .size:           8
        .value_kind:     global_buffer
      - .actual_access:  read_only
        .address_space:  global
        .offset:         56
        .size:           8
        .value_kind:     global_buffer
      - .address_space:  global
        .offset:         64
        .size:           8
        .value_kind:     global_buffer
      - .offset:         72
        .size:           4
        .value_kind:     by_value
    .group_segment_fixed_size: 3072
    .kernarg_segment_align: 8
    .kernarg_segment_size: 76
    .language:       OpenCL C
    .language_version:
      - 2
      - 0
    .max_flat_workgroup_size: 36
    .name:           _ZN9rocsparseL26bsric0_2_8_unrolled_kernelILi36ELi32ELi6E21rocsparse_complex_numIdEEEv20rocsparse_direction_iiPKiS5_PT2_S5_PiS5_S8_21rocsparse_index_base_
    .private_segment_fixed_size: 0
    .sgpr_count:     44
    .sgpr_spill_count: 0
    .symbol:         _ZN9rocsparseL26bsric0_2_8_unrolled_kernelILi36ELi32ELi6E21rocsparse_complex_numIdEEEv20rocsparse_direction_iiPKiS5_PT2_S5_PiS5_S8_21rocsparse_index_base_.kd
    .uniform_work_group_size: 1
    .uses_dynamic_stack: false
    .vgpr_count:     55
    .vgpr_spill_count: 0
    .wavefront_size: 64
  - .args:
      - .offset:         0
        .size:           4
        .value_kind:     by_value
      - .offset:         4
        .size:           4
        .value_kind:     by_value
      - .offset:         8
        .size:           4
        .value_kind:     by_value
      - .actual_access:  read_only
        .address_space:  global
        .offset:         16
        .size:           8
        .value_kind:     global_buffer
      - .actual_access:  read_only
        .address_space:  global
        .offset:         24
        .size:           8
        .value_kind:     global_buffer
      - .address_space:  global
        .offset:         32
        .size:           8
        .value_kind:     global_buffer
      - .actual_access:  read_only
        .address_space:  global
        .offset:         40
        .size:           8
        .value_kind:     global_buffer
      - .address_space:  global
        .offset:         48
        .size:           8
        .value_kind:     global_buffer
      - .actual_access:  read_only
        .address_space:  global
        .offset:         56
        .size:           8
        .value_kind:     global_buffer
      - .address_space:  global
        .offset:         64
        .size:           8
        .value_kind:     global_buffer
      - .offset:         72
        .size:           4
        .value_kind:     by_value
    .group_segment_fixed_size: 3968
    .kernarg_segment_align: 8
    .kernarg_segment_size: 76
    .language:       OpenCL C
    .language_version:
      - 2
      - 0
    .max_flat_workgroup_size: 49
    .name:           _ZN9rocsparseL26bsric0_2_8_unrolled_kernelILi49ELi32ELi7E21rocsparse_complex_numIdEEEv20rocsparse_direction_iiPKiS5_PT2_S5_PiS5_S8_21rocsparse_index_base_
    .private_segment_fixed_size: 0
    .sgpr_count:     44
    .sgpr_spill_count: 0
    .symbol:         _ZN9rocsparseL26bsric0_2_8_unrolled_kernelILi49ELi32ELi7E21rocsparse_complex_numIdEEEv20rocsparse_direction_iiPKiS5_PT2_S5_PiS5_S8_21rocsparse_index_base_.kd
    .uniform_work_group_size: 1
    .uses_dynamic_stack: false
    .vgpr_count:     59
    .vgpr_spill_count: 0
    .wavefront_size: 64
  - .args:
      - .offset:         0
        .size:           4
        .value_kind:     by_value
      - .offset:         4
        .size:           4
        .value_kind:     by_value
      - .offset:         8
        .size:           4
        .value_kind:     by_value
      - .actual_access:  read_only
        .address_space:  global
        .offset:         16
        .size:           8
        .value_kind:     global_buffer
      - .actual_access:  read_only
        .address_space:  global
        .offset:         24
        .size:           8
        .value_kind:     global_buffer
      - .address_space:  global
        .offset:         32
        .size:           8
        .value_kind:     global_buffer
      - .actual_access:  read_only
        .address_space:  global
        .offset:         40
        .size:           8
        .value_kind:     global_buffer
      - .address_space:  global
        .offset:         48
        .size:           8
        .value_kind:     global_buffer
      - .actual_access:  read_only
        .address_space:  global
        .offset:         56
        .size:           8
        .value_kind:     global_buffer
      - .address_space:  global
        .offset:         64
        .size:           8
        .value_kind:     global_buffer
      - .offset:         72
        .size:           4
        .value_kind:     by_value
    .group_segment_fixed_size: 4992
    .kernarg_segment_align: 8
    .kernarg_segment_size: 76
    .language:       OpenCL C
    .language_version:
      - 2
      - 0
    .max_flat_workgroup_size: 64
    .name:           _ZN9rocsparseL26bsric0_2_8_unrolled_kernelILi64ELi32ELi8E21rocsparse_complex_numIdEEEv20rocsparse_direction_iiPKiS5_PT2_S5_PiS5_S8_21rocsparse_index_base_
    .private_segment_fixed_size: 0
    .sgpr_count:     44
    .sgpr_spill_count: 0
    .symbol:         _ZN9rocsparseL26bsric0_2_8_unrolled_kernelILi64ELi32ELi8E21rocsparse_complex_numIdEEEv20rocsparse_direction_iiPKiS5_PT2_S5_PiS5_S8_21rocsparse_index_base_.kd
    .uniform_work_group_size: 1
    .uses_dynamic_stack: false
    .vgpr_count:     60
    .vgpr_spill_count: 0
    .wavefront_size: 64
  - .args:
      - .offset:         0
        .size:           4
        .value_kind:     by_value
      - .offset:         4
        .size:           4
        .value_kind:     by_value
      - .offset:         8
        .size:           4
        .value_kind:     by_value
      - .actual_access:  read_only
        .address_space:  global
        .offset:         16
        .size:           8
        .value_kind:     global_buffer
      - .actual_access:  read_only
        .address_space:  global
        .offset:         24
        .size:           8
        .value_kind:     global_buffer
      - .address_space:  global
        .offset:         32
        .size:           8
        .value_kind:     global_buffer
      - .actual_access:  read_only
        .address_space:  global
        .offset:         40
        .size:           8
        .value_kind:     global_buffer
      - .address_space:  global
        .offset:         48
        .size:           8
        .value_kind:     global_buffer
      - .actual_access:  read_only
        .address_space:  global
        .offset:         56
        .size:           8
        .value_kind:     global_buffer
      - .address_space:  global
        .offset:         64
        .size:           8
        .value_kind:     global_buffer
      - .offset:         72
        .size:           4
        .value_kind:     by_value
    .group_segment_fixed_size: 17792
    .kernarg_segment_align: 8
    .kernarg_segment_size: 76
    .language:       OpenCL C
    .language_version:
      - 2
      - 0
    .max_flat_workgroup_size: 64
    .name:           _ZN9rocsparseL18bsric0_9_16_kernelILi64ELi32ELi16E21rocsparse_complex_numIdEEEv20rocsparse_direction_iiPKiS5_PT2_S5_PiS5_S8_21rocsparse_index_base_
    .private_segment_fixed_size: 0
    .sgpr_count:     58
    .sgpr_spill_count: 0
    .symbol:         _ZN9rocsparseL18bsric0_9_16_kernelILi64ELi32ELi16E21rocsparse_complex_numIdEEEv20rocsparse_direction_iiPKiS5_PT2_S5_PiS5_S8_21rocsparse_index_base_.kd
    .uniform_work_group_size: 1
    .uses_dynamic_stack: false
    .vgpr_count:     40
    .vgpr_spill_count: 0
    .wavefront_size: 64
  - .args:
      - .offset:         0
        .size:           4
        .value_kind:     by_value
      - .offset:         4
        .size:           4
        .value_kind:     by_value
      - .offset:         8
        .size:           4
        .value_kind:     by_value
      - .actual_access:  read_only
        .address_space:  global
        .offset:         16
        .size:           8
        .value_kind:     global_buffer
      - .actual_access:  read_only
        .address_space:  global
        .offset:         24
        .size:           8
        .value_kind:     global_buffer
      - .address_space:  global
        .offset:         32
        .size:           8
        .value_kind:     global_buffer
      - .actual_access:  read_only
        .address_space:  global
        .offset:         40
        .size:           8
        .value_kind:     global_buffer
      - .address_space:  global
        .offset:         48
        .size:           8
        .value_kind:     global_buffer
      - .actual_access:  read_only
        .address_space:  global
        .offset:         56
        .size:           8
        .value_kind:     global_buffer
      - .address_space:  global
        .offset:         64
        .size:           8
        .value_kind:     global_buffer
      - .offset:         72
        .size:           4
        .value_kind:     by_value
    .group_segment_fixed_size: 51072
    .kernarg_segment_align: 8
    .kernarg_segment_size: 76
    .language:       OpenCL C
    .language_version:
      - 2
      - 0
    .max_flat_workgroup_size: 64
    .name:           _ZN9rocsparseL19bsric0_17_32_kernelILi64ELi32ELi32E21rocsparse_complex_numIdEEEv20rocsparse_direction_iiPKiS5_PT2_S5_PiS5_S8_21rocsparse_index_base_
    .private_segment_fixed_size: 0
    .sgpr_count:     60
    .sgpr_spill_count: 0
    .symbol:         _ZN9rocsparseL19bsric0_17_32_kernelILi64ELi32ELi32E21rocsparse_complex_numIdEEEv20rocsparse_direction_iiPKiS5_PT2_S5_PiS5_S8_21rocsparse_index_base_.kd
    .uniform_work_group_size: 1
    .uses_dynamic_stack: false
    .vgpr_count:     38
    .vgpr_spill_count: 0
    .wavefront_size: 64
  - .args:
      - .offset:         0
        .size:           4
        .value_kind:     by_value
      - .offset:         4
        .size:           4
        .value_kind:     by_value
      - .offset:         8
        .size:           4
        .value_kind:     by_value
      - .actual_access:  read_only
        .address_space:  global
        .offset:         16
        .size:           8
        .value_kind:     global_buffer
      - .actual_access:  read_only
        .address_space:  global
        .offset:         24
        .size:           8
        .value_kind:     global_buffer
      - .address_space:  global
        .offset:         32
        .size:           8
        .value_kind:     global_buffer
      - .actual_access:  read_only
        .address_space:  global
        .offset:         40
        .size:           8
        .value_kind:     global_buffer
      - .address_space:  global
        .offset:         48
        .size:           8
        .value_kind:     global_buffer
      - .actual_access:  read_only
        .address_space:  global
        .offset:         56
        .size:           8
        .value_kind:     global_buffer
      - .address_space:  global
        .offset:         64
        .size:           8
        .value_kind:     global_buffer
      - .offset:         72
        .size:           4
        .value_kind:     by_value
    .group_segment_fixed_size: 0
    .kernarg_segment_align: 8
    .kernarg_segment_size: 76
    .language:       OpenCL C
    .language_version:
      - 2
      - 0
    .max_flat_workgroup_size: 64
    .name:           _ZN9rocsparseL23bsric0_binsearch_kernelILj64ELj64ELb0E21rocsparse_complex_numIdEEEv20rocsparse_direction_iiPKiS5_PT2_S5_PiS5_S8_21rocsparse_index_base_
    .private_segment_fixed_size: 0
    .sgpr_count:     61
    .sgpr_spill_count: 0
    .symbol:         _ZN9rocsparseL23bsric0_binsearch_kernelILj64ELj64ELb0E21rocsparse_complex_numIdEEEv20rocsparse_direction_iiPKiS5_PT2_S5_PiS5_S8_21rocsparse_index_base_.kd
    .uniform_work_group_size: 1
    .uses_dynamic_stack: false
    .vgpr_count:     65
    .vgpr_spill_count: 0
    .wavefront_size: 64
  - .args:
      - .offset:         0
        .size:           4
        .value_kind:     by_value
      - .offset:         4
        .size:           4
        .value_kind:     by_value
      - .offset:         8
        .size:           4
        .value_kind:     by_value
      - .actual_access:  read_only
        .address_space:  global
        .offset:         16
        .size:           8
        .value_kind:     global_buffer
      - .actual_access:  read_only
        .address_space:  global
        .offset:         24
        .size:           8
        .value_kind:     global_buffer
      - .address_space:  global
        .offset:         32
        .size:           8
        .value_kind:     global_buffer
      - .actual_access:  read_only
        .address_space:  global
        .offset:         40
        .size:           8
        .value_kind:     global_buffer
      - .address_space:  global
        .offset:         48
        .size:           8
        .value_kind:     global_buffer
      - .actual_access:  read_only
        .address_space:  global
        .offset:         56
        .size:           8
        .value_kind:     global_buffer
      - .address_space:  global
        .offset:         64
        .size:           8
        .value_kind:     global_buffer
      - .offset:         72
        .size:           4
        .value_kind:     by_value
    .group_segment_fixed_size: 5376
    .kernarg_segment_align: 8
    .kernarg_segment_size: 76
    .language:       OpenCL C
    .language_version:
      - 2
      - 0
    .max_flat_workgroup_size: 64
    .name:           _ZN9rocsparseL17bsric0_2_8_kernelILi64ELi64ELi8E21rocsparse_complex_numIdEEEv20rocsparse_direction_iiPKiS5_PT2_S5_PiS5_S8_21rocsparse_index_base_
    .private_segment_fixed_size: 0
    .sgpr_count:     54
    .sgpr_spill_count: 0
    .symbol:         _ZN9rocsparseL17bsric0_2_8_kernelILi64ELi64ELi8E21rocsparse_complex_numIdEEEv20rocsparse_direction_iiPKiS5_PT2_S5_PiS5_S8_21rocsparse_index_base_.kd
    .uniform_work_group_size: 1
    .uses_dynamic_stack: false
    .vgpr_count:     41
    .vgpr_spill_count: 0
    .wavefront_size: 64
  - .args:
      - .offset:         0
        .size:           4
        .value_kind:     by_value
      - .offset:         4
        .size:           4
        .value_kind:     by_value
      - .offset:         8
        .size:           4
        .value_kind:     by_value
      - .actual_access:  read_only
        .address_space:  global
        .offset:         16
        .size:           8
        .value_kind:     global_buffer
      - .actual_access:  read_only
        .address_space:  global
        .offset:         24
        .size:           8
        .value_kind:     global_buffer
      - .address_space:  global
        .offset:         32
        .size:           8
        .value_kind:     global_buffer
      - .actual_access:  read_only
        .address_space:  global
        .offset:         40
        .size:           8
        .value_kind:     global_buffer
      - .address_space:  global
        .offset:         48
        .size:           8
        .value_kind:     global_buffer
      - .actual_access:  read_only
        .address_space:  global
        .offset:         56
        .size:           8
        .value_kind:     global_buffer
      - .address_space:  global
        .offset:         64
        .size:           8
        .value_kind:     global_buffer
      - .offset:         72
        .size:           4
        .value_kind:     by_value
    .group_segment_fixed_size: 18176
    .kernarg_segment_align: 8
    .kernarg_segment_size: 76
    .language:       OpenCL C
    .language_version:
      - 2
      - 0
    .max_flat_workgroup_size: 64
    .name:           _ZN9rocsparseL18bsric0_9_16_kernelILi64ELi64ELi16E21rocsparse_complex_numIdEEEv20rocsparse_direction_iiPKiS5_PT2_S5_PiS5_S8_21rocsparse_index_base_
    .private_segment_fixed_size: 0
    .sgpr_count:     58
    .sgpr_spill_count: 0
    .symbol:         _ZN9rocsparseL18bsric0_9_16_kernelILi64ELi64ELi16E21rocsparse_complex_numIdEEEv20rocsparse_direction_iiPKiS5_PT2_S5_PiS5_S8_21rocsparse_index_base_.kd
    .uniform_work_group_size: 1
    .uses_dynamic_stack: false
    .vgpr_count:     40
    .vgpr_spill_count: 0
    .wavefront_size: 64
  - .args:
      - .offset:         0
        .size:           4
        .value_kind:     by_value
      - .offset:         4
        .size:           4
        .value_kind:     by_value
      - .offset:         8
        .size:           4
        .value_kind:     by_value
      - .actual_access:  read_only
        .address_space:  global
        .offset:         16
        .size:           8
        .value_kind:     global_buffer
      - .actual_access:  read_only
        .address_space:  global
        .offset:         24
        .size:           8
        .value_kind:     global_buffer
      - .address_space:  global
        .offset:         32
        .size:           8
        .value_kind:     global_buffer
      - .actual_access:  read_only
        .address_space:  global
        .offset:         40
        .size:           8
        .value_kind:     global_buffer
      - .address_space:  global
        .offset:         48
        .size:           8
        .value_kind:     global_buffer
      - .actual_access:  read_only
        .address_space:  global
        .offset:         56
        .size:           8
        .value_kind:     global_buffer
      - .address_space:  global
        .offset:         64
        .size:           8
        .value_kind:     global_buffer
      - .offset:         72
        .size:           4
        .value_kind:     by_value
    .group_segment_fixed_size: 51456
    .kernarg_segment_align: 8
    .kernarg_segment_size: 76
    .language:       OpenCL C
    .language_version:
      - 2
      - 0
    .max_flat_workgroup_size: 64
    .name:           _ZN9rocsparseL19bsric0_17_32_kernelILi64ELi64ELi32E21rocsparse_complex_numIdEEEv20rocsparse_direction_iiPKiS5_PT2_S5_PiS5_S8_21rocsparse_index_base_
    .private_segment_fixed_size: 0
    .sgpr_count:     60
    .sgpr_spill_count: 0
    .symbol:         _ZN9rocsparseL19bsric0_17_32_kernelILi64ELi64ELi32E21rocsparse_complex_numIdEEEv20rocsparse_direction_iiPKiS5_PT2_S5_PiS5_S8_21rocsparse_index_base_.kd
    .uniform_work_group_size: 1
    .uses_dynamic_stack: false
    .vgpr_count:     38
    .vgpr_spill_count: 0
    .wavefront_size: 64
  - .args:
      - .offset:         0
        .size:           4
        .value_kind:     by_value
      - .offset:         4
        .size:           4
        .value_kind:     by_value
      - .offset:         8
        .size:           4
        .value_kind:     by_value
      - .actual_access:  read_only
        .address_space:  global
        .offset:         16
        .size:           8
        .value_kind:     global_buffer
      - .actual_access:  read_only
        .address_space:  global
        .offset:         24
        .size:           8
        .value_kind:     global_buffer
      - .address_space:  global
        .offset:         32
        .size:           8
        .value_kind:     global_buffer
      - .actual_access:  read_only
        .address_space:  global
        .offset:         40
        .size:           8
        .value_kind:     global_buffer
      - .address_space:  global
        .offset:         48
        .size:           8
        .value_kind:     global_buffer
      - .actual_access:  read_only
        .address_space:  global
        .offset:         56
        .size:           8
        .value_kind:     global_buffer
      - .address_space:  global
        .offset:         64
        .size:           8
        .value_kind:     global_buffer
      - .offset:         72
        .size:           4
        .value_kind:     by_value
    .group_segment_fixed_size: 6144
    .kernarg_segment_align: 8
    .kernarg_segment_size: 76
    .language:       OpenCL C
    .language_version:
      - 2
      - 0
    .max_flat_workgroup_size: 64
    .name:           _ZN9rocsparseL17bsric0_2_8_kernelILi64ELi128ELi8E21rocsparse_complex_numIdEEEv20rocsparse_direction_iiPKiS5_PT2_S5_PiS5_S8_21rocsparse_index_base_
    .private_segment_fixed_size: 0
    .sgpr_count:     54
    .sgpr_spill_count: 0
    .symbol:         _ZN9rocsparseL17bsric0_2_8_kernelILi64ELi128ELi8E21rocsparse_complex_numIdEEEv20rocsparse_direction_iiPKiS5_PT2_S5_PiS5_S8_21rocsparse_index_base_.kd
    .uniform_work_group_size: 1
    .uses_dynamic_stack: false
    .vgpr_count:     41
    .vgpr_spill_count: 0
    .wavefront_size: 64
  - .args:
      - .offset:         0
        .size:           4
        .value_kind:     by_value
      - .offset:         4
        .size:           4
        .value_kind:     by_value
      - .offset:         8
        .size:           4
        .value_kind:     by_value
      - .actual_access:  read_only
        .address_space:  global
        .offset:         16
        .size:           8
        .value_kind:     global_buffer
      - .actual_access:  read_only
        .address_space:  global
        .offset:         24
        .size:           8
        .value_kind:     global_buffer
      - .address_space:  global
        .offset:         32
        .size:           8
        .value_kind:     global_buffer
      - .actual_access:  read_only
        .address_space:  global
        .offset:         40
        .size:           8
        .value_kind:     global_buffer
      - .address_space:  global
        .offset:         48
        .size:           8
        .value_kind:     global_buffer
      - .actual_access:  read_only
        .address_space:  global
        .offset:         56
        .size:           8
        .value_kind:     global_buffer
      - .address_space:  global
        .offset:         64
        .size:           8
        .value_kind:     global_buffer
      - .offset:         72
        .size:           4
        .value_kind:     by_value
    .group_segment_fixed_size: 18944
    .kernarg_segment_align: 8
    .kernarg_segment_size: 76
    .language:       OpenCL C
    .language_version:
      - 2
      - 0
    .max_flat_workgroup_size: 64
    .name:           _ZN9rocsparseL18bsric0_9_16_kernelILi64ELi128ELi16E21rocsparse_complex_numIdEEEv20rocsparse_direction_iiPKiS5_PT2_S5_PiS5_S8_21rocsparse_index_base_
    .private_segment_fixed_size: 0
    .sgpr_count:     58
    .sgpr_spill_count: 0
    .symbol:         _ZN9rocsparseL18bsric0_9_16_kernelILi64ELi128ELi16E21rocsparse_complex_numIdEEEv20rocsparse_direction_iiPKiS5_PT2_S5_PiS5_S8_21rocsparse_index_base_.kd
    .uniform_work_group_size: 1
    .uses_dynamic_stack: false
    .vgpr_count:     39
    .vgpr_spill_count: 0
    .wavefront_size: 64
  - .args:
      - .offset:         0
        .size:           4
        .value_kind:     by_value
      - .offset:         4
        .size:           4
        .value_kind:     by_value
      - .offset:         8
        .size:           4
        .value_kind:     by_value
      - .actual_access:  read_only
        .address_space:  global
        .offset:         16
        .size:           8
        .value_kind:     global_buffer
      - .actual_access:  read_only
        .address_space:  global
        .offset:         24
        .size:           8
        .value_kind:     global_buffer
      - .address_space:  global
        .offset:         32
        .size:           8
        .value_kind:     global_buffer
      - .actual_access:  read_only
        .address_space:  global
        .offset:         40
        .size:           8
        .value_kind:     global_buffer
      - .address_space:  global
        .offset:         48
        .size:           8
        .value_kind:     global_buffer
      - .actual_access:  read_only
        .address_space:  global
        .offset:         56
        .size:           8
        .value_kind:     global_buffer
      - .address_space:  global
        .offset:         64
        .size:           8
        .value_kind:     global_buffer
      - .offset:         72
        .size:           4
        .value_kind:     by_value
    .group_segment_fixed_size: 52224
    .kernarg_segment_align: 8
    .kernarg_segment_size: 76
    .language:       OpenCL C
    .language_version:
      - 2
      - 0
    .max_flat_workgroup_size: 64
    .name:           _ZN9rocsparseL19bsric0_17_32_kernelILi64ELi128ELi32E21rocsparse_complex_numIdEEEv20rocsparse_direction_iiPKiS5_PT2_S5_PiS5_S8_21rocsparse_index_base_
    .private_segment_fixed_size: 0
    .sgpr_count:     60
    .sgpr_spill_count: 0
    .symbol:         _ZN9rocsparseL19bsric0_17_32_kernelILi64ELi128ELi32E21rocsparse_complex_numIdEEEv20rocsparse_direction_iiPKiS5_PT2_S5_PiS5_S8_21rocsparse_index_base_.kd
    .uniform_work_group_size: 1
    .uses_dynamic_stack: false
    .vgpr_count:     38
    .vgpr_spill_count: 0
    .wavefront_size: 64
amdhsa.target:   amdgcn-amd-amdhsa--gfx906
amdhsa.version:
  - 1
  - 2
...

	.end_amdgpu_metadata
